;; amdgpu-corpus repo=ROCm/AMDMIGraphX kind=compiled arch=gfx950 opt=O3
	.text
	.amdgcn_target "amdgcn-amd-amdhsa--gfx950"
	.amdhsa_code_object_version 6
	.p2align	2                               ; -- Begin function _ZNK8migraphx13basic_printerIZNS_4coutEvEUlT_E_ElsEPKc
	.type	_ZNK8migraphx13basic_printerIZNS_4coutEvEUlT_E_ElsEPKc,@function
_ZNK8migraphx13basic_printerIZNS_4coutEvEUlT_E_ElsEPKc: ; @_ZNK8migraphx13basic_printerIZNS_4coutEvEUlT_E_ElsEPKc
; %bb.0:
	s_waitcnt vmcnt(0) expcnt(0) lgkmcnt(0)
	s_load_dwordx2 s[2:3], s[8:9], 0x50
	v_mbcnt_lo_u32_b32 v2, -1, 0
	v_mbcnt_hi_u32_b32 v36, -1, v2
	v_mov_b64_e32 v[6:7], 0
	v_readfirstlane_b32 s0, v36
	s_nop 1
	v_cmp_eq_u32_e64 s[0:1], s0, v36
	s_and_saveexec_b64 s[4:5], s[0:1]
	s_cbranch_execz .LBB0_6
; %bb.1:
	v_mov_b32_e32 v2, 0
	s_waitcnt lgkmcnt(0)
	global_load_dwordx2 v[8:9], v2, s[2:3] offset:24 sc0 sc1
	s_waitcnt vmcnt(0)
	buffer_inv sc0 sc1
	global_load_dwordx2 v[4:5], v2, s[2:3] offset:40
	global_load_dwordx2 v[6:7], v2, s[2:3]
	s_waitcnt vmcnt(1)
	v_and_b32_e32 v3, v4, v8
	v_and_b32_e32 v4, v5, v9
	v_mul_lo_u32 v4, v4, 24
	v_mul_hi_u32 v5, v3, 24
	v_add_u32_e32 v5, v5, v4
	v_mul_lo_u32 v4, v3, 24
	s_waitcnt vmcnt(0)
	v_lshl_add_u64 v[4:5], v[6:7], 0, v[4:5]
	global_load_dwordx2 v[6:7], v[4:5], off sc0 sc1
	s_waitcnt vmcnt(0)
	global_atomic_cmpswap_x2 v[6:7], v2, v[6:9], s[2:3] offset:24 sc0 sc1
	s_waitcnt vmcnt(0)
	buffer_inv sc0 sc1
	v_cmp_ne_u64_e32 vcc, v[6:7], v[8:9]
	s_and_saveexec_b64 s[6:7], vcc
	s_cbranch_execz .LBB0_5
; %bb.2:
	s_mov_b64 s[8:9], 0
.LBB0_3:                                ; =>This Inner Loop Header: Depth=1
	s_sleep 1
	global_load_dwordx2 v[4:5], v2, s[2:3] offset:40
	global_load_dwordx2 v[10:11], v2, s[2:3]
	v_mov_b64_e32 v[8:9], v[6:7]
	s_waitcnt vmcnt(1)
	v_and_b32_e32 v4, v4, v8
	v_and_b32_e32 v3, v5, v9
	s_waitcnt vmcnt(0)
	v_mad_u64_u32 v[4:5], s[10:11], v4, 24, v[10:11]
	v_mov_b32_e32 v6, v5
	v_mad_u64_u32 v[6:7], s[10:11], v3, 24, v[6:7]
	v_mov_b32_e32 v5, v6
	global_load_dwordx2 v[6:7], v[4:5], off sc0 sc1
	s_waitcnt vmcnt(0)
	global_atomic_cmpswap_x2 v[6:7], v2, v[6:9], s[2:3] offset:24 sc0 sc1
	s_waitcnt vmcnt(0)
	buffer_inv sc0 sc1
	v_cmp_eq_u64_e32 vcc, v[6:7], v[8:9]
	s_or_b64 s[8:9], vcc, s[8:9]
	s_andn2_b64 exec, exec, s[8:9]
	s_cbranch_execnz .LBB0_3
; %bb.4:
	s_or_b64 exec, exec, s[8:9]
.LBB0_5:
	s_or_b64 exec, exec, s[6:7]
.LBB0_6:
	s_or_b64 exec, exec, s[4:5]
	v_mov_b32_e32 v29, 0
	s_waitcnt lgkmcnt(0)
	global_load_dwordx2 v[8:9], v29, s[2:3] offset:40
	global_load_dwordx4 v[2:5], v29, s[2:3]
	v_readfirstlane_b32 s4, v6
	v_readfirstlane_b32 s5, v7
	s_mov_b64 s[6:7], exec
	s_waitcnt vmcnt(1)
	v_readfirstlane_b32 s8, v8
	v_readfirstlane_b32 s9, v9
	s_and_b64 s[8:9], s[4:5], s[8:9]
	s_mul_i32 s10, s9, 24
	s_mul_hi_u32 s11, s8, 24
	s_add_i32 s11, s11, s10
	s_mul_i32 s10, s8, 24
	s_waitcnt vmcnt(0)
	v_lshl_add_u64 v[6:7], v[2:3], 0, s[10:11]
	s_and_saveexec_b64 s[10:11], s[0:1]
	s_cbranch_execz .LBB0_8
; %bb.7:
	v_mov_b64_e32 v[8:9], s[6:7]
	v_mov_b32_e32 v10, 2
	v_mov_b32_e32 v11, 1
	global_store_dwordx4 v[6:7], v[8:11], off offset:8
.LBB0_8:
	s_or_b64 exec, exec, s[10:11]
	s_lshl_b64 s[6:7], s[8:9], 12
	v_lshl_add_u64 v[8:9], v[4:5], 0, s[6:7]
	s_mov_b32 s8, 0
	v_lshlrev_b32_e32 v28, 6, v36
	v_mov_b32_e32 v10, 33
	v_mov_b32_e32 v11, v29
	;; [unrolled: 1-line block ×4, first 2 shown]
	v_readfirstlane_b32 s6, v8
	v_readfirstlane_b32 s7, v9
	s_mov_b32 s10, s8
	s_mov_b32 s11, s8
	;; [unrolled: 1-line block ×3, first 2 shown]
	s_nop 1
	global_store_dwordx4 v28, v[10:13], s[6:7]
	s_nop 1
	v_mov_b64_e32 v[12:13], s[10:11]
	v_mov_b64_e32 v[10:11], s[8:9]
	global_store_dwordx4 v28, v[10:13], s[6:7] offset:16
	global_store_dwordx4 v28, v[10:13], s[6:7] offset:32
	;; [unrolled: 1-line block ×3, first 2 shown]
	s_and_saveexec_b64 s[6:7], s[0:1]
	s_cbranch_execz .LBB0_16
; %bb.9:
	v_mov_b32_e32 v12, 0
	global_load_dwordx2 v[16:17], v12, s[2:3] offset:32 sc0 sc1
	global_load_dwordx2 v[4:5], v12, s[2:3] offset:40
	v_mov_b32_e32 v14, s4
	v_mov_b32_e32 v15, s5
	s_waitcnt vmcnt(0)
	v_and_b32_e32 v4, s4, v4
	v_and_b32_e32 v5, s5, v5
	v_mul_lo_u32 v5, v5, 24
	v_mul_hi_u32 v10, v4, 24
	v_mul_lo_u32 v4, v4, 24
	v_add_u32_e32 v5, v10, v5
	v_lshl_add_u64 v[10:11], v[2:3], 0, v[4:5]
	global_store_dwordx2 v[10:11], v[16:17], off
	buffer_wbl2 sc0 sc1
	s_waitcnt vmcnt(0)
	global_atomic_cmpswap_x2 v[4:5], v12, v[14:17], s[2:3] offset:32 sc0 sc1
	s_waitcnt vmcnt(0)
	v_cmp_ne_u64_e32 vcc, v[4:5], v[16:17]
	s_and_saveexec_b64 s[8:9], vcc
	s_cbranch_execz .LBB0_12
; %bb.10:
	s_mov_b64 s[10:11], 0
.LBB0_11:                               ; =>This Inner Loop Header: Depth=1
	s_sleep 1
	global_store_dwordx2 v[10:11], v[4:5], off
	v_mov_b32_e32 v2, s4
	v_mov_b32_e32 v3, s5
	buffer_wbl2 sc0 sc1
	s_waitcnt vmcnt(0)
	global_atomic_cmpswap_x2 v[2:3], v12, v[2:5], s[2:3] offset:32 sc0 sc1
	s_waitcnt vmcnt(0)
	v_cmp_eq_u64_e32 vcc, v[2:3], v[4:5]
	s_or_b64 s[10:11], vcc, s[10:11]
	v_mov_b64_e32 v[4:5], v[2:3]
	s_andn2_b64 exec, exec, s[10:11]
	s_cbranch_execnz .LBB0_11
.LBB0_12:
	s_or_b64 exec, exec, s[8:9]
	v_mov_b32_e32 v5, 0
	global_load_dwordx2 v[2:3], v5, s[2:3] offset:16
	s_mov_b64 s[8:9], exec
	v_mbcnt_lo_u32_b32 v4, s8, 0
	v_mbcnt_hi_u32_b32 v4, s9, v4
	v_cmp_eq_u32_e32 vcc, 0, v4
	s_and_saveexec_b64 s[10:11], vcc
	s_cbranch_execz .LBB0_14
; %bb.13:
	s_bcnt1_i32_b64 s8, s[8:9]
	v_mov_b32_e32 v4, s8
	buffer_wbl2 sc0 sc1
	s_waitcnt vmcnt(0)
	global_atomic_add_x2 v[2:3], v[4:5], off offset:8 sc1
.LBB0_14:
	s_or_b64 exec, exec, s[10:11]
	s_waitcnt vmcnt(0)
	global_load_dwordx2 v[4:5], v[2:3], off offset:16
	s_waitcnt vmcnt(0)
	v_cmp_eq_u64_e32 vcc, 0, v[4:5]
	s_cbranch_vccnz .LBB0_16
; %bb.15:
	global_load_dword v2, v[2:3], off offset:24
	v_mov_b32_e32 v3, 0
	buffer_wbl2 sc0 sc1
	s_waitcnt vmcnt(0)
	global_store_dwordx2 v[4:5], v[2:3], off sc0 sc1
	v_and_b32_e32 v2, 0xffffff, v2
	s_nop 0
	v_readfirstlane_b32 m0, v2
	s_sendmsg sendmsg(MSG_INTERRUPT)
.LBB0_16:
	s_or_b64 exec, exec, s[6:7]
	v_lshl_add_u64 v[2:3], v[8:9], 0, v[28:29]
	s_branch .LBB0_20
.LBB0_17:                               ;   in Loop: Header=BB0_20 Depth=1
	s_or_b64 exec, exec, s[6:7]
	v_readfirstlane_b32 s6, v4
	s_cmp_eq_u32 s6, 0
	s_cbranch_scc1 .LBB0_19
; %bb.18:                               ;   in Loop: Header=BB0_20 Depth=1
	s_sleep 1
	s_cbranch_execnz .LBB0_20
	s_branch .LBB0_22
.LBB0_19:
	s_branch .LBB0_22
.LBB0_20:                               ; =>This Inner Loop Header: Depth=1
	v_mov_b32_e32 v4, 1
	s_and_saveexec_b64 s[6:7], s[0:1]
	s_cbranch_execz .LBB0_17
; %bb.21:                               ;   in Loop: Header=BB0_20 Depth=1
	global_load_dword v4, v[6:7], off offset:20 sc0 sc1
	s_waitcnt vmcnt(0)
	buffer_inv sc0 sc1
	v_and_b32_e32 v4, 1, v4
	s_branch .LBB0_17
.LBB0_22:
	global_load_dwordx2 v[6:7], v[2:3], off
	s_and_saveexec_b64 s[6:7], s[0:1]
	s_cbranch_execz .LBB0_25
; %bb.23:
	v_mov_b32_e32 v10, 0
	global_load_dwordx2 v[8:9], v10, s[2:3] offset:40
	global_load_dwordx2 v[12:13], v10, s[2:3] offset:24 sc0 sc1
	global_load_dwordx2 v[14:15], v10, s[2:3]
	s_mov_b64 s[0:1], 0
	s_waitcnt vmcnt(2)
	v_lshl_add_u64 v[2:3], v[8:9], 0, 1
	v_lshl_add_u64 v[16:17], v[2:3], 0, s[4:5]
	v_cmp_eq_u64_e32 vcc, 0, v[16:17]
	s_waitcnt vmcnt(1)
	v_mov_b32_e32 v4, v12
	v_cndmask_b32_e32 v3, v17, v3, vcc
	v_cndmask_b32_e32 v2, v16, v2, vcc
	v_and_b32_e32 v5, v3, v9
	v_and_b32_e32 v8, v2, v8
	v_mul_lo_u32 v5, v5, 24
	v_mul_hi_u32 v9, v8, 24
	v_mul_lo_u32 v8, v8, 24
	v_add_u32_e32 v9, v9, v5
	s_waitcnt vmcnt(0)
	v_lshl_add_u64 v[8:9], v[14:15], 0, v[8:9]
	global_store_dwordx2 v[8:9], v[12:13], off
	v_mov_b32_e32 v5, v13
	buffer_wbl2 sc0 sc1
	s_waitcnt vmcnt(0)
	global_atomic_cmpswap_x2 v[4:5], v10, v[2:5], s[2:3] offset:24 sc0 sc1
	s_waitcnt vmcnt(0)
	v_cmp_ne_u64_e32 vcc, v[4:5], v[12:13]
	s_and_b64 exec, exec, vcc
	s_cbranch_execz .LBB0_25
.LBB0_24:                               ; =>This Inner Loop Header: Depth=1
	s_sleep 1
	global_store_dwordx2 v[8:9], v[4:5], off
	buffer_wbl2 sc0 sc1
	s_waitcnt vmcnt(0)
	global_atomic_cmpswap_x2 v[12:13], v10, v[2:5], s[2:3] offset:24 sc0 sc1
	s_waitcnt vmcnt(0)
	v_cmp_eq_u64_e32 vcc, v[12:13], v[4:5]
	s_or_b64 s[0:1], vcc, s[0:1]
	v_mov_b64_e32 v[4:5], v[12:13]
	s_andn2_b64 exec, exec, s[0:1]
	s_cbranch_execnz .LBB0_24
.LBB0_25:
	s_or_b64 exec, exec, s[6:7]
	s_getpc_b64 s[4:5]
	s_add_u32 s4, s4, .str.5@rel32@lo+4
	s_addc_u32 s5, s5, .str.5@rel32@hi+12
	s_cmp_lg_u64 s[4:5], 0
	s_cbranch_scc0 .LBB0_110
; %bb.26:
	s_waitcnt vmcnt(0)
	v_and_b32_e32 v30, 2, v6
	v_mov_b32_e32 v33, 0
	v_and_b32_e32 v2, -3, v6
	v_mov_b32_e32 v3, v7
	s_mov_b64 s[6:7], 3
	v_mov_b32_e32 v10, 2
	v_mov_b32_e32 v11, 1
	s_branch .LBB0_28
.LBB0_27:                               ;   in Loop: Header=BB0_28 Depth=1
	s_or_b64 exec, exec, s[12:13]
	s_sub_u32 s6, s6, s8
	s_subb_u32 s7, s7, s9
	s_add_u32 s4, s4, s8
	s_addc_u32 s5, s5, s9
	s_cmp_lg_u64 s[6:7], 0
	s_cbranch_scc0 .LBB0_109
.LBB0_28:                               ; =>This Loop Header: Depth=1
                                        ;     Child Loop BB0_31 Depth 2
                                        ;     Child Loop BB0_38 Depth 2
	;; [unrolled: 1-line block ×11, first 2 shown]
	v_cmp_lt_u64_e64 s[0:1], s[6:7], 56
	s_and_b64 s[0:1], s[0:1], exec
	v_cmp_gt_u64_e64 s[0:1], s[6:7], 7
	s_cselect_b32 s9, s7, 0
	s_cselect_b32 s8, s6, 56
	s_and_b64 vcc, exec, s[0:1]
	s_cbranch_vccnz .LBB0_33
; %bb.29:                               ;   in Loop: Header=BB0_28 Depth=1
	s_mov_b64 s[0:1], 0
	s_cmp_eq_u64 s[6:7], 0
	s_waitcnt vmcnt(0)
	v_mov_b64_e32 v[4:5], 0
	s_cbranch_scc1 .LBB0_32
; %bb.30:                               ;   in Loop: Header=BB0_28 Depth=1
	s_lshl_b64 s[10:11], s[8:9], 3
	s_mov_b64 s[12:13], 0
	v_mov_b64_e32 v[4:5], 0
	s_mov_b64 s[14:15], s[4:5]
.LBB0_31:                               ;   Parent Loop BB0_28 Depth=1
                                        ; =>  This Inner Loop Header: Depth=2
	global_load_ubyte v8, v33, s[14:15]
	s_waitcnt vmcnt(0)
	v_and_b32_e32 v32, 0xffff, v8
	v_lshlrev_b64 v[8:9], s12, v[32:33]
	s_add_u32 s12, s12, 8
	s_addc_u32 s13, s13, 0
	s_add_u32 s14, s14, 1
	s_addc_u32 s15, s15, 0
	v_or_b32_e32 v4, v8, v4
	s_cmp_lg_u32 s10, s12
	v_or_b32_e32 v5, v9, v5
	s_cbranch_scc1 .LBB0_31
.LBB0_32:                               ;   in Loop: Header=BB0_28 Depth=1
	s_mov_b32 s14, 0
	s_andn2_b64 vcc, exec, s[0:1]
	s_mov_b64 s[0:1], s[4:5]
	s_cbranch_vccz .LBB0_34
	s_branch .LBB0_35
.LBB0_33:                               ;   in Loop: Header=BB0_28 Depth=1
                                        ; implicit-def: $vgpr4_vgpr5
                                        ; implicit-def: $sgpr14
	s_mov_b64 s[0:1], s[4:5]
.LBB0_34:                               ;   in Loop: Header=BB0_28 Depth=1
	global_load_dwordx2 v[4:5], v33, s[4:5]
	s_add_i32 s14, s8, -8
	s_add_u32 s0, s4, 8
	s_addc_u32 s1, s5, 0
.LBB0_35:                               ;   in Loop: Header=BB0_28 Depth=1
	s_cmp_gt_u32 s14, 7
	s_cbranch_scc1 .LBB0_39
; %bb.36:                               ;   in Loop: Header=BB0_28 Depth=1
	s_cmp_eq_u32 s14, 0
	s_cbranch_scc1 .LBB0_40
; %bb.37:                               ;   in Loop: Header=BB0_28 Depth=1
	s_mov_b64 s[10:11], 0
	v_mov_b64_e32 v[12:13], 0
	s_mov_b64 s[12:13], 0
.LBB0_38:                               ;   Parent Loop BB0_28 Depth=1
                                        ; =>  This Inner Loop Header: Depth=2
	s_add_u32 s16, s0, s12
	s_addc_u32 s17, s1, s13
	global_load_ubyte v8, v33, s[16:17]
	s_add_u32 s12, s12, 1
	s_addc_u32 s13, s13, 0
	s_waitcnt vmcnt(0)
	v_and_b32_e32 v32, 0xffff, v8
	v_lshlrev_b64 v[8:9], s10, v[32:33]
	s_add_u32 s10, s10, 8
	s_addc_u32 s11, s11, 0
	v_or_b32_e32 v12, v8, v12
	s_cmp_lg_u32 s14, s12
	v_or_b32_e32 v13, v9, v13
	s_cbranch_scc1 .LBB0_38
	s_branch .LBB0_41
.LBB0_39:                               ;   in Loop: Header=BB0_28 Depth=1
                                        ; implicit-def: $vgpr12_vgpr13
                                        ; implicit-def: $sgpr15
	s_branch .LBB0_42
.LBB0_40:                               ;   in Loop: Header=BB0_28 Depth=1
	v_mov_b64_e32 v[12:13], 0
.LBB0_41:                               ;   in Loop: Header=BB0_28 Depth=1
	s_mov_b32 s15, 0
	s_cbranch_execnz .LBB0_43
.LBB0_42:                               ;   in Loop: Header=BB0_28 Depth=1
	global_load_dwordx2 v[12:13], v33, s[0:1]
	s_add_i32 s15, s14, -8
	s_add_u32 s0, s0, 8
	s_addc_u32 s1, s1, 0
.LBB0_43:                               ;   in Loop: Header=BB0_28 Depth=1
	s_cmp_gt_u32 s15, 7
	s_cbranch_scc1 .LBB0_47
; %bb.44:                               ;   in Loop: Header=BB0_28 Depth=1
	s_cmp_eq_u32 s15, 0
	s_cbranch_scc1 .LBB0_48
; %bb.45:                               ;   in Loop: Header=BB0_28 Depth=1
	s_mov_b64 s[10:11], 0
	v_mov_b64_e32 v[14:15], 0
	s_mov_b64 s[12:13], 0
.LBB0_46:                               ;   Parent Loop BB0_28 Depth=1
                                        ; =>  This Inner Loop Header: Depth=2
	s_add_u32 s16, s0, s12
	s_addc_u32 s17, s1, s13
	global_load_ubyte v8, v33, s[16:17]
	s_add_u32 s12, s12, 1
	s_addc_u32 s13, s13, 0
	s_waitcnt vmcnt(0)
	v_and_b32_e32 v32, 0xffff, v8
	v_lshlrev_b64 v[8:9], s10, v[32:33]
	s_add_u32 s10, s10, 8
	s_addc_u32 s11, s11, 0
	v_or_b32_e32 v14, v8, v14
	s_cmp_lg_u32 s15, s12
	v_or_b32_e32 v15, v9, v15
	s_cbranch_scc1 .LBB0_46
	s_branch .LBB0_49
.LBB0_47:                               ;   in Loop: Header=BB0_28 Depth=1
                                        ; implicit-def: $sgpr14
	s_branch .LBB0_50
.LBB0_48:                               ;   in Loop: Header=BB0_28 Depth=1
	v_mov_b64_e32 v[14:15], 0
.LBB0_49:                               ;   in Loop: Header=BB0_28 Depth=1
	s_mov_b32 s14, 0
	s_cbranch_execnz .LBB0_51
.LBB0_50:                               ;   in Loop: Header=BB0_28 Depth=1
	global_load_dwordx2 v[14:15], v33, s[0:1]
	s_add_i32 s14, s15, -8
	s_add_u32 s0, s0, 8
	s_addc_u32 s1, s1, 0
.LBB0_51:                               ;   in Loop: Header=BB0_28 Depth=1
	s_cmp_gt_u32 s14, 7
	s_cbranch_scc1 .LBB0_55
; %bb.52:                               ;   in Loop: Header=BB0_28 Depth=1
	s_cmp_eq_u32 s14, 0
	s_cbranch_scc1 .LBB0_56
; %bb.53:                               ;   in Loop: Header=BB0_28 Depth=1
	s_mov_b64 s[10:11], 0
	v_mov_b64_e32 v[16:17], 0
	s_mov_b64 s[12:13], 0
.LBB0_54:                               ;   Parent Loop BB0_28 Depth=1
                                        ; =>  This Inner Loop Header: Depth=2
	s_add_u32 s16, s0, s12
	s_addc_u32 s17, s1, s13
	global_load_ubyte v8, v33, s[16:17]
	s_add_u32 s12, s12, 1
	s_addc_u32 s13, s13, 0
	s_waitcnt vmcnt(0)
	v_and_b32_e32 v32, 0xffff, v8
	v_lshlrev_b64 v[8:9], s10, v[32:33]
	s_add_u32 s10, s10, 8
	s_addc_u32 s11, s11, 0
	v_or_b32_e32 v16, v8, v16
	s_cmp_lg_u32 s14, s12
	v_or_b32_e32 v17, v9, v17
	s_cbranch_scc1 .LBB0_54
	s_branch .LBB0_57
.LBB0_55:                               ;   in Loop: Header=BB0_28 Depth=1
                                        ; implicit-def: $vgpr16_vgpr17
                                        ; implicit-def: $sgpr15
	s_branch .LBB0_58
.LBB0_56:                               ;   in Loop: Header=BB0_28 Depth=1
	v_mov_b64_e32 v[16:17], 0
.LBB0_57:                               ;   in Loop: Header=BB0_28 Depth=1
	s_mov_b32 s15, 0
	s_cbranch_execnz .LBB0_59
.LBB0_58:                               ;   in Loop: Header=BB0_28 Depth=1
	global_load_dwordx2 v[16:17], v33, s[0:1]
	s_add_i32 s15, s14, -8
	s_add_u32 s0, s0, 8
	s_addc_u32 s1, s1, 0
.LBB0_59:                               ;   in Loop: Header=BB0_28 Depth=1
	s_cmp_gt_u32 s15, 7
	s_cbranch_scc1 .LBB0_63
; %bb.60:                               ;   in Loop: Header=BB0_28 Depth=1
	s_cmp_eq_u32 s15, 0
	s_cbranch_scc1 .LBB0_64
; %bb.61:                               ;   in Loop: Header=BB0_28 Depth=1
	s_mov_b64 s[10:11], 0
	v_mov_b64_e32 v[18:19], 0
	s_mov_b64 s[12:13], 0
.LBB0_62:                               ;   Parent Loop BB0_28 Depth=1
                                        ; =>  This Inner Loop Header: Depth=2
	s_add_u32 s16, s0, s12
	s_addc_u32 s17, s1, s13
	global_load_ubyte v8, v33, s[16:17]
	s_add_u32 s12, s12, 1
	s_addc_u32 s13, s13, 0
	s_waitcnt vmcnt(0)
	v_and_b32_e32 v32, 0xffff, v8
	v_lshlrev_b64 v[8:9], s10, v[32:33]
	s_add_u32 s10, s10, 8
	s_addc_u32 s11, s11, 0
	v_or_b32_e32 v18, v8, v18
	s_cmp_lg_u32 s15, s12
	v_or_b32_e32 v19, v9, v19
	s_cbranch_scc1 .LBB0_62
	s_branch .LBB0_65
.LBB0_63:                               ;   in Loop: Header=BB0_28 Depth=1
                                        ; implicit-def: $sgpr14
	s_branch .LBB0_66
.LBB0_64:                               ;   in Loop: Header=BB0_28 Depth=1
	v_mov_b64_e32 v[18:19], 0
.LBB0_65:                               ;   in Loop: Header=BB0_28 Depth=1
	s_mov_b32 s14, 0
	s_cbranch_execnz .LBB0_67
.LBB0_66:                               ;   in Loop: Header=BB0_28 Depth=1
	global_load_dwordx2 v[18:19], v33, s[0:1]
	s_add_i32 s14, s15, -8
	s_add_u32 s0, s0, 8
	s_addc_u32 s1, s1, 0
.LBB0_67:                               ;   in Loop: Header=BB0_28 Depth=1
	s_cmp_gt_u32 s14, 7
	s_cbranch_scc1 .LBB0_71
; %bb.68:                               ;   in Loop: Header=BB0_28 Depth=1
	s_cmp_eq_u32 s14, 0
	s_cbranch_scc1 .LBB0_72
; %bb.69:                               ;   in Loop: Header=BB0_28 Depth=1
	s_mov_b64 s[10:11], 0
	v_mov_b64_e32 v[20:21], 0
	s_mov_b64 s[12:13], 0
.LBB0_70:                               ;   Parent Loop BB0_28 Depth=1
                                        ; =>  This Inner Loop Header: Depth=2
	s_add_u32 s16, s0, s12
	s_addc_u32 s17, s1, s13
	global_load_ubyte v8, v33, s[16:17]
	s_add_u32 s12, s12, 1
	s_addc_u32 s13, s13, 0
	s_waitcnt vmcnt(0)
	v_and_b32_e32 v32, 0xffff, v8
	v_lshlrev_b64 v[8:9], s10, v[32:33]
	s_add_u32 s10, s10, 8
	s_addc_u32 s11, s11, 0
	v_or_b32_e32 v20, v8, v20
	s_cmp_lg_u32 s14, s12
	v_or_b32_e32 v21, v9, v21
	s_cbranch_scc1 .LBB0_70
	s_branch .LBB0_73
.LBB0_71:                               ;   in Loop: Header=BB0_28 Depth=1
                                        ; implicit-def: $vgpr20_vgpr21
                                        ; implicit-def: $sgpr15
	s_branch .LBB0_74
.LBB0_72:                               ;   in Loop: Header=BB0_28 Depth=1
	v_mov_b64_e32 v[20:21], 0
.LBB0_73:                               ;   in Loop: Header=BB0_28 Depth=1
	s_mov_b32 s15, 0
	s_cbranch_execnz .LBB0_75
.LBB0_74:                               ;   in Loop: Header=BB0_28 Depth=1
	global_load_dwordx2 v[20:21], v33, s[0:1]
	s_add_i32 s15, s14, -8
	s_add_u32 s0, s0, 8
	s_addc_u32 s1, s1, 0
.LBB0_75:                               ;   in Loop: Header=BB0_28 Depth=1
	s_cmp_gt_u32 s15, 7
	s_cbranch_scc1 .LBB0_79
; %bb.76:                               ;   in Loop: Header=BB0_28 Depth=1
	s_cmp_eq_u32 s15, 0
	s_cbranch_scc1 .LBB0_80
; %bb.77:                               ;   in Loop: Header=BB0_28 Depth=1
	s_mov_b64 s[10:11], 0
	v_mov_b64_e32 v[22:23], 0
	s_mov_b64 s[12:13], s[0:1]
.LBB0_78:                               ;   Parent Loop BB0_28 Depth=1
                                        ; =>  This Inner Loop Header: Depth=2
	global_load_ubyte v8, v33, s[12:13]
	s_add_i32 s15, s15, -1
	s_waitcnt vmcnt(0)
	v_and_b32_e32 v32, 0xffff, v8
	v_lshlrev_b64 v[8:9], s10, v[32:33]
	s_add_u32 s10, s10, 8
	s_addc_u32 s11, s11, 0
	s_add_u32 s12, s12, 1
	s_addc_u32 s13, s13, 0
	v_or_b32_e32 v22, v8, v22
	s_cmp_lg_u32 s15, 0
	v_or_b32_e32 v23, v9, v23
	s_cbranch_scc1 .LBB0_78
	s_branch .LBB0_81
.LBB0_79:                               ;   in Loop: Header=BB0_28 Depth=1
	s_branch .LBB0_82
.LBB0_80:                               ;   in Loop: Header=BB0_28 Depth=1
	v_mov_b64_e32 v[22:23], 0
.LBB0_81:                               ;   in Loop: Header=BB0_28 Depth=1
	s_cbranch_execnz .LBB0_83
.LBB0_82:                               ;   in Loop: Header=BB0_28 Depth=1
	global_load_dwordx2 v[22:23], v33, s[0:1]
.LBB0_83:                               ;   in Loop: Header=BB0_28 Depth=1
	v_readfirstlane_b32 s0, v36
	v_mov_b64_e32 v[8:9], 0
	s_nop 0
	v_cmp_eq_u32_e64 s[0:1], s0, v36
	s_and_saveexec_b64 s[10:11], s[0:1]
	s_cbranch_execz .LBB0_89
; %bb.84:                               ;   in Loop: Header=BB0_28 Depth=1
	global_load_dwordx2 v[26:27], v33, s[2:3] offset:24 sc0 sc1
	s_waitcnt vmcnt(0)
	buffer_inv sc0 sc1
	global_load_dwordx2 v[8:9], v33, s[2:3] offset:40
	global_load_dwordx2 v[24:25], v33, s[2:3]
	s_waitcnt vmcnt(1)
	v_and_b32_e32 v8, v8, v26
	v_and_b32_e32 v9, v9, v27
	v_mul_lo_u32 v9, v9, 24
	v_mul_hi_u32 v29, v8, 24
	v_add_u32_e32 v9, v29, v9
	v_mul_lo_u32 v8, v8, 24
	s_waitcnt vmcnt(0)
	v_lshl_add_u64 v[8:9], v[24:25], 0, v[8:9]
	global_load_dwordx2 v[24:25], v[8:9], off sc0 sc1
	s_waitcnt vmcnt(0)
	global_atomic_cmpswap_x2 v[8:9], v33, v[24:27], s[2:3] offset:24 sc0 sc1
	s_waitcnt vmcnt(0)
	buffer_inv sc0 sc1
	v_cmp_ne_u64_e32 vcc, v[8:9], v[26:27]
	s_and_saveexec_b64 s[12:13], vcc
	s_cbranch_execz .LBB0_88
; %bb.85:                               ;   in Loop: Header=BB0_28 Depth=1
	s_mov_b64 s[14:15], 0
.LBB0_86:                               ;   Parent Loop BB0_28 Depth=1
                                        ; =>  This Inner Loop Header: Depth=2
	s_sleep 1
	global_load_dwordx2 v[24:25], v33, s[2:3] offset:40
	global_load_dwordx2 v[34:35], v33, s[2:3]
	v_mov_b64_e32 v[26:27], v[8:9]
	s_waitcnt vmcnt(1)
	v_and_b32_e32 v8, v24, v26
	s_waitcnt vmcnt(0)
	v_mad_u64_u32 v[8:9], s[16:17], v8, 24, v[34:35]
	v_and_b32_e32 v25, v25, v27
	v_mov_b32_e32 v24, v9
	v_mad_u64_u32 v[24:25], s[16:17], v25, 24, v[24:25]
	v_mov_b32_e32 v9, v24
	global_load_dwordx2 v[24:25], v[8:9], off sc0 sc1
	s_waitcnt vmcnt(0)
	global_atomic_cmpswap_x2 v[8:9], v33, v[24:27], s[2:3] offset:24 sc0 sc1
	s_waitcnt vmcnt(0)
	buffer_inv sc0 sc1
	v_cmp_eq_u64_e32 vcc, v[8:9], v[26:27]
	s_or_b64 s[14:15], vcc, s[14:15]
	s_andn2_b64 exec, exec, s[14:15]
	s_cbranch_execnz .LBB0_86
; %bb.87:                               ;   in Loop: Header=BB0_28 Depth=1
	s_or_b64 exec, exec, s[14:15]
.LBB0_88:                               ;   in Loop: Header=BB0_28 Depth=1
	s_or_b64 exec, exec, s[12:13]
.LBB0_89:                               ;   in Loop: Header=BB0_28 Depth=1
	s_or_b64 exec, exec, s[10:11]
	global_load_dwordx2 v[34:35], v33, s[2:3] offset:40
	global_load_dwordx4 v[24:27], v33, s[2:3]
	v_readfirstlane_b32 s10, v8
	v_readfirstlane_b32 s11, v9
	s_mov_b64 s[12:13], exec
	s_waitcnt vmcnt(1)
	v_readfirstlane_b32 s14, v34
	v_readfirstlane_b32 s15, v35
	s_and_b64 s[14:15], s[10:11], s[14:15]
	s_mul_i32 s16, s15, 24
	s_mul_hi_u32 s17, s14, 24
	s_add_i32 s17, s17, s16
	s_mul_i32 s16, s14, 24
	s_waitcnt vmcnt(0)
	v_lshl_add_u64 v[34:35], v[24:25], 0, s[16:17]
	s_and_saveexec_b64 s[16:17], s[0:1]
	s_cbranch_execz .LBB0_91
; %bb.90:                               ;   in Loop: Header=BB0_28 Depth=1
	v_mov_b64_e32 v[8:9], s[12:13]
	global_store_dwordx4 v[34:35], v[8:11], off offset:8
.LBB0_91:                               ;   in Loop: Header=BB0_28 Depth=1
	s_or_b64 exec, exec, s[16:17]
	s_lshl_b64 s[12:13], s[14:15], 12
	v_lshl_add_u64 v[8:9], v[26:27], 0, s[12:13]
	v_or_b32_e32 v27, v2, v30
	v_cmp_gt_u64_e64 vcc, s[6:7], 56
	s_lshl_b32 s12, s8, 2
	s_add_i32 s12, s12, 28
	v_cndmask_b32_e32 v2, v27, v2, vcc
	v_or_b32_e32 v26, 0, v3
	s_and_b32 s12, s12, 0x1e0
	v_and_b32_e32 v2, 0xffffff1f, v2
	v_cndmask_b32_e32 v3, v26, v3, vcc
	v_or_b32_e32 v2, s12, v2
	v_readfirstlane_b32 s12, v8
	v_readfirstlane_b32 s13, v9
	s_nop 4
	global_store_dwordx4 v28, v[2:5], s[12:13]
	global_store_dwordx4 v28, v[12:15], s[12:13] offset:16
	global_store_dwordx4 v28, v[16:19], s[12:13] offset:32
	;; [unrolled: 1-line block ×3, first 2 shown]
	s_and_saveexec_b64 s[12:13], s[0:1]
	s_cbranch_execz .LBB0_99
; %bb.92:                               ;   in Loop: Header=BB0_28 Depth=1
	global_load_dwordx2 v[16:17], v33, s[2:3] offset:32 sc0 sc1
	global_load_dwordx2 v[2:3], v33, s[2:3] offset:40
	v_mov_b32_e32 v14, s10
	v_mov_b32_e32 v15, s11
	s_waitcnt vmcnt(0)
	v_readfirstlane_b32 s14, v2
	v_readfirstlane_b32 s15, v3
	s_and_b64 s[14:15], s[14:15], s[10:11]
	s_mul_i32 s15, s15, 24
	s_mul_hi_u32 s16, s14, 24
	s_mul_i32 s14, s14, 24
	s_add_i32 s15, s16, s15
	v_lshl_add_u64 v[12:13], v[24:25], 0, s[14:15]
	global_store_dwordx2 v[12:13], v[16:17], off
	buffer_wbl2 sc0 sc1
	s_waitcnt vmcnt(0)
	global_atomic_cmpswap_x2 v[4:5], v33, v[14:17], s[2:3] offset:32 sc0 sc1
	s_waitcnt vmcnt(0)
	v_cmp_ne_u64_e32 vcc, v[4:5], v[16:17]
	s_and_saveexec_b64 s[14:15], vcc
	s_cbranch_execz .LBB0_95
; %bb.93:                               ;   in Loop: Header=BB0_28 Depth=1
	s_mov_b64 s[16:17], 0
.LBB0_94:                               ;   Parent Loop BB0_28 Depth=1
                                        ; =>  This Inner Loop Header: Depth=2
	s_sleep 1
	global_store_dwordx2 v[12:13], v[4:5], off
	v_mov_b32_e32 v2, s10
	v_mov_b32_e32 v3, s11
	buffer_wbl2 sc0 sc1
	s_waitcnt vmcnt(0)
	global_atomic_cmpswap_x2 v[2:3], v33, v[2:5], s[2:3] offset:32 sc0 sc1
	s_waitcnt vmcnt(0)
	v_cmp_eq_u64_e32 vcc, v[2:3], v[4:5]
	s_or_b64 s[16:17], vcc, s[16:17]
	v_mov_b64_e32 v[4:5], v[2:3]
	s_andn2_b64 exec, exec, s[16:17]
	s_cbranch_execnz .LBB0_94
.LBB0_95:                               ;   in Loop: Header=BB0_28 Depth=1
	s_or_b64 exec, exec, s[14:15]
	global_load_dwordx2 v[2:3], v33, s[2:3] offset:16
	s_mov_b64 s[16:17], exec
	v_mbcnt_lo_u32_b32 v4, s16, 0
	v_mbcnt_hi_u32_b32 v4, s17, v4
	v_cmp_eq_u32_e32 vcc, 0, v4
	s_and_saveexec_b64 s[14:15], vcc
	s_cbranch_execz .LBB0_97
; %bb.96:                               ;   in Loop: Header=BB0_28 Depth=1
	s_bcnt1_i32_b64 s16, s[16:17]
	v_mov_b32_e32 v32, s16
	buffer_wbl2 sc0 sc1
	s_waitcnt vmcnt(0)
	global_atomic_add_x2 v[2:3], v[32:33], off offset:8 sc1
.LBB0_97:                               ;   in Loop: Header=BB0_28 Depth=1
	s_or_b64 exec, exec, s[14:15]
	s_waitcnt vmcnt(0)
	global_load_dwordx2 v[4:5], v[2:3], off offset:16
	s_waitcnt vmcnt(0)
	v_cmp_eq_u64_e32 vcc, 0, v[4:5]
	s_cbranch_vccnz .LBB0_99
; %bb.98:                               ;   in Loop: Header=BB0_28 Depth=1
	global_load_dword v32, v[2:3], off offset:24
	s_waitcnt vmcnt(0)
	v_and_b32_e32 v2, 0xffffff, v32
	s_nop 0
	v_readfirstlane_b32 m0, v2
	buffer_wbl2 sc0 sc1
	global_store_dwordx2 v[4:5], v[32:33], off sc0 sc1
	s_sendmsg sendmsg(MSG_INTERRUPT)
.LBB0_99:                               ;   in Loop: Header=BB0_28 Depth=1
	s_or_b64 exec, exec, s[12:13]
	v_mov_b32_e32 v29, v33
	v_lshl_add_u64 v[2:3], v[8:9], 0, v[28:29]
	s_branch .LBB0_103
.LBB0_100:                              ;   in Loop: Header=BB0_103 Depth=2
	s_or_b64 exec, exec, s[12:13]
	v_readfirstlane_b32 s12, v4
	s_cmp_eq_u32 s12, 0
	s_cbranch_scc1 .LBB0_102
; %bb.101:                              ;   in Loop: Header=BB0_103 Depth=2
	s_sleep 1
	s_cbranch_execnz .LBB0_103
	s_branch .LBB0_105
.LBB0_102:                              ;   in Loop: Header=BB0_28 Depth=1
	s_branch .LBB0_105
.LBB0_103:                              ;   Parent Loop BB0_28 Depth=1
                                        ; =>  This Inner Loop Header: Depth=2
	v_mov_b32_e32 v4, 1
	s_and_saveexec_b64 s[12:13], s[0:1]
	s_cbranch_execz .LBB0_100
; %bb.104:                              ;   in Loop: Header=BB0_103 Depth=2
	global_load_dword v4, v[34:35], off offset:20 sc0 sc1
	s_waitcnt vmcnt(0)
	buffer_inv sc0 sc1
	v_and_b32_e32 v4, 1, v4
	s_branch .LBB0_100
.LBB0_105:                              ;   in Loop: Header=BB0_28 Depth=1
	global_load_dwordx4 v[2:5], v[2:3], off
	s_and_saveexec_b64 s[12:13], s[0:1]
	s_cbranch_execz .LBB0_27
; %bb.106:                              ;   in Loop: Header=BB0_28 Depth=1
	global_load_dwordx2 v[4:5], v33, s[2:3] offset:40
	global_load_dwordx2 v[8:9], v33, s[2:3] offset:24 sc0 sc1
	global_load_dwordx2 v[16:17], v33, s[2:3]
	s_waitcnt vmcnt(2)
	v_lshl_add_u64 v[12:13], v[4:5], 0, 1
	v_lshl_add_u64 v[18:19], v[12:13], 0, s[10:11]
	v_cmp_eq_u64_e32 vcc, 0, v[18:19]
	s_waitcnt vmcnt(1)
	v_mov_b32_e32 v14, v8
	v_cndmask_b32_e32 v13, v19, v13, vcc
	v_cndmask_b32_e32 v12, v18, v12, vcc
	v_and_b32_e32 v5, v13, v5
	v_and_b32_e32 v4, v12, v4
	v_mul_lo_u32 v5, v5, 24
	v_mul_hi_u32 v15, v4, 24
	v_mul_lo_u32 v4, v4, 24
	v_add_u32_e32 v5, v15, v5
	s_waitcnt vmcnt(0)
	v_lshl_add_u64 v[4:5], v[16:17], 0, v[4:5]
	global_store_dwordx2 v[4:5], v[8:9], off
	v_mov_b32_e32 v15, v9
	buffer_wbl2 sc0 sc1
	s_waitcnt vmcnt(0)
	global_atomic_cmpswap_x2 v[14:15], v33, v[12:15], s[2:3] offset:24 sc0 sc1
	s_waitcnt vmcnt(0)
	v_cmp_ne_u64_e32 vcc, v[14:15], v[8:9]
	s_and_b64 exec, exec, vcc
	s_cbranch_execz .LBB0_27
; %bb.107:                              ;   in Loop: Header=BB0_28 Depth=1
	s_mov_b64 s[0:1], 0
.LBB0_108:                              ;   Parent Loop BB0_28 Depth=1
                                        ; =>  This Inner Loop Header: Depth=2
	s_sleep 1
	global_store_dwordx2 v[4:5], v[14:15], off
	buffer_wbl2 sc0 sc1
	s_waitcnt vmcnt(0)
	global_atomic_cmpswap_x2 v[8:9], v33, v[12:15], s[2:3] offset:24 sc0 sc1
	s_waitcnt vmcnt(0)
	v_cmp_eq_u64_e32 vcc, v[8:9], v[14:15]
	s_or_b64 s[0:1], vcc, s[0:1]
	v_mov_b64_e32 v[14:15], v[8:9]
	s_andn2_b64 exec, exec, s[0:1]
	s_cbranch_execnz .LBB0_108
	s_branch .LBB0_27
.LBB0_109:
	s_branch .LBB0_137
.LBB0_110:
                                        ; implicit-def: $vgpr2_vgpr3
	s_cbranch_execz .LBB0_137
; %bb.111:
	v_readfirstlane_b32 s0, v36
	v_mov_b64_e32 v[8:9], 0
	s_nop 0
	v_cmp_eq_u32_e64 s[0:1], s0, v36
	s_and_saveexec_b64 s[4:5], s[0:1]
	s_cbranch_execz .LBB0_117
; %bb.112:
	s_waitcnt vmcnt(0)
	v_mov_b32_e32 v2, 0
	global_load_dwordx2 v[10:11], v2, s[2:3] offset:24 sc0 sc1
	s_waitcnt vmcnt(0)
	buffer_inv sc0 sc1
	global_load_dwordx2 v[4:5], v2, s[2:3] offset:40
	global_load_dwordx2 v[8:9], v2, s[2:3]
	s_waitcnt vmcnt(1)
	v_and_b32_e32 v3, v4, v10
	v_and_b32_e32 v4, v5, v11
	v_mul_lo_u32 v4, v4, 24
	v_mul_hi_u32 v5, v3, 24
	v_add_u32_e32 v5, v5, v4
	v_mul_lo_u32 v4, v3, 24
	s_waitcnt vmcnt(0)
	v_lshl_add_u64 v[4:5], v[8:9], 0, v[4:5]
	global_load_dwordx2 v[8:9], v[4:5], off sc0 sc1
	s_waitcnt vmcnt(0)
	global_atomic_cmpswap_x2 v[8:9], v2, v[8:11], s[2:3] offset:24 sc0 sc1
	s_waitcnt vmcnt(0)
	buffer_inv sc0 sc1
	v_cmp_ne_u64_e32 vcc, v[8:9], v[10:11]
	s_and_saveexec_b64 s[6:7], vcc
	s_cbranch_execz .LBB0_116
; %bb.113:
	s_mov_b64 s[8:9], 0
.LBB0_114:                              ; =>This Inner Loop Header: Depth=1
	s_sleep 1
	global_load_dwordx2 v[4:5], v2, s[2:3] offset:40
	global_load_dwordx2 v[12:13], v2, s[2:3]
	v_mov_b64_e32 v[10:11], v[8:9]
	s_waitcnt vmcnt(1)
	v_and_b32_e32 v4, v4, v10
	v_and_b32_e32 v3, v5, v11
	s_waitcnt vmcnt(0)
	v_mad_u64_u32 v[4:5], s[10:11], v4, 24, v[12:13]
	v_mov_b32_e32 v8, v5
	v_mad_u64_u32 v[8:9], s[10:11], v3, 24, v[8:9]
	v_mov_b32_e32 v5, v8
	global_load_dwordx2 v[8:9], v[4:5], off sc0 sc1
	s_waitcnt vmcnt(0)
	global_atomic_cmpswap_x2 v[8:9], v2, v[8:11], s[2:3] offset:24 sc0 sc1
	s_waitcnt vmcnt(0)
	buffer_inv sc0 sc1
	v_cmp_eq_u64_e32 vcc, v[8:9], v[10:11]
	s_or_b64 s[8:9], vcc, s[8:9]
	s_andn2_b64 exec, exec, s[8:9]
	s_cbranch_execnz .LBB0_114
; %bb.115:
	s_or_b64 exec, exec, s[8:9]
.LBB0_116:
	s_or_b64 exec, exec, s[6:7]
.LBB0_117:
	s_or_b64 exec, exec, s[4:5]
	v_mov_b32_e32 v29, 0
	global_load_dwordx2 v[10:11], v29, s[2:3] offset:40
	global_load_dwordx4 v[2:5], v29, s[2:3]
	v_readfirstlane_b32 s4, v8
	v_readfirstlane_b32 s5, v9
	s_mov_b64 s[6:7], exec
	s_waitcnt vmcnt(1)
	v_readfirstlane_b32 s8, v10
	v_readfirstlane_b32 s9, v11
	s_and_b64 s[8:9], s[4:5], s[8:9]
	s_mul_i32 s10, s9, 24
	s_mul_hi_u32 s11, s8, 24
	s_add_i32 s11, s11, s10
	s_mul_i32 s10, s8, 24
	s_waitcnt vmcnt(0)
	v_lshl_add_u64 v[10:11], v[2:3], 0, s[10:11]
	s_and_saveexec_b64 s[10:11], s[0:1]
	s_cbranch_execz .LBB0_119
; %bb.118:
	v_mov_b64_e32 v[12:13], s[6:7]
	v_mov_b32_e32 v14, 2
	v_mov_b32_e32 v15, 1
	global_store_dwordx4 v[10:11], v[12:15], off offset:8
.LBB0_119:
	s_or_b64 exec, exec, s[10:11]
	s_lshl_b64 s[6:7], s[8:9], 12
	v_lshl_add_u64 v[12:13], v[4:5], 0, s[6:7]
	s_movk_i32 s6, 0xff1f
	s_mov_b32 s8, 0
	v_and_or_b32 v6, v6, s6, 32
	v_mov_b32_e32 v8, v29
	v_mov_b32_e32 v9, v29
	v_readfirstlane_b32 s6, v12
	v_readfirstlane_b32 s7, v13
	s_mov_b32 s9, s8
	s_mov_b32 s10, s8
	;; [unrolled: 1-line block ×3, first 2 shown]
	s_nop 1
	global_store_dwordx4 v28, v[6:9], s[6:7]
	v_mov_b64_e32 v[4:5], s[8:9]
	s_nop 0
	v_mov_b64_e32 v[6:7], s[10:11]
	global_store_dwordx4 v28, v[4:7], s[6:7] offset:16
	global_store_dwordx4 v28, v[4:7], s[6:7] offset:32
	global_store_dwordx4 v28, v[4:7], s[6:7] offset:48
	s_and_saveexec_b64 s[6:7], s[0:1]
	s_cbranch_execz .LBB0_127
; %bb.120:
	v_mov_b32_e32 v8, 0
	global_load_dwordx2 v[16:17], v8, s[2:3] offset:32 sc0 sc1
	global_load_dwordx2 v[4:5], v8, s[2:3] offset:40
	v_mov_b32_e32 v14, s4
	v_mov_b32_e32 v15, s5
	s_waitcnt vmcnt(0)
	v_readfirstlane_b32 s8, v4
	v_readfirstlane_b32 s9, v5
	s_and_b64 s[8:9], s[8:9], s[4:5]
	s_mul_i32 s9, s9, 24
	s_mul_hi_u32 s10, s8, 24
	s_mul_i32 s8, s8, 24
	s_add_i32 s9, s10, s9
	v_lshl_add_u64 v[6:7], v[2:3], 0, s[8:9]
	global_store_dwordx2 v[6:7], v[16:17], off
	buffer_wbl2 sc0 sc1
	s_waitcnt vmcnt(0)
	global_atomic_cmpswap_x2 v[4:5], v8, v[14:17], s[2:3] offset:32 sc0 sc1
	s_waitcnt vmcnt(0)
	v_cmp_ne_u64_e32 vcc, v[4:5], v[16:17]
	s_and_saveexec_b64 s[8:9], vcc
	s_cbranch_execz .LBB0_123
; %bb.121:
	s_mov_b64 s[10:11], 0
.LBB0_122:                              ; =>This Inner Loop Header: Depth=1
	s_sleep 1
	global_store_dwordx2 v[6:7], v[4:5], off
	v_mov_b32_e32 v2, s4
	v_mov_b32_e32 v3, s5
	buffer_wbl2 sc0 sc1
	s_waitcnt vmcnt(0)
	global_atomic_cmpswap_x2 v[2:3], v8, v[2:5], s[2:3] offset:32 sc0 sc1
	s_waitcnt vmcnt(0)
	v_cmp_eq_u64_e32 vcc, v[2:3], v[4:5]
	s_or_b64 s[10:11], vcc, s[10:11]
	v_mov_b64_e32 v[4:5], v[2:3]
	s_andn2_b64 exec, exec, s[10:11]
	s_cbranch_execnz .LBB0_122
.LBB0_123:
	s_or_b64 exec, exec, s[8:9]
	v_mov_b32_e32 v5, 0
	global_load_dwordx2 v[2:3], v5, s[2:3] offset:16
	s_mov_b64 s[8:9], exec
	v_mbcnt_lo_u32_b32 v4, s8, 0
	v_mbcnt_hi_u32_b32 v4, s9, v4
	v_cmp_eq_u32_e32 vcc, 0, v4
	s_and_saveexec_b64 s[10:11], vcc
	s_cbranch_execz .LBB0_125
; %bb.124:
	s_bcnt1_i32_b64 s8, s[8:9]
	v_mov_b32_e32 v4, s8
	buffer_wbl2 sc0 sc1
	s_waitcnt vmcnt(0)
	global_atomic_add_x2 v[2:3], v[4:5], off offset:8 sc1
.LBB0_125:
	s_or_b64 exec, exec, s[10:11]
	s_waitcnt vmcnt(0)
	global_load_dwordx2 v[4:5], v[2:3], off offset:16
	s_waitcnt vmcnt(0)
	v_cmp_eq_u64_e32 vcc, 0, v[4:5]
	s_cbranch_vccnz .LBB0_127
; %bb.126:
	global_load_dword v2, v[2:3], off offset:24
	v_mov_b32_e32 v3, 0
	buffer_wbl2 sc0 sc1
	s_waitcnt vmcnt(0)
	global_store_dwordx2 v[4:5], v[2:3], off sc0 sc1
	v_and_b32_e32 v2, 0xffffff, v2
	s_nop 0
	v_readfirstlane_b32 m0, v2
	s_sendmsg sendmsg(MSG_INTERRUPT)
.LBB0_127:
	s_or_b64 exec, exec, s[6:7]
	v_lshl_add_u64 v[2:3], v[12:13], 0, v[28:29]
	s_branch .LBB0_131
.LBB0_128:                              ;   in Loop: Header=BB0_131 Depth=1
	s_or_b64 exec, exec, s[6:7]
	v_readfirstlane_b32 s6, v4
	s_cmp_eq_u32 s6, 0
	s_cbranch_scc1 .LBB0_130
; %bb.129:                              ;   in Loop: Header=BB0_131 Depth=1
	s_sleep 1
	s_cbranch_execnz .LBB0_131
	s_branch .LBB0_133
.LBB0_130:
	s_branch .LBB0_133
.LBB0_131:                              ; =>This Inner Loop Header: Depth=1
	v_mov_b32_e32 v4, 1
	s_and_saveexec_b64 s[6:7], s[0:1]
	s_cbranch_execz .LBB0_128
; %bb.132:                              ;   in Loop: Header=BB0_131 Depth=1
	global_load_dword v4, v[10:11], off offset:20 sc0 sc1
	s_waitcnt vmcnt(0)
	buffer_inv sc0 sc1
	v_and_b32_e32 v4, 1, v4
	s_branch .LBB0_128
.LBB0_133:
	global_load_dwordx2 v[2:3], v[2:3], off
	s_and_saveexec_b64 s[6:7], s[0:1]
	s_cbranch_execz .LBB0_136
; %bb.134:
	v_mov_b32_e32 v10, 0
	global_load_dwordx2 v[8:9], v10, s[2:3] offset:40
	global_load_dwordx2 v[12:13], v10, s[2:3] offset:24 sc0 sc1
	global_load_dwordx2 v[14:15], v10, s[2:3]
	s_mov_b64 s[0:1], 0
	s_waitcnt vmcnt(2)
	v_lshl_add_u64 v[4:5], v[8:9], 0, 1
	v_lshl_add_u64 v[16:17], v[4:5], 0, s[4:5]
	v_cmp_eq_u64_e32 vcc, 0, v[16:17]
	s_waitcnt vmcnt(1)
	v_mov_b32_e32 v6, v12
	v_cndmask_b32_e32 v5, v17, v5, vcc
	v_cndmask_b32_e32 v4, v16, v4, vcc
	v_and_b32_e32 v7, v5, v9
	v_and_b32_e32 v8, v4, v8
	v_mul_lo_u32 v7, v7, 24
	v_mul_hi_u32 v9, v8, 24
	v_mul_lo_u32 v8, v8, 24
	v_add_u32_e32 v9, v9, v7
	s_waitcnt vmcnt(0)
	v_lshl_add_u64 v[8:9], v[14:15], 0, v[8:9]
	global_store_dwordx2 v[8:9], v[12:13], off
	v_mov_b32_e32 v7, v13
	buffer_wbl2 sc0 sc1
	s_waitcnt vmcnt(0)
	global_atomic_cmpswap_x2 v[6:7], v10, v[4:7], s[2:3] offset:24 sc0 sc1
	s_waitcnt vmcnt(0)
	v_cmp_ne_u64_e32 vcc, v[6:7], v[12:13]
	s_and_b64 exec, exec, vcc
	s_cbranch_execz .LBB0_136
.LBB0_135:                              ; =>This Inner Loop Header: Depth=1
	s_sleep 1
	global_store_dwordx2 v[8:9], v[6:7], off
	buffer_wbl2 sc0 sc1
	s_waitcnt vmcnt(0)
	global_atomic_cmpswap_x2 v[12:13], v10, v[4:7], s[2:3] offset:24 sc0 sc1
	s_waitcnt vmcnt(0)
	v_cmp_eq_u64_e32 vcc, v[12:13], v[6:7]
	s_or_b64 s[0:1], vcc, s[0:1]
	v_mov_b64_e32 v[6:7], v[12:13]
	s_andn2_b64 exec, exec, s[0:1]
	s_cbranch_execnz .LBB0_135
.LBB0_136:
	s_or_b64 exec, exec, s[6:7]
.LBB0_137:
	s_mov_b64 s[6:7], 0
	v_cmp_ne_u64_e32 vcc, 0, v[0:1]
	v_mov_b64_e32 v[26:27], 0
	s_and_saveexec_b64 s[4:5], vcc
	s_cbranch_execnz .LBB0_162
; %bb.138:
	s_or_b64 exec, exec, s[4:5]
	s_and_saveexec_b64 s[0:1], vcc
	s_xor_b64 s[4:5], exec, s[0:1]
	s_cbranch_execnz .LBB0_165
.LBB0_139:
	s_andn2_saveexec_b64 s[4:5], s[4:5]
	s_cbranch_execz .LBB0_254
.LBB0_140:
	v_readfirstlane_b32 s0, v36
	v_mov_b64_e32 v[0:1], 0
	s_nop 0
	v_cmp_eq_u32_e64 s[0:1], s0, v36
	s_and_saveexec_b64 s[6:7], s[0:1]
	s_cbranch_execz .LBB0_146
; %bb.141:
	s_waitcnt vmcnt(0)
	v_mov_b32_e32 v4, 0
	global_load_dwordx2 v[8:9], v4, s[2:3] offset:24 sc0 sc1
	s_waitcnt vmcnt(0)
	buffer_inv sc0 sc1
	global_load_dwordx2 v[0:1], v4, s[2:3] offset:40
	global_load_dwordx2 v[6:7], v4, s[2:3]
	s_waitcnt vmcnt(1)
	v_and_b32_e32 v0, v0, v8
	v_and_b32_e32 v1, v1, v9
	v_mul_lo_u32 v1, v1, 24
	v_mul_hi_u32 v5, v0, 24
	v_add_u32_e32 v1, v5, v1
	v_mul_lo_u32 v0, v0, 24
	s_waitcnt vmcnt(0)
	v_lshl_add_u64 v[0:1], v[6:7], 0, v[0:1]
	global_load_dwordx2 v[6:7], v[0:1], off sc0 sc1
	s_waitcnt vmcnt(0)
	global_atomic_cmpswap_x2 v[0:1], v4, v[6:9], s[2:3] offset:24 sc0 sc1
	s_waitcnt vmcnt(0)
	buffer_inv sc0 sc1
	v_cmp_ne_u64_e32 vcc, v[0:1], v[8:9]
	s_and_saveexec_b64 s[8:9], vcc
	s_cbranch_execz .LBB0_145
; %bb.142:
	s_mov_b64 s[10:11], 0
.LBB0_143:                              ; =>This Inner Loop Header: Depth=1
	s_sleep 1
	global_load_dwordx2 v[6:7], v4, s[2:3] offset:40
	global_load_dwordx2 v[10:11], v4, s[2:3]
	v_mov_b64_e32 v[8:9], v[0:1]
	s_waitcnt vmcnt(1)
	v_and_b32_e32 v0, v6, v8
	s_waitcnt vmcnt(0)
	v_mad_u64_u32 v[0:1], s[12:13], v0, 24, v[10:11]
	v_and_b32_e32 v5, v7, v9
	v_mov_b32_e32 v6, v1
	v_mad_u64_u32 v[6:7], s[12:13], v5, 24, v[6:7]
	v_mov_b32_e32 v1, v6
	global_load_dwordx2 v[6:7], v[0:1], off sc0 sc1
	s_waitcnt vmcnt(0)
	global_atomic_cmpswap_x2 v[0:1], v4, v[6:9], s[2:3] offset:24 sc0 sc1
	s_waitcnt vmcnt(0)
	buffer_inv sc0 sc1
	v_cmp_eq_u64_e32 vcc, v[0:1], v[8:9]
	s_or_b64 s[10:11], vcc, s[10:11]
	s_andn2_b64 exec, exec, s[10:11]
	s_cbranch_execnz .LBB0_143
; %bb.144:
	s_or_b64 exec, exec, s[10:11]
.LBB0_145:
	s_or_b64 exec, exec, s[8:9]
.LBB0_146:
	s_or_b64 exec, exec, s[6:7]
	s_waitcnt vmcnt(0)
	v_mov_b32_e32 v4, 0
	global_load_dwordx2 v[10:11], v4, s[2:3] offset:40
	global_load_dwordx4 v[6:9], v4, s[2:3]
	v_readfirstlane_b32 s6, v0
	v_readfirstlane_b32 s7, v1
	s_mov_b64 s[8:9], exec
	s_waitcnt vmcnt(1)
	v_readfirstlane_b32 s10, v10
	v_readfirstlane_b32 s11, v11
	s_and_b64 s[10:11], s[6:7], s[10:11]
	s_mul_i32 s12, s11, 24
	s_mul_hi_u32 s13, s10, 24
	s_add_i32 s13, s13, s12
	s_mul_i32 s12, s10, 24
	s_waitcnt vmcnt(0)
	v_lshl_add_u64 v[10:11], v[6:7], 0, s[12:13]
	s_and_saveexec_b64 s[12:13], s[0:1]
	s_cbranch_execz .LBB0_148
; %bb.147:
	v_mov_b64_e32 v[12:13], s[8:9]
	v_mov_b32_e32 v14, 2
	v_mov_b32_e32 v15, 1
	global_store_dwordx4 v[10:11], v[12:15], off offset:8
.LBB0_148:
	s_or_b64 exec, exec, s[12:13]
	s_lshl_b64 s[8:9], s[10:11], 12
	v_lshl_add_u64 v[0:1], v[8:9], 0, s[8:9]
	s_movk_i32 s8, 0xff1d
	v_and_or_b32 v2, v2, s8, 34
	s_mov_b32 s8, 0
	v_mov_b32_e32 v5, v4
	v_readfirstlane_b32 s12, v0
	v_readfirstlane_b32 s13, v1
	s_mov_b32 s9, s8
	s_mov_b32 s10, s8
	s_mov_b32 s11, s8
	s_nop 1
	global_store_dwordx4 v28, v[2:5], s[12:13]
	v_mov_b64_e32 v[0:1], s[8:9]
	s_nop 0
	v_mov_b64_e32 v[2:3], s[10:11]
	global_store_dwordx4 v28, v[0:3], s[12:13] offset:16
	global_store_dwordx4 v28, v[0:3], s[12:13] offset:32
	;; [unrolled: 1-line block ×3, first 2 shown]
	s_and_saveexec_b64 s[8:9], s[0:1]
	s_cbranch_execz .LBB0_156
; %bb.149:
	v_mov_b32_e32 v8, 0
	global_load_dwordx2 v[14:15], v8, s[2:3] offset:32 sc0 sc1
	global_load_dwordx2 v[0:1], v8, s[2:3] offset:40
	v_mov_b32_e32 v12, s6
	v_mov_b32_e32 v13, s7
	s_waitcnt vmcnt(0)
	v_readfirstlane_b32 s10, v0
	v_readfirstlane_b32 s11, v1
	s_and_b64 s[10:11], s[10:11], s[6:7]
	s_mul_i32 s11, s11, 24
	s_mul_hi_u32 s12, s10, 24
	s_mul_i32 s10, s10, 24
	s_add_i32 s11, s12, s11
	v_lshl_add_u64 v[4:5], v[6:7], 0, s[10:11]
	global_store_dwordx2 v[4:5], v[14:15], off
	buffer_wbl2 sc0 sc1
	s_waitcnt vmcnt(0)
	global_atomic_cmpswap_x2 v[2:3], v8, v[12:15], s[2:3] offset:32 sc0 sc1
	s_waitcnt vmcnt(0)
	v_cmp_ne_u64_e32 vcc, v[2:3], v[14:15]
	s_and_saveexec_b64 s[10:11], vcc
	s_cbranch_execz .LBB0_152
; %bb.150:
	s_mov_b64 s[12:13], 0
.LBB0_151:                              ; =>This Inner Loop Header: Depth=1
	s_sleep 1
	global_store_dwordx2 v[4:5], v[2:3], off
	v_mov_b32_e32 v0, s6
	v_mov_b32_e32 v1, s7
	buffer_wbl2 sc0 sc1
	s_waitcnt vmcnt(0)
	global_atomic_cmpswap_x2 v[0:1], v8, v[0:3], s[2:3] offset:32 sc0 sc1
	s_waitcnt vmcnt(0)
	v_cmp_eq_u64_e32 vcc, v[0:1], v[2:3]
	s_or_b64 s[12:13], vcc, s[12:13]
	v_mov_b64_e32 v[2:3], v[0:1]
	s_andn2_b64 exec, exec, s[12:13]
	s_cbranch_execnz .LBB0_151
.LBB0_152:
	s_or_b64 exec, exec, s[10:11]
	v_mov_b32_e32 v3, 0
	global_load_dwordx2 v[0:1], v3, s[2:3] offset:16
	s_mov_b64 s[10:11], exec
	v_mbcnt_lo_u32_b32 v2, s10, 0
	v_mbcnt_hi_u32_b32 v2, s11, v2
	v_cmp_eq_u32_e32 vcc, 0, v2
	s_and_saveexec_b64 s[12:13], vcc
	s_cbranch_execz .LBB0_154
; %bb.153:
	s_bcnt1_i32_b64 s10, s[10:11]
	v_mov_b32_e32 v2, s10
	buffer_wbl2 sc0 sc1
	s_waitcnt vmcnt(0)
	global_atomic_add_x2 v[0:1], v[2:3], off offset:8 sc1
.LBB0_154:
	s_or_b64 exec, exec, s[12:13]
	s_waitcnt vmcnt(0)
	global_load_dwordx2 v[2:3], v[0:1], off offset:16
	s_waitcnt vmcnt(0)
	v_cmp_eq_u64_e32 vcc, 0, v[2:3]
	s_cbranch_vccnz .LBB0_156
; %bb.155:
	global_load_dword v0, v[0:1], off offset:24
	v_mov_b32_e32 v1, 0
	buffer_wbl2 sc0 sc1
	s_waitcnt vmcnt(0)
	global_store_dwordx2 v[2:3], v[0:1], off sc0 sc1
	v_and_b32_e32 v0, 0xffffff, v0
	s_nop 0
	v_readfirstlane_b32 m0, v0
	s_sendmsg sendmsg(MSG_INTERRUPT)
.LBB0_156:
	s_or_b64 exec, exec, s[8:9]
	s_branch .LBB0_160
.LBB0_157:                              ;   in Loop: Header=BB0_160 Depth=1
	s_or_b64 exec, exec, s[8:9]
	v_readfirstlane_b32 s8, v0
	s_cmp_eq_u32 s8, 0
	s_cbranch_scc1 .LBB0_159
; %bb.158:                              ;   in Loop: Header=BB0_160 Depth=1
	s_sleep 1
	s_cbranch_execnz .LBB0_160
	s_branch .LBB0_249
.LBB0_159:
	s_branch .LBB0_249
.LBB0_160:                              ; =>This Inner Loop Header: Depth=1
	v_mov_b32_e32 v0, 1
	s_and_saveexec_b64 s[8:9], s[0:1]
	s_cbranch_execz .LBB0_157
; %bb.161:                              ;   in Loop: Header=BB0_160 Depth=1
	global_load_dword v0, v[10:11], off offset:20 sc0 sc1
	s_waitcnt vmcnt(0)
	buffer_inv sc0 sc1
	v_and_b32_e32 v0, 1, v0
	s_branch .LBB0_157
.LBB0_162:
	s_waitcnt vmcnt(0)
	v_lshl_add_u64 v[4:5], v[0:1], 0, -1
.LBB0_163:                              ; =>This Inner Loop Header: Depth=1
	flat_load_ubyte v6, v[4:5] offset:1
	v_lshl_add_u64 v[4:5], v[4:5], 0, 1
	s_waitcnt vmcnt(0) lgkmcnt(0)
	v_cmp_eq_u16_e64 s[0:1], 0, v6
	s_or_b64 s[6:7], s[0:1], s[6:7]
	s_andn2_b64 exec, exec, s[6:7]
	s_cbranch_execnz .LBB0_163
; %bb.164:
	s_or_b64 exec, exec, s[6:7]
	v_sub_co_u32_e64 v4, s[0:1], v4, v0
	s_nop 1
	v_subb_co_u32_e64 v5, s[0:1], v5, v1, s[0:1]
	v_lshl_add_u64 v[26:27], v[4:5], 0, 1
	s_or_b64 exec, exec, s[4:5]
	s_and_saveexec_b64 s[0:1], vcc
	s_xor_b64 s[4:5], exec, s[0:1]
	s_cbranch_execz .LBB0_139
.LBB0_165:
	s_waitcnt vmcnt(0)
	v_and_b32_e32 v2, -3, v2
	s_mov_b64 s[6:7], 0
	s_mov_b32 s16, 0
	v_mov_b32_e32 v29, 0
	s_movk_i32 s17, 0xff1f
	v_mov_b32_e32 v8, 2
	v_mov_b32_e32 v9, 1
	s_branch .LBB0_167
.LBB0_166:                              ;   in Loop: Header=BB0_167 Depth=1
	s_or_b64 exec, exec, s[10:11]
	v_sub_co_u32_e32 v26, vcc, v26, v30
	v_lshl_add_u64 v[0:1], v[0:1], 0, v[30:31]
	s_nop 0
	v_subb_co_u32_e32 v27, vcc, v27, v31, vcc
	v_cmp_eq_u64_e32 vcc, 0, v[26:27]
	s_or_b64 s[6:7], vcc, s[6:7]
	s_andn2_b64 exec, exec, s[6:7]
	s_cbranch_execz .LBB0_253
.LBB0_167:                              ; =>This Loop Header: Depth=1
                                        ;     Child Loop BB0_170 Depth 2
                                        ;     Child Loop BB0_178 Depth 2
	;; [unrolled: 1-line block ×11, first 2 shown]
	v_cmp_gt_u64_e32 vcc, 56, v[26:27]
                                        ; implicit-def: $sgpr8
	s_nop 1
	v_cndmask_b32_e32 v31, 0, v27, vcc
	v_cndmask_b32_e32 v30, 56, v26, vcc
	v_cmp_gt_u64_e32 vcc, 8, v[26:27]
	s_and_saveexec_b64 s[0:1], vcc
	s_xor_b64 s[0:1], exec, s[0:1]
	s_cbranch_execz .LBB0_173
; %bb.168:                              ;   in Loop: Header=BB0_167 Depth=1
	s_mov_b64 s[10:11], 0
	v_cmp_ne_u64_e32 vcc, 0, v[26:27]
	s_waitcnt vmcnt(0)
	v_mov_b64_e32 v[4:5], 0
	s_and_saveexec_b64 s[8:9], vcc
	s_cbranch_execz .LBB0_172
; %bb.169:                              ;   in Loop: Header=BB0_167 Depth=1
	v_lshlrev_b64 v[6:7], 3, v[30:31]
	v_mov_b64_e32 v[4:5], 0
	v_mov_b64_e32 v[10:11], v[0:1]
	s_mov_b64 s[12:13], 0
.LBB0_170:                              ;   Parent Loop BB0_167 Depth=1
                                        ; =>  This Inner Loop Header: Depth=2
	flat_load_ubyte v7, v[10:11]
	v_mov_b32_e32 v13, s16
	v_lshl_add_u64 v[10:11], v[10:11], 0, 1
	s_waitcnt vmcnt(0) lgkmcnt(0)
	v_and_b32_e32 v12, 0xffff, v7
	v_lshlrev_b64 v[12:13], s12, v[12:13]
	s_add_u32 s12, s12, 8
	s_addc_u32 s13, s13, 0
	v_cmp_eq_u32_e32 vcc, s12, v6
	v_or_b32_e32 v5, v13, v5
	s_or_b64 s[10:11], vcc, s[10:11]
	v_or_b32_e32 v4, v12, v4
	s_andn2_b64 exec, exec, s[10:11]
	s_cbranch_execnz .LBB0_170
; %bb.171:                              ;   in Loop: Header=BB0_167 Depth=1
	s_or_b64 exec, exec, s[10:11]
.LBB0_172:                              ;   in Loop: Header=BB0_167 Depth=1
	s_or_b64 exec, exec, s[8:9]
	s_mov_b32 s8, 0
.LBB0_173:                              ;   in Loop: Header=BB0_167 Depth=1
	s_or_saveexec_b64 s[0:1], s[0:1]
	v_mov_b32_e32 v12, s8
	v_mov_b64_e32 v[6:7], v[0:1]
	s_xor_b64 exec, exec, s[0:1]
	s_cbranch_execz .LBB0_175
; %bb.174:                              ;   in Loop: Header=BB0_167 Depth=1
	s_waitcnt vmcnt(0)
	flat_load_dwordx2 v[4:5], v[0:1]
	v_add_u32_e32 v12, -8, v30
	s_waitcnt vmcnt(0) lgkmcnt(0)
	v_and_b32_e32 v6, 0xff, v5
	v_and_b32_e32 v7, 0xff00, v5
	;; [unrolled: 1-line block ×4, first 2 shown]
	v_or_b32_e32 v6, v6, v7
	v_or3_b32 v4, v4, 0, 0
	v_or3_b32 v5, v6, v10, v5
	v_lshl_add_u64 v[6:7], v[0:1], 0, 8
.LBB0_175:                              ;   in Loop: Header=BB0_167 Depth=1
	s_or_b64 exec, exec, s[0:1]
	v_cmp_gt_u32_e32 vcc, 8, v12
                                        ; implicit-def: $vgpr10_vgpr11
                                        ; implicit-def: $sgpr8
	s_and_saveexec_b64 s[0:1], vcc
	s_xor_b64 s[0:1], exec, s[0:1]
	s_cbranch_execz .LBB0_181
; %bb.176:                              ;   in Loop: Header=BB0_167 Depth=1
	v_cmp_ne_u32_e32 vcc, 0, v12
	v_mov_b64_e32 v[10:11], 0
	s_and_saveexec_b64 s[8:9], vcc
	s_cbranch_execz .LBB0_180
; %bb.177:                              ;   in Loop: Header=BB0_167 Depth=1
	s_mov_b64 s[10:11], 0
	v_mov_b64_e32 v[10:11], 0
	s_mov_b64 s[12:13], 0
	s_mov_b64 s[14:15], 0
.LBB0_178:                              ;   Parent Loop BB0_167 Depth=1
                                        ; =>  This Inner Loop Header: Depth=2
	v_lshl_add_u64 v[14:15], v[6:7], 0, s[14:15]
	flat_load_ubyte v13, v[14:15]
	s_add_u32 s14, s14, 1
	v_mov_b32_e32 v15, s16
	s_addc_u32 s15, s15, 0
	v_cmp_eq_u32_e32 vcc, s14, v12
	s_waitcnt vmcnt(0) lgkmcnt(0)
	v_and_b32_e32 v14, 0xffff, v13
	v_lshlrev_b64 v[14:15], s12, v[14:15]
	s_add_u32 s12, s12, 8
	s_addc_u32 s13, s13, 0
	v_or_b32_e32 v11, v15, v11
	s_or_b64 s[10:11], vcc, s[10:11]
	v_or_b32_e32 v10, v14, v10
	s_andn2_b64 exec, exec, s[10:11]
	s_cbranch_execnz .LBB0_178
; %bb.179:                              ;   in Loop: Header=BB0_167 Depth=1
	s_or_b64 exec, exec, s[10:11]
.LBB0_180:                              ;   in Loop: Header=BB0_167 Depth=1
	s_or_b64 exec, exec, s[8:9]
	s_mov_b32 s8, 0
                                        ; implicit-def: $vgpr12
.LBB0_181:                              ;   in Loop: Header=BB0_167 Depth=1
	s_or_saveexec_b64 s[0:1], s[0:1]
	v_mov_b32_e32 v14, s8
	s_xor_b64 exec, exec, s[0:1]
	s_cbranch_execz .LBB0_183
; %bb.182:                              ;   in Loop: Header=BB0_167 Depth=1
	flat_load_dwordx2 v[10:11], v[6:7]
	v_add_u32_e32 v14, -8, v12
	v_lshl_add_u64 v[6:7], v[6:7], 0, 8
	s_waitcnt vmcnt(0) lgkmcnt(0)
	v_and_b32_e32 v12, 0xff, v11
	v_and_b32_e32 v13, 0xff00, v11
	;; [unrolled: 1-line block ×4, first 2 shown]
	v_or_b32_e32 v12, v12, v13
	v_or3_b32 v10, v10, 0, 0
	v_or3_b32 v11, v12, v15, v11
.LBB0_183:                              ;   in Loop: Header=BB0_167 Depth=1
	s_or_b64 exec, exec, s[0:1]
	v_cmp_gt_u32_e32 vcc, 8, v14
                                        ; implicit-def: $sgpr8
	s_and_saveexec_b64 s[0:1], vcc
	s_xor_b64 s[0:1], exec, s[0:1]
	s_cbranch_execz .LBB0_189
; %bb.184:                              ;   in Loop: Header=BB0_167 Depth=1
	v_cmp_ne_u32_e32 vcc, 0, v14
	v_mov_b64_e32 v[12:13], 0
	s_and_saveexec_b64 s[8:9], vcc
	s_cbranch_execz .LBB0_188
; %bb.185:                              ;   in Loop: Header=BB0_167 Depth=1
	s_mov_b64 s[10:11], 0
	v_mov_b64_e32 v[12:13], 0
	s_mov_b64 s[12:13], 0
	s_mov_b64 s[14:15], 0
.LBB0_186:                              ;   Parent Loop BB0_167 Depth=1
                                        ; =>  This Inner Loop Header: Depth=2
	v_lshl_add_u64 v[16:17], v[6:7], 0, s[14:15]
	flat_load_ubyte v15, v[16:17]
	s_add_u32 s14, s14, 1
	v_mov_b32_e32 v17, s16
	s_addc_u32 s15, s15, 0
	v_cmp_eq_u32_e32 vcc, s14, v14
	s_waitcnt vmcnt(0) lgkmcnt(0)
	v_and_b32_e32 v16, 0xffff, v15
	v_lshlrev_b64 v[16:17], s12, v[16:17]
	s_add_u32 s12, s12, 8
	s_addc_u32 s13, s13, 0
	v_or_b32_e32 v13, v17, v13
	s_or_b64 s[10:11], vcc, s[10:11]
	v_or_b32_e32 v12, v16, v12
	s_andn2_b64 exec, exec, s[10:11]
	s_cbranch_execnz .LBB0_186
; %bb.187:                              ;   in Loop: Header=BB0_167 Depth=1
	s_or_b64 exec, exec, s[10:11]
.LBB0_188:                              ;   in Loop: Header=BB0_167 Depth=1
	s_or_b64 exec, exec, s[8:9]
	s_mov_b32 s8, 0
                                        ; implicit-def: $vgpr14
.LBB0_189:                              ;   in Loop: Header=BB0_167 Depth=1
	s_or_saveexec_b64 s[0:1], s[0:1]
	v_mov_b32_e32 v16, s8
	s_xor_b64 exec, exec, s[0:1]
	s_cbranch_execz .LBB0_191
; %bb.190:                              ;   in Loop: Header=BB0_167 Depth=1
	flat_load_dwordx2 v[12:13], v[6:7]
	v_add_u32_e32 v16, -8, v14
	v_lshl_add_u64 v[6:7], v[6:7], 0, 8
	s_waitcnt vmcnt(0) lgkmcnt(0)
	v_and_b32_e32 v14, 0xff, v13
	v_and_b32_e32 v15, 0xff00, v13
	;; [unrolled: 1-line block ×4, first 2 shown]
	v_or_b32_e32 v14, v14, v15
	v_or3_b32 v12, v12, 0, 0
	v_or3_b32 v13, v14, v17, v13
.LBB0_191:                              ;   in Loop: Header=BB0_167 Depth=1
	s_or_b64 exec, exec, s[0:1]
	v_cmp_gt_u32_e32 vcc, 8, v16
                                        ; implicit-def: $vgpr14_vgpr15
                                        ; implicit-def: $sgpr8
	s_and_saveexec_b64 s[0:1], vcc
	s_xor_b64 s[0:1], exec, s[0:1]
	s_cbranch_execz .LBB0_197
; %bb.192:                              ;   in Loop: Header=BB0_167 Depth=1
	v_cmp_ne_u32_e32 vcc, 0, v16
	v_mov_b64_e32 v[14:15], 0
	s_and_saveexec_b64 s[8:9], vcc
	s_cbranch_execz .LBB0_196
; %bb.193:                              ;   in Loop: Header=BB0_167 Depth=1
	s_mov_b64 s[10:11], 0
	v_mov_b64_e32 v[14:15], 0
	s_mov_b64 s[12:13], 0
	s_mov_b64 s[14:15], 0
.LBB0_194:                              ;   Parent Loop BB0_167 Depth=1
                                        ; =>  This Inner Loop Header: Depth=2
	v_lshl_add_u64 v[18:19], v[6:7], 0, s[14:15]
	flat_load_ubyte v17, v[18:19]
	s_add_u32 s14, s14, 1
	v_mov_b32_e32 v19, s16
	s_addc_u32 s15, s15, 0
	v_cmp_eq_u32_e32 vcc, s14, v16
	s_waitcnt vmcnt(0) lgkmcnt(0)
	v_and_b32_e32 v18, 0xffff, v17
	v_lshlrev_b64 v[18:19], s12, v[18:19]
	s_add_u32 s12, s12, 8
	s_addc_u32 s13, s13, 0
	v_or_b32_e32 v15, v19, v15
	s_or_b64 s[10:11], vcc, s[10:11]
	v_or_b32_e32 v14, v18, v14
	s_andn2_b64 exec, exec, s[10:11]
	s_cbranch_execnz .LBB0_194
; %bb.195:                              ;   in Loop: Header=BB0_167 Depth=1
	s_or_b64 exec, exec, s[10:11]
.LBB0_196:                              ;   in Loop: Header=BB0_167 Depth=1
	s_or_b64 exec, exec, s[8:9]
	s_mov_b32 s8, 0
                                        ; implicit-def: $vgpr16
.LBB0_197:                              ;   in Loop: Header=BB0_167 Depth=1
	s_or_saveexec_b64 s[0:1], s[0:1]
	v_mov_b32_e32 v18, s8
	s_xor_b64 exec, exec, s[0:1]
	s_cbranch_execz .LBB0_199
; %bb.198:                              ;   in Loop: Header=BB0_167 Depth=1
	flat_load_dwordx2 v[14:15], v[6:7]
	v_add_u32_e32 v18, -8, v16
	v_lshl_add_u64 v[6:7], v[6:7], 0, 8
	s_waitcnt vmcnt(0) lgkmcnt(0)
	v_and_b32_e32 v16, 0xff, v15
	v_and_b32_e32 v17, 0xff00, v15
	;; [unrolled: 1-line block ×4, first 2 shown]
	v_or_b32_e32 v16, v16, v17
	v_or3_b32 v14, v14, 0, 0
	v_or3_b32 v15, v16, v19, v15
.LBB0_199:                              ;   in Loop: Header=BB0_167 Depth=1
	s_or_b64 exec, exec, s[0:1]
	v_cmp_gt_u32_e32 vcc, 8, v18
                                        ; implicit-def: $sgpr8
	s_and_saveexec_b64 s[0:1], vcc
	s_xor_b64 s[0:1], exec, s[0:1]
	s_cbranch_execz .LBB0_205
; %bb.200:                              ;   in Loop: Header=BB0_167 Depth=1
	v_cmp_ne_u32_e32 vcc, 0, v18
	v_mov_b64_e32 v[16:17], 0
	s_and_saveexec_b64 s[8:9], vcc
	s_cbranch_execz .LBB0_204
; %bb.201:                              ;   in Loop: Header=BB0_167 Depth=1
	s_mov_b64 s[10:11], 0
	v_mov_b64_e32 v[16:17], 0
	s_mov_b64 s[12:13], 0
	s_mov_b64 s[14:15], 0
.LBB0_202:                              ;   Parent Loop BB0_167 Depth=1
                                        ; =>  This Inner Loop Header: Depth=2
	v_lshl_add_u64 v[20:21], v[6:7], 0, s[14:15]
	flat_load_ubyte v19, v[20:21]
	s_add_u32 s14, s14, 1
	v_mov_b32_e32 v21, s16
	s_addc_u32 s15, s15, 0
	v_cmp_eq_u32_e32 vcc, s14, v18
	s_waitcnt vmcnt(0) lgkmcnt(0)
	v_and_b32_e32 v20, 0xffff, v19
	v_lshlrev_b64 v[20:21], s12, v[20:21]
	s_add_u32 s12, s12, 8
	s_addc_u32 s13, s13, 0
	v_or_b32_e32 v17, v21, v17
	s_or_b64 s[10:11], vcc, s[10:11]
	v_or_b32_e32 v16, v20, v16
	s_andn2_b64 exec, exec, s[10:11]
	s_cbranch_execnz .LBB0_202
; %bb.203:                              ;   in Loop: Header=BB0_167 Depth=1
	s_or_b64 exec, exec, s[10:11]
.LBB0_204:                              ;   in Loop: Header=BB0_167 Depth=1
	s_or_b64 exec, exec, s[8:9]
	s_mov_b32 s8, 0
                                        ; implicit-def: $vgpr18
.LBB0_205:                              ;   in Loop: Header=BB0_167 Depth=1
	s_or_saveexec_b64 s[0:1], s[0:1]
	v_mov_b32_e32 v20, s8
	s_xor_b64 exec, exec, s[0:1]
	s_cbranch_execz .LBB0_207
; %bb.206:                              ;   in Loop: Header=BB0_167 Depth=1
	flat_load_dwordx2 v[16:17], v[6:7]
	v_add_u32_e32 v20, -8, v18
	v_lshl_add_u64 v[6:7], v[6:7], 0, 8
	s_waitcnt vmcnt(0) lgkmcnt(0)
	v_and_b32_e32 v18, 0xff, v17
	v_and_b32_e32 v19, 0xff00, v17
	;; [unrolled: 1-line block ×4, first 2 shown]
	v_or_b32_e32 v18, v18, v19
	v_or3_b32 v16, v16, 0, 0
	v_or3_b32 v17, v18, v21, v17
.LBB0_207:                              ;   in Loop: Header=BB0_167 Depth=1
	s_or_b64 exec, exec, s[0:1]
	v_cmp_gt_u32_e32 vcc, 8, v20
                                        ; implicit-def: $vgpr18_vgpr19
                                        ; implicit-def: $sgpr8
	s_and_saveexec_b64 s[0:1], vcc
	s_xor_b64 s[0:1], exec, s[0:1]
	s_cbranch_execz .LBB0_213
; %bb.208:                              ;   in Loop: Header=BB0_167 Depth=1
	v_cmp_ne_u32_e32 vcc, 0, v20
	v_mov_b64_e32 v[18:19], 0
	s_and_saveexec_b64 s[8:9], vcc
	s_cbranch_execz .LBB0_212
; %bb.209:                              ;   in Loop: Header=BB0_167 Depth=1
	s_mov_b64 s[10:11], 0
	v_mov_b64_e32 v[18:19], 0
	s_mov_b64 s[12:13], 0
	s_mov_b64 s[14:15], 0
.LBB0_210:                              ;   Parent Loop BB0_167 Depth=1
                                        ; =>  This Inner Loop Header: Depth=2
	v_lshl_add_u64 v[22:23], v[6:7], 0, s[14:15]
	flat_load_ubyte v21, v[22:23]
	s_add_u32 s14, s14, 1
	v_mov_b32_e32 v23, s16
	s_addc_u32 s15, s15, 0
	v_cmp_eq_u32_e32 vcc, s14, v20
	s_waitcnt vmcnt(0) lgkmcnt(0)
	v_and_b32_e32 v22, 0xffff, v21
	v_lshlrev_b64 v[22:23], s12, v[22:23]
	s_add_u32 s12, s12, 8
	s_addc_u32 s13, s13, 0
	v_or_b32_e32 v19, v23, v19
	s_or_b64 s[10:11], vcc, s[10:11]
	v_or_b32_e32 v18, v22, v18
	s_andn2_b64 exec, exec, s[10:11]
	s_cbranch_execnz .LBB0_210
; %bb.211:                              ;   in Loop: Header=BB0_167 Depth=1
	s_or_b64 exec, exec, s[10:11]
.LBB0_212:                              ;   in Loop: Header=BB0_167 Depth=1
	s_or_b64 exec, exec, s[8:9]
	s_mov_b32 s8, 0
                                        ; implicit-def: $vgpr20
.LBB0_213:                              ;   in Loop: Header=BB0_167 Depth=1
	s_or_saveexec_b64 s[0:1], s[0:1]
	v_mov_b32_e32 v22, s8
	s_xor_b64 exec, exec, s[0:1]
	s_cbranch_execz .LBB0_215
; %bb.214:                              ;   in Loop: Header=BB0_167 Depth=1
	flat_load_dwordx2 v[18:19], v[6:7]
	v_add_u32_e32 v22, -8, v20
	v_lshl_add_u64 v[6:7], v[6:7], 0, 8
	s_waitcnt vmcnt(0) lgkmcnt(0)
	v_and_b32_e32 v20, 0xff, v19
	v_and_b32_e32 v21, 0xff00, v19
	;; [unrolled: 1-line block ×4, first 2 shown]
	v_or_b32_e32 v20, v20, v21
	v_or3_b32 v18, v18, 0, 0
	v_or3_b32 v19, v20, v23, v19
.LBB0_215:                              ;   in Loop: Header=BB0_167 Depth=1
	s_or_b64 exec, exec, s[0:1]
	v_cmp_gt_u32_e32 vcc, 8, v22
	s_and_saveexec_b64 s[0:1], vcc
	s_xor_b64 s[0:1], exec, s[0:1]
	s_cbranch_execz .LBB0_221
; %bb.216:                              ;   in Loop: Header=BB0_167 Depth=1
	v_cmp_ne_u32_e32 vcc, 0, v22
	v_mov_b64_e32 v[20:21], 0
	s_and_saveexec_b64 s[8:9], vcc
	s_cbranch_execz .LBB0_220
; %bb.217:                              ;   in Loop: Header=BB0_167 Depth=1
	s_mov_b64 s[10:11], 0
	v_mov_b64_e32 v[20:21], 0
	s_mov_b64 s[12:13], 0
.LBB0_218:                              ;   Parent Loop BB0_167 Depth=1
                                        ; =>  This Inner Loop Header: Depth=2
	flat_load_ubyte v23, v[6:7]
	v_mov_b32_e32 v25, s16
	v_add_u32_e32 v22, -1, v22
	v_cmp_eq_u32_e32 vcc, 0, v22
	v_lshl_add_u64 v[6:7], v[6:7], 0, 1
	s_waitcnt vmcnt(0) lgkmcnt(0)
	v_and_b32_e32 v24, 0xffff, v23
	v_lshlrev_b64 v[24:25], s12, v[24:25]
	s_add_u32 s12, s12, 8
	s_addc_u32 s13, s13, 0
	v_or_b32_e32 v21, v25, v21
	s_or_b64 s[10:11], vcc, s[10:11]
	v_or_b32_e32 v20, v24, v20
	s_andn2_b64 exec, exec, s[10:11]
	s_cbranch_execnz .LBB0_218
; %bb.219:                              ;   in Loop: Header=BB0_167 Depth=1
	s_or_b64 exec, exec, s[10:11]
.LBB0_220:                              ;   in Loop: Header=BB0_167 Depth=1
	s_or_b64 exec, exec, s[8:9]
                                        ; implicit-def: $vgpr6_vgpr7
.LBB0_221:                              ;   in Loop: Header=BB0_167 Depth=1
	s_andn2_saveexec_b64 s[0:1], s[0:1]
	s_cbranch_execz .LBB0_223
; %bb.222:                              ;   in Loop: Header=BB0_167 Depth=1
	flat_load_dwordx2 v[6:7], v[6:7]
	s_waitcnt vmcnt(0) lgkmcnt(0)
	v_and_b32_e32 v20, 0xff, v7
	v_and_b32_e32 v21, 0xff00, v7
	;; [unrolled: 1-line block ×4, first 2 shown]
	v_or_b32_e32 v20, v20, v21
	v_or3_b32 v21, v20, v22, v7
	v_or3_b32 v20, v6, 0, 0
.LBB0_223:                              ;   in Loop: Header=BB0_167 Depth=1
	s_or_b64 exec, exec, s[0:1]
	v_readfirstlane_b32 s0, v36
	v_mov_b64_e32 v[6:7], 0
	s_nop 0
	v_cmp_eq_u32_e64 s[0:1], s0, v36
	s_and_saveexec_b64 s[8:9], s[0:1]
	s_cbranch_execz .LBB0_229
; %bb.224:                              ;   in Loop: Header=BB0_167 Depth=1
	global_load_dwordx2 v[24:25], v29, s[2:3] offset:24 sc0 sc1
	s_waitcnt vmcnt(0)
	buffer_inv sc0 sc1
	global_load_dwordx2 v[6:7], v29, s[2:3] offset:40
	global_load_dwordx2 v[22:23], v29, s[2:3]
	s_waitcnt vmcnt(1)
	v_and_b32_e32 v6, v6, v24
	v_and_b32_e32 v7, v7, v25
	v_mul_lo_u32 v7, v7, 24
	v_mul_hi_u32 v32, v6, 24
	v_add_u32_e32 v7, v32, v7
	v_mul_lo_u32 v6, v6, 24
	s_waitcnt vmcnt(0)
	v_lshl_add_u64 v[6:7], v[22:23], 0, v[6:7]
	global_load_dwordx2 v[22:23], v[6:7], off sc0 sc1
	s_waitcnt vmcnt(0)
	global_atomic_cmpswap_x2 v[6:7], v29, v[22:25], s[2:3] offset:24 sc0 sc1
	s_waitcnt vmcnt(0)
	buffer_inv sc0 sc1
	v_cmp_ne_u64_e32 vcc, v[6:7], v[24:25]
	s_and_saveexec_b64 s[10:11], vcc
	s_cbranch_execz .LBB0_228
; %bb.225:                              ;   in Loop: Header=BB0_167 Depth=1
	s_mov_b64 s[12:13], 0
.LBB0_226:                              ;   Parent Loop BB0_167 Depth=1
                                        ; =>  This Inner Loop Header: Depth=2
	s_sleep 1
	global_load_dwordx2 v[22:23], v29, s[2:3] offset:40
	global_load_dwordx2 v[32:33], v29, s[2:3]
	v_mov_b64_e32 v[24:25], v[6:7]
	s_waitcnt vmcnt(1)
	v_and_b32_e32 v6, v22, v24
	s_waitcnt vmcnt(0)
	v_mad_u64_u32 v[6:7], s[14:15], v6, 24, v[32:33]
	v_and_b32_e32 v23, v23, v25
	v_mov_b32_e32 v22, v7
	v_mad_u64_u32 v[22:23], s[14:15], v23, 24, v[22:23]
	v_mov_b32_e32 v7, v22
	global_load_dwordx2 v[22:23], v[6:7], off sc0 sc1
	s_waitcnt vmcnt(0)
	global_atomic_cmpswap_x2 v[6:7], v29, v[22:25], s[2:3] offset:24 sc0 sc1
	s_waitcnt vmcnt(0)
	buffer_inv sc0 sc1
	v_cmp_eq_u64_e32 vcc, v[6:7], v[24:25]
	s_or_b64 s[12:13], vcc, s[12:13]
	s_andn2_b64 exec, exec, s[12:13]
	s_cbranch_execnz .LBB0_226
; %bb.227:                              ;   in Loop: Header=BB0_167 Depth=1
	s_or_b64 exec, exec, s[12:13]
.LBB0_228:                              ;   in Loop: Header=BB0_167 Depth=1
	s_or_b64 exec, exec, s[10:11]
.LBB0_229:                              ;   in Loop: Header=BB0_167 Depth=1
	s_or_b64 exec, exec, s[8:9]
	global_load_dwordx2 v[32:33], v29, s[2:3] offset:40
	global_load_dwordx4 v[22:25], v29, s[2:3]
	v_readfirstlane_b32 s8, v6
	v_readfirstlane_b32 s9, v7
	s_mov_b64 s[10:11], exec
	s_waitcnt vmcnt(1)
	v_readfirstlane_b32 s12, v32
	v_readfirstlane_b32 s13, v33
	s_and_b64 s[12:13], s[8:9], s[12:13]
	s_mul_i32 s14, s13, 24
	s_mul_hi_u32 s15, s12, 24
	s_add_i32 s15, s15, s14
	s_mul_i32 s14, s12, 24
	s_waitcnt vmcnt(0)
	v_lshl_add_u64 v[32:33], v[22:23], 0, s[14:15]
	s_and_saveexec_b64 s[14:15], s[0:1]
	s_cbranch_execz .LBB0_231
; %bb.230:                              ;   in Loop: Header=BB0_167 Depth=1
	v_mov_b64_e32 v[6:7], s[10:11]
	global_store_dwordx4 v[32:33], v[6:9], off offset:8
.LBB0_231:                              ;   in Loop: Header=BB0_167 Depth=1
	s_or_b64 exec, exec, s[14:15]
	s_lshl_b64 s[10:11], s[12:13], 12
	v_lshl_add_u64 v[6:7], v[24:25], 0, s[10:11]
	v_or_b32_e32 v24, 2, v2
	v_cmp_lt_u64_e32 vcc, 56, v[26:27]
	v_readfirstlane_b32 s10, v6
	v_readfirstlane_b32 s11, v7
	v_cndmask_b32_e32 v2, v24, v2, vcc
	v_lshl_add_u32 v24, v30, 2, 28
	v_and_b32_e32 v24, 0x1e0, v24
	v_and_or_b32 v2, v2, s17, v24
	s_nop 0
	global_store_dwordx4 v28, v[2:5], s[10:11]
	global_store_dwordx4 v28, v[10:13], s[10:11] offset:16
	global_store_dwordx4 v28, v[14:17], s[10:11] offset:32
	;; [unrolled: 1-line block ×3, first 2 shown]
	s_and_saveexec_b64 s[10:11], s[0:1]
	s_cbranch_execz .LBB0_239
; %bb.232:                              ;   in Loop: Header=BB0_167 Depth=1
	global_load_dwordx2 v[14:15], v29, s[2:3] offset:32 sc0 sc1
	global_load_dwordx2 v[2:3], v29, s[2:3] offset:40
	v_mov_b32_e32 v12, s8
	v_mov_b32_e32 v13, s9
	s_waitcnt vmcnt(0)
	v_readfirstlane_b32 s12, v2
	v_readfirstlane_b32 s13, v3
	s_and_b64 s[12:13], s[12:13], s[8:9]
	s_mul_i32 s13, s13, 24
	s_mul_hi_u32 s14, s12, 24
	s_mul_i32 s12, s12, 24
	s_add_i32 s13, s14, s13
	v_lshl_add_u64 v[10:11], v[22:23], 0, s[12:13]
	global_store_dwordx2 v[10:11], v[14:15], off
	buffer_wbl2 sc0 sc1
	s_waitcnt vmcnt(0)
	global_atomic_cmpswap_x2 v[4:5], v29, v[12:15], s[2:3] offset:32 sc0 sc1
	s_waitcnt vmcnt(0)
	v_cmp_ne_u64_e32 vcc, v[4:5], v[14:15]
	s_and_saveexec_b64 s[12:13], vcc
	s_cbranch_execz .LBB0_235
; %bb.233:                              ;   in Loop: Header=BB0_167 Depth=1
	s_mov_b64 s[14:15], 0
.LBB0_234:                              ;   Parent Loop BB0_167 Depth=1
                                        ; =>  This Inner Loop Header: Depth=2
	s_sleep 1
	global_store_dwordx2 v[10:11], v[4:5], off
	v_mov_b32_e32 v2, s8
	v_mov_b32_e32 v3, s9
	buffer_wbl2 sc0 sc1
	s_waitcnt vmcnt(0)
	global_atomic_cmpswap_x2 v[2:3], v29, v[2:5], s[2:3] offset:32 sc0 sc1
	s_waitcnt vmcnt(0)
	v_cmp_eq_u64_e32 vcc, v[2:3], v[4:5]
	s_or_b64 s[14:15], vcc, s[14:15]
	v_mov_b64_e32 v[4:5], v[2:3]
	s_andn2_b64 exec, exec, s[14:15]
	s_cbranch_execnz .LBB0_234
.LBB0_235:                              ;   in Loop: Header=BB0_167 Depth=1
	s_or_b64 exec, exec, s[12:13]
	global_load_dwordx2 v[2:3], v29, s[2:3] offset:16
	s_mov_b64 s[14:15], exec
	v_mbcnt_lo_u32_b32 v4, s14, 0
	v_mbcnt_hi_u32_b32 v4, s15, v4
	v_cmp_eq_u32_e32 vcc, 0, v4
	s_and_saveexec_b64 s[12:13], vcc
	s_cbranch_execz .LBB0_237
; %bb.236:                              ;   in Loop: Header=BB0_167 Depth=1
	s_bcnt1_i32_b64 s14, s[14:15]
	v_mov_b32_e32 v4, s14
	v_mov_b32_e32 v5, v29
	buffer_wbl2 sc0 sc1
	s_waitcnt vmcnt(0)
	global_atomic_add_x2 v[2:3], v[4:5], off offset:8 sc1
.LBB0_237:                              ;   in Loop: Header=BB0_167 Depth=1
	s_or_b64 exec, exec, s[12:13]
	s_waitcnt vmcnt(0)
	global_load_dwordx2 v[4:5], v[2:3], off offset:16
	s_waitcnt vmcnt(0)
	v_cmp_eq_u64_e32 vcc, 0, v[4:5]
	s_cbranch_vccnz .LBB0_239
; %bb.238:                              ;   in Loop: Header=BB0_167 Depth=1
	global_load_dword v2, v[2:3], off offset:24
	v_mov_b32_e32 v3, v29
	buffer_wbl2 sc0 sc1
	s_waitcnt vmcnt(0)
	global_store_dwordx2 v[4:5], v[2:3], off sc0 sc1
	v_and_b32_e32 v2, 0xffffff, v2
	s_nop 0
	v_readfirstlane_b32 m0, v2
	s_sendmsg sendmsg(MSG_INTERRUPT)
.LBB0_239:                              ;   in Loop: Header=BB0_167 Depth=1
	s_or_b64 exec, exec, s[10:11]
	v_lshl_add_u64 v[2:3], v[6:7], 0, v[28:29]
	s_branch .LBB0_243
.LBB0_240:                              ;   in Loop: Header=BB0_243 Depth=2
	s_or_b64 exec, exec, s[10:11]
	v_readfirstlane_b32 s10, v4
	s_cmp_eq_u32 s10, 0
	s_cbranch_scc1 .LBB0_242
; %bb.241:                              ;   in Loop: Header=BB0_243 Depth=2
	s_sleep 1
	s_cbranch_execnz .LBB0_243
	s_branch .LBB0_245
.LBB0_242:                              ;   in Loop: Header=BB0_167 Depth=1
	s_branch .LBB0_245
.LBB0_243:                              ;   Parent Loop BB0_167 Depth=1
                                        ; =>  This Inner Loop Header: Depth=2
	v_mov_b32_e32 v4, 1
	s_and_saveexec_b64 s[10:11], s[0:1]
	s_cbranch_execz .LBB0_240
; %bb.244:                              ;   in Loop: Header=BB0_243 Depth=2
	global_load_dword v4, v[32:33], off offset:20 sc0 sc1
	s_waitcnt vmcnt(0)
	buffer_inv sc0 sc1
	v_and_b32_e32 v4, 1, v4
	s_branch .LBB0_240
.LBB0_245:                              ;   in Loop: Header=BB0_167 Depth=1
	global_load_dwordx4 v[2:5], v[2:3], off
	s_and_saveexec_b64 s[10:11], s[0:1]
	s_cbranch_execz .LBB0_166
; %bb.246:                              ;   in Loop: Header=BB0_167 Depth=1
	global_load_dwordx2 v[10:11], v29, s[2:3] offset:40
	global_load_dwordx2 v[12:13], v29, s[2:3] offset:24 sc0 sc1
	global_load_dwordx2 v[14:15], v29, s[2:3]
	s_waitcnt vmcnt(2)
	v_lshl_add_u64 v[4:5], v[10:11], 0, 1
	v_lshl_add_u64 v[16:17], v[4:5], 0, s[8:9]
	v_cmp_eq_u64_e32 vcc, 0, v[16:17]
	s_waitcnt vmcnt(1)
	v_mov_b32_e32 v6, v12
	v_cndmask_b32_e32 v5, v17, v5, vcc
	v_cndmask_b32_e32 v4, v16, v4, vcc
	v_and_b32_e32 v7, v5, v11
	v_and_b32_e32 v10, v4, v10
	v_mul_lo_u32 v7, v7, 24
	v_mul_hi_u32 v11, v10, 24
	v_mul_lo_u32 v10, v10, 24
	v_add_u32_e32 v11, v11, v7
	s_waitcnt vmcnt(0)
	v_lshl_add_u64 v[10:11], v[14:15], 0, v[10:11]
	global_store_dwordx2 v[10:11], v[12:13], off
	v_mov_b32_e32 v7, v13
	buffer_wbl2 sc0 sc1
	s_waitcnt vmcnt(0)
	global_atomic_cmpswap_x2 v[6:7], v29, v[4:7], s[2:3] offset:24 sc0 sc1
	s_waitcnt vmcnt(0)
	v_cmp_ne_u64_e32 vcc, v[6:7], v[12:13]
	s_and_b64 exec, exec, vcc
	s_cbranch_execz .LBB0_166
; %bb.247:                              ;   in Loop: Header=BB0_167 Depth=1
	s_mov_b64 s[0:1], 0
.LBB0_248:                              ;   Parent Loop BB0_167 Depth=1
                                        ; =>  This Inner Loop Header: Depth=2
	s_sleep 1
	global_store_dwordx2 v[10:11], v[6:7], off
	buffer_wbl2 sc0 sc1
	s_waitcnt vmcnt(0)
	global_atomic_cmpswap_x2 v[12:13], v29, v[4:7], s[2:3] offset:24 sc0 sc1
	s_waitcnt vmcnt(0)
	v_cmp_eq_u64_e32 vcc, v[12:13], v[6:7]
	s_or_b64 s[0:1], vcc, s[0:1]
	v_mov_b64_e32 v[6:7], v[12:13]
	s_andn2_b64 exec, exec, s[0:1]
	s_cbranch_execnz .LBB0_248
	s_branch .LBB0_166
.LBB0_249:
	s_and_saveexec_b64 s[8:9], s[0:1]
	s_cbranch_execz .LBB0_252
; %bb.250:
	v_mov_b32_e32 v6, 0
	global_load_dwordx2 v[4:5], v6, s[2:3] offset:40
	global_load_dwordx2 v[8:9], v6, s[2:3] offset:24 sc0 sc1
	global_load_dwordx2 v[10:11], v6, s[2:3]
	s_mov_b64 s[0:1], 0
	s_waitcnt vmcnt(2)
	v_lshl_add_u64 v[0:1], v[4:5], 0, 1
	v_lshl_add_u64 v[12:13], v[0:1], 0, s[6:7]
	v_cmp_eq_u64_e32 vcc, 0, v[12:13]
	s_waitcnt vmcnt(1)
	v_mov_b32_e32 v2, v8
	v_cndmask_b32_e32 v1, v13, v1, vcc
	v_cndmask_b32_e32 v0, v12, v0, vcc
	v_and_b32_e32 v3, v1, v5
	v_and_b32_e32 v4, v0, v4
	v_mul_lo_u32 v3, v3, 24
	v_mul_hi_u32 v5, v4, 24
	v_mul_lo_u32 v4, v4, 24
	v_add_u32_e32 v5, v5, v3
	s_waitcnt vmcnt(0)
	v_lshl_add_u64 v[4:5], v[10:11], 0, v[4:5]
	global_store_dwordx2 v[4:5], v[8:9], off
	v_mov_b32_e32 v3, v9
	buffer_wbl2 sc0 sc1
	s_waitcnt vmcnt(0)
	global_atomic_cmpswap_x2 v[2:3], v6, v[0:3], s[2:3] offset:24 sc0 sc1
	s_waitcnt vmcnt(0)
	v_cmp_ne_u64_e32 vcc, v[2:3], v[8:9]
	s_and_b64 exec, exec, vcc
	s_cbranch_execz .LBB0_252
.LBB0_251:                              ; =>This Inner Loop Header: Depth=1
	s_sleep 1
	global_store_dwordx2 v[4:5], v[2:3], off
	buffer_wbl2 sc0 sc1
	s_waitcnt vmcnt(0)
	global_atomic_cmpswap_x2 v[8:9], v6, v[0:3], s[2:3] offset:24 sc0 sc1
	s_waitcnt vmcnt(0)
	v_cmp_eq_u64_e32 vcc, v[8:9], v[2:3]
	s_or_b64 s[0:1], vcc, s[0:1]
	v_mov_b64_e32 v[2:3], v[8:9]
	s_andn2_b64 exec, exec, s[0:1]
	s_cbranch_execnz .LBB0_251
.LBB0_252:
	s_or_b64 exec, exec, s[8:9]
	s_or_b64 exec, exec, s[4:5]
	s_waitcnt vmcnt(0) lgkmcnt(0)
	s_setpc_b64 s[30:31]
.LBB0_253:
	s_or_b64 exec, exec, s[6:7]
                                        ; implicit-def: $vgpr2_vgpr3
                                        ; implicit-def: $vgpr28
                                        ; implicit-def: $vgpr36
	s_andn2_saveexec_b64 s[4:5], s[4:5]
	s_cbranch_execnz .LBB0_140
.LBB0_254:
	s_or_b64 exec, exec, s[4:5]
	s_waitcnt vmcnt(0) lgkmcnt(0)
	s_setpc_b64 s[30:31]
.Lfunc_end0:
	.size	_ZNK8migraphx13basic_printerIZNS_4coutEvEUlT_E_ElsEPKc, .Lfunc_end0-_ZNK8migraphx13basic_printerIZNS_4coutEvEUlT_E_ElsEPKc
                                        ; -- End function
	.section	.AMDGPU.csdata,"",@progbits
; Function info:
; codeLenInByte = 8852
; NumSgprs: 38
; NumVgprs: 37
; NumAgprs: 0
; TotalNumVgprs: 37
; ScratchSize: 0
; MemoryBound: 0
	.text
	.p2align	2                               ; -- Begin function _ZN8migraphx4testlsIKNS_13basic_printerIZNS_4coutEvEUlT_E_EEEERS3_S7_RKNS0_10expressionINS0_14lhs_expressionIRNS_5arrayIiLj6EEENS0_3nopEEESC_NS0_5equalEEE
	.type	_ZN8migraphx4testlsIKNS_13basic_printerIZNS_4coutEvEUlT_E_EEEERS3_S7_RKNS0_10expressionINS0_14lhs_expressionIRNS_5arrayIiLj6EEENS0_3nopEEESC_NS0_5equalEEE,@function
_ZN8migraphx4testlsIKNS_13basic_printerIZNS_4coutEvEUlT_E_EEEERS3_S7_RKNS0_10expressionINS0_14lhs_expressionIRNS_5arrayIiLj6EEENS0_3nopEEESC_NS0_5equalEEE: ; @_ZN8migraphx4testlsIKNS_13basic_printerIZNS_4coutEvEUlT_E_EEEERS3_S7_RKNS0_10expressionINS0_14lhs_expressionIRNS_5arrayIiLj6EEENS0_3nopEEESC_NS0_5equalEEE
; %bb.0:
	s_waitcnt vmcnt(0) expcnt(0) lgkmcnt(0)
	s_mov_b32 s0, s33
	s_mov_b32 s33, s32
	s_xor_saveexec_b64 s[2:3], -1
	scratch_store_dword off, v37, s33       ; 4-byte Folded Spill
	s_mov_b64 exec, s[2:3]
	v_writelane_b32 v37, s0, 2
	v_writelane_b32 v37, s30, 0
	s_add_i32 s32, s32, 16
	s_nop 0
	v_writelane_b32 v37, s31, 1
	v_mov_b32_e32 v39, v1
	v_mov_b32_e32 v38, v0
	flat_load_dwordx2 v[44:45], v[38:39]
	s_getpc_b64 s[0:1]
	s_add_u32 s0, s0, .str.7@rel32@lo+4
	s_addc_u32 s1, s1, .str.7@rel32@hi+12
	v_mbcnt_lo_u32_b32 v0, -1, 0
	s_mov_b32 s29, 0
	s_cmp_lg_u64 s[0:1], 0
	v_mov_b32_e32 v55, 0
	v_mbcnt_hi_u32_b32 v46, -1, v0
	s_mov_b64 s[18:19], s[8:9]
	s_cselect_b64 s[24:25], -1, 0
	v_mov_b32_e32 v50, 2
	v_lshlrev_b32_e32 v56, 6, v46
	v_mov_b32_e32 v40, 33
	s_mov_b32 s20, s29
	s_mov_b32 s21, s29
	s_mov_b32 s22, s29
	s_mov_b32 s23, s29
	s_movk_i32 s34, 0xff1f
	s_movk_i32 s35, 0xff1d
	v_mov_b32_e32 v51, 1
	v_mov_b32_e32 v41, v55
	;; [unrolled: 1-line block ×4, first 2 shown]
	s_mov_b32 s28, s29
	s_branch .LBB1_2
.LBB1_1:                                ;   in Loop: Header=BB1_2 Depth=1
	s_or_b64 exec, exec, s[4:5]
	s_add_i32 s28, s28, 1
	s_cmp_lg_u32 s28, 6
	s_cbranch_scc0 .LBB1_169
.LBB1_2:                                ; =>This Loop Header: Depth=1
                                        ;     Child Loop BB1_7 Depth 2
                                        ;     Child Loop BB1_15 Depth 2
	;; [unrolled: 1-line block ×9, first 2 shown]
                                        ;       Child Loop BB1_36 Depth 3
                                        ;       Child Loop BB1_43 Depth 3
                                        ;       Child Loop BB1_51 Depth 3
                                        ;       Child Loop BB1_59 Depth 3
                                        ;       Child Loop BB1_67 Depth 3
                                        ;       Child Loop BB1_75 Depth 3
                                        ;       Child Loop BB1_83 Depth 3
                                        ;       Child Loop BB1_91 Depth 3
                                        ;       Child Loop BB1_99 Depth 3
                                        ;       Child Loop BB1_108 Depth 3
                                        ;       Child Loop BB1_113 Depth 3
                                        ;     Child Loop BB1_146 Depth 2
                                        ;     Child Loop BB1_154 Depth 2
	;; [unrolled: 1-line block ×4, first 2 shown]
	s_cmp_eq_u32 s28, 0
	s_cbranch_scc1 .LBB1_4
; %bb.3:                                ;   in Loop: Header=BB1_2 Depth=1
	s_getpc_b64 s[0:1]
	s_add_u32 s0, s0, .str.11@rel32@lo+4
	s_addc_u32 s1, s1, .str.11@rel32@hi+12
	s_mov_b64 s[8:9], s[18:19]
	v_mov_b32_e32 v0, s0
	v_mov_b32_e32 v1, s1
	s_getpc_b64 s[2:3]
	s_add_u32 s2, s2, _ZNK8migraphx13basic_printerIZNS_4coutEvEUlT_E_ElsEPKc@rel32@lo+4
	s_addc_u32 s3, s3, _ZNK8migraphx13basic_printerIZNS_4coutEvEUlT_E_ElsEPKc@rel32@hi+12
	s_swappc_b64 s[30:31], s[2:3]
.LBB1_4:                                ;   in Loop: Header=BB1_2 Depth=1
	s_waitcnt vmcnt(0) lgkmcnt(0)
	v_lshl_add_u64 v[0:1], s[28:29], 2, v[44:45]
	flat_load_dword v21, v[0:1]
	s_load_dwordx2 s[26:27], s[18:19], 0x50
	v_readfirstlane_b32 s0, v46
	v_mov_b64_e32 v[4:5], 0
	s_nop 0
	v_cmp_eq_u32_e64 s[0:1], s0, v46
	s_and_saveexec_b64 s[2:3], s[0:1]
	s_cbranch_execz .LBB1_10
; %bb.5:                                ;   in Loop: Header=BB1_2 Depth=1
	s_waitcnt lgkmcnt(0)
	global_load_dwordx2 v[2:3], v55, s[26:27] offset:24 sc0 sc1
	s_waitcnt vmcnt(0)
	buffer_inv sc0 sc1
	global_load_dwordx2 v[0:1], v55, s[26:27] offset:40
	global_load_dwordx2 v[4:5], v55, s[26:27]
	s_waitcnt vmcnt(1)
	v_and_b32_e32 v0, v0, v2
	v_and_b32_e32 v1, v1, v3
	v_mul_lo_u32 v1, v1, 24
	v_mul_hi_u32 v6, v0, 24
	v_add_u32_e32 v1, v6, v1
	v_mul_lo_u32 v0, v0, 24
	s_waitcnt vmcnt(0)
	v_lshl_add_u64 v[0:1], v[4:5], 0, v[0:1]
	global_load_dwordx2 v[0:1], v[0:1], off sc0 sc1
	s_waitcnt vmcnt(0)
	global_atomic_cmpswap_x2 v[4:5], v55, v[0:3], s[26:27] offset:24 sc0 sc1
	s_waitcnt vmcnt(0)
	buffer_inv sc0 sc1
	v_cmp_ne_u64_e32 vcc, v[4:5], v[2:3]
	s_and_saveexec_b64 s[4:5], vcc
	s_cbranch_execz .LBB1_9
; %bb.6:                                ;   in Loop: Header=BB1_2 Depth=1
	s_mov_b64 s[6:7], 0
.LBB1_7:                                ;   Parent Loop BB1_2 Depth=1
                                        ; =>  This Inner Loop Header: Depth=2
	s_sleep 1
	global_load_dwordx2 v[0:1], v55, s[26:27] offset:40
	global_load_dwordx2 v[6:7], v55, s[26:27]
	v_mov_b64_e32 v[2:3], v[4:5]
	s_waitcnt vmcnt(1)
	v_and_b32_e32 v0, v0, v2
	v_and_b32_e32 v5, v1, v3
	s_waitcnt vmcnt(0)
	v_mad_u64_u32 v[0:1], s[8:9], v0, 24, v[6:7]
	v_mov_b32_e32 v4, v1
	v_mad_u64_u32 v[4:5], s[8:9], v5, 24, v[4:5]
	v_mov_b32_e32 v1, v4
	global_load_dwordx2 v[0:1], v[0:1], off sc0 sc1
	s_waitcnt vmcnt(0)
	global_atomic_cmpswap_x2 v[4:5], v55, v[0:3], s[26:27] offset:24 sc0 sc1
	s_waitcnt vmcnt(0)
	buffer_inv sc0 sc1
	v_cmp_eq_u64_e32 vcc, v[4:5], v[2:3]
	s_or_b64 s[6:7], vcc, s[6:7]
	s_andn2_b64 exec, exec, s[6:7]
	s_cbranch_execnz .LBB1_7
; %bb.8:                                ;   in Loop: Header=BB1_2 Depth=1
	s_or_b64 exec, exec, s[6:7]
.LBB1_9:                                ;   in Loop: Header=BB1_2 Depth=1
	s_or_b64 exec, exec, s[4:5]
.LBB1_10:                               ;   in Loop: Header=BB1_2 Depth=1
	s_or_b64 exec, exec, s[2:3]
	s_waitcnt lgkmcnt(0)
	global_load_dwordx2 v[6:7], v55, s[26:27] offset:40
	global_load_dwordx4 v[0:3], v55, s[26:27]
	v_readfirstlane_b32 s2, v4
	v_readfirstlane_b32 s3, v5
	s_mov_b64 s[4:5], exec
	s_waitcnt vmcnt(0)
	v_readfirstlane_b32 s6, v6
	v_readfirstlane_b32 s7, v7
	s_and_b64 s[6:7], s[2:3], s[6:7]
	s_mul_i32 s8, s7, 24
	s_mul_hi_u32 s9, s6, 24
	s_add_i32 s9, s9, s8
	s_mul_i32 s8, s6, 24
	v_lshl_add_u64 v[4:5], v[0:1], 0, s[8:9]
	s_and_saveexec_b64 s[8:9], s[0:1]
	s_cbranch_execz .LBB1_12
; %bb.11:                               ;   in Loop: Header=BB1_2 Depth=1
	v_mov_b64_e32 v[48:49], s[4:5]
	global_store_dwordx4 v[4:5], v[48:51], off offset:8
.LBB1_12:                               ;   in Loop: Header=BB1_2 Depth=1
	s_or_b64 exec, exec, s[8:9]
	s_lshl_b64 s[4:5], s[6:7], 12
	v_lshl_add_u64 v[6:7], v[2:3], 0, s[4:5]
	v_mov_b64_e32 v[8:9], s[20:21]
	v_readfirstlane_b32 s4, v6
	v_readfirstlane_b32 s5, v7
	v_mov_b64_e32 v[10:11], s[22:23]
	s_nop 3
	global_store_dwordx4 v56, v[40:43], s[4:5]
	global_store_dwordx4 v56, v[8:11], s[4:5] offset:16
	global_store_dwordx4 v56, v[8:11], s[4:5] offset:32
	;; [unrolled: 1-line block ×3, first 2 shown]
	s_and_saveexec_b64 s[4:5], s[0:1]
	s_cbranch_execz .LBB1_20
; %bb.13:                               ;   in Loop: Header=BB1_2 Depth=1
	global_load_dwordx2 v[12:13], v55, s[26:27] offset:32 sc0 sc1
	global_load_dwordx2 v[2:3], v55, s[26:27] offset:40
	v_mov_b32_e32 v10, s2
	v_mov_b32_e32 v11, s3
	s_waitcnt vmcnt(0)
	v_and_b32_e32 v2, s2, v2
	v_and_b32_e32 v3, s3, v3
	v_mul_lo_u32 v3, v3, 24
	v_mul_hi_u32 v8, v2, 24
	v_mul_lo_u32 v2, v2, 24
	v_add_u32_e32 v3, v8, v3
	v_lshl_add_u64 v[8:9], v[0:1], 0, v[2:3]
	global_store_dwordx2 v[8:9], v[12:13], off
	buffer_wbl2 sc0 sc1
	s_waitcnt vmcnt(0)
	global_atomic_cmpswap_x2 v[2:3], v55, v[10:13], s[26:27] offset:32 sc0 sc1
	s_waitcnt vmcnt(0)
	v_cmp_ne_u64_e32 vcc, v[2:3], v[12:13]
	s_and_saveexec_b64 s[6:7], vcc
	s_cbranch_execz .LBB1_16
; %bb.14:                               ;   in Loop: Header=BB1_2 Depth=1
	s_mov_b64 s[8:9], 0
.LBB1_15:                               ;   Parent Loop BB1_2 Depth=1
                                        ; =>  This Inner Loop Header: Depth=2
	s_sleep 1
	global_store_dwordx2 v[8:9], v[2:3], off
	v_mov_b32_e32 v0, s2
	v_mov_b32_e32 v1, s3
	buffer_wbl2 sc0 sc1
	s_waitcnt vmcnt(0)
	global_atomic_cmpswap_x2 v[0:1], v55, v[0:3], s[26:27] offset:32 sc0 sc1
	s_waitcnt vmcnt(0)
	v_cmp_eq_u64_e32 vcc, v[0:1], v[2:3]
	s_or_b64 s[8:9], vcc, s[8:9]
	v_mov_b64_e32 v[2:3], v[0:1]
	s_andn2_b64 exec, exec, s[8:9]
	s_cbranch_execnz .LBB1_15
.LBB1_16:                               ;   in Loop: Header=BB1_2 Depth=1
	s_or_b64 exec, exec, s[6:7]
	global_load_dwordx2 v[0:1], v55, s[26:27] offset:16
	s_mov_b64 s[8:9], exec
	v_mbcnt_lo_u32_b32 v2, s8, 0
	v_mbcnt_hi_u32_b32 v2, s9, v2
	v_cmp_eq_u32_e32 vcc, 0, v2
	s_and_saveexec_b64 s[6:7], vcc
	s_cbranch_execz .LBB1_18
; %bb.17:                               ;   in Loop: Header=BB1_2 Depth=1
	s_bcnt1_i32_b64 s8, s[8:9]
	v_mov_b32_e32 v54, s8
	buffer_wbl2 sc0 sc1
	s_waitcnt vmcnt(0)
	global_atomic_add_x2 v[0:1], v[54:55], off offset:8 sc1
.LBB1_18:                               ;   in Loop: Header=BB1_2 Depth=1
	s_or_b64 exec, exec, s[6:7]
	s_waitcnt vmcnt(0)
	global_load_dwordx2 v[2:3], v[0:1], off offset:16
	s_waitcnt vmcnt(0)
	v_cmp_eq_u64_e32 vcc, 0, v[2:3]
	s_cbranch_vccnz .LBB1_20
; %bb.19:                               ;   in Loop: Header=BB1_2 Depth=1
	global_load_dword v54, v[0:1], off offset:24
	s_waitcnt vmcnt(0)
	v_and_b32_e32 v0, 0xffffff, v54
	s_nop 0
	v_readfirstlane_b32 m0, v0
	buffer_wbl2 sc0 sc1
	global_store_dwordx2 v[2:3], v[54:55], off sc0 sc1
	s_sendmsg sendmsg(MSG_INTERRUPT)
.LBB1_20:                               ;   in Loop: Header=BB1_2 Depth=1
	s_or_b64 exec, exec, s[4:5]
	v_mov_b32_e32 v57, v55
	v_lshl_add_u64 v[0:1], v[6:7], 0, v[56:57]
	s_branch .LBB1_24
.LBB1_21:                               ;   in Loop: Header=BB1_24 Depth=2
	s_or_b64 exec, exec, s[4:5]
	v_readfirstlane_b32 s4, v2
	s_cmp_eq_u32 s4, 0
	s_cbranch_scc1 .LBB1_23
; %bb.22:                               ;   in Loop: Header=BB1_24 Depth=2
	s_sleep 1
	s_cbranch_execnz .LBB1_24
	s_branch .LBB1_26
.LBB1_23:                               ;   in Loop: Header=BB1_2 Depth=1
	s_branch .LBB1_26
.LBB1_24:                               ;   Parent Loop BB1_2 Depth=1
                                        ; =>  This Inner Loop Header: Depth=2
	v_mov_b32_e32 v2, 1
	s_and_saveexec_b64 s[4:5], s[0:1]
	s_cbranch_execz .LBB1_21
; %bb.25:                               ;   in Loop: Header=BB1_24 Depth=2
	global_load_dword v2, v[4:5], off offset:20 sc0 sc1
	s_waitcnt vmcnt(0)
	buffer_inv sc0 sc1
	v_and_b32_e32 v2, 1, v2
	s_branch .LBB1_21
.LBB1_26:                               ;   in Loop: Header=BB1_2 Depth=1
	global_load_dwordx2 v[52:53], v[0:1], off
	s_and_saveexec_b64 s[4:5], s[0:1]
	s_cbranch_execz .LBB1_30
; %bb.27:                               ;   in Loop: Header=BB1_2 Depth=1
	global_load_dwordx2 v[4:5], v55, s[26:27] offset:40
	global_load_dwordx2 v[6:7], v55, s[26:27] offset:24 sc0 sc1
	global_load_dwordx2 v[8:9], v55, s[26:27]
	s_waitcnt vmcnt(2)
	v_lshl_add_u64 v[0:1], v[4:5], 0, 1
	v_lshl_add_u64 v[10:11], v[0:1], 0, s[2:3]
	v_cmp_eq_u64_e32 vcc, 0, v[10:11]
	s_waitcnt vmcnt(1)
	v_mov_b32_e32 v2, v6
	v_cndmask_b32_e32 v1, v11, v1, vcc
	v_cndmask_b32_e32 v0, v10, v0, vcc
	v_and_b32_e32 v3, v1, v5
	v_and_b32_e32 v4, v0, v4
	v_mul_lo_u32 v3, v3, 24
	v_mul_hi_u32 v5, v4, 24
	v_mul_lo_u32 v4, v4, 24
	v_add_u32_e32 v5, v5, v3
	s_waitcnt vmcnt(0)
	v_lshl_add_u64 v[4:5], v[8:9], 0, v[4:5]
	global_store_dwordx2 v[4:5], v[6:7], off
	v_mov_b32_e32 v3, v7
	buffer_wbl2 sc0 sc1
	s_waitcnt vmcnt(0)
	global_atomic_cmpswap_x2 v[2:3], v55, v[0:3], s[26:27] offset:24 sc0 sc1
	s_waitcnt vmcnt(0)
	v_cmp_ne_u64_e32 vcc, v[2:3], v[6:7]
	s_and_b64 exec, exec, vcc
	s_cbranch_execz .LBB1_30
; %bb.28:                               ;   in Loop: Header=BB1_2 Depth=1
	s_mov_b64 s[0:1], 0
.LBB1_29:                               ;   Parent Loop BB1_2 Depth=1
                                        ; =>  This Inner Loop Header: Depth=2
	s_sleep 1
	global_store_dwordx2 v[4:5], v[2:3], off
	buffer_wbl2 sc0 sc1
	s_waitcnt vmcnt(0)
	global_atomic_cmpswap_x2 v[6:7], v55, v[0:3], s[26:27] offset:24 sc0 sc1
	s_waitcnt vmcnt(0)
	v_cmp_eq_u64_e32 vcc, v[6:7], v[2:3]
	s_or_b64 s[0:1], vcc, s[0:1]
	v_mov_b64_e32 v[2:3], v[6:7]
	s_andn2_b64 exec, exec, s[0:1]
	s_cbranch_execnz .LBB1_29
.LBB1_30:                               ;   in Loop: Header=BB1_2 Depth=1
	s_or_b64 exec, exec, s[4:5]
	s_and_b64 vcc, exec, s[24:25]
	s_cbranch_vccz .LBB1_115
; %bb.31:                               ;   in Loop: Header=BB1_2 Depth=1
	s_waitcnt vmcnt(0)
	v_and_b32_e32 v20, 2, v52
	v_and_b32_e32 v0, -3, v52
	v_mov_b32_e32 v1, v53
	s_mov_b64 s[4:5], 4
	s_getpc_b64 s[2:3]
	s_add_u32 s2, s2, .str.7@rel32@lo+4
	s_addc_u32 s3, s3, .str.7@rel32@hi+12
	s_branch .LBB1_33
.LBB1_32:                               ;   in Loop: Header=BB1_33 Depth=2
	s_or_b64 exec, exec, s[10:11]
	s_sub_u32 s4, s4, s6
	s_subb_u32 s5, s5, s7
	s_add_u32 s2, s2, s6
	s_addc_u32 s3, s3, s7
	s_cmp_lg_u64 s[4:5], 0
	s_cbranch_scc0 .LBB1_114
.LBB1_33:                               ;   Parent Loop BB1_2 Depth=1
                                        ; =>  This Loop Header: Depth=2
                                        ;       Child Loop BB1_36 Depth 3
                                        ;       Child Loop BB1_43 Depth 3
	;; [unrolled: 1-line block ×11, first 2 shown]
	v_cmp_lt_u64_e64 s[0:1], s[4:5], 56
	s_and_b64 s[0:1], s[0:1], exec
	v_cmp_gt_u64_e64 s[0:1], s[4:5], 7
	s_cselect_b32 s7, s5, 0
	s_cselect_b32 s6, s4, 56
	s_and_b64 vcc, exec, s[0:1]
	s_cbranch_vccnz .LBB1_38
; %bb.34:                               ;   in Loop: Header=BB1_33 Depth=2
	s_mov_b64 s[0:1], 0
	s_cmp_eq_u64 s[4:5], 0
	s_waitcnt vmcnt(0)
	v_mov_b64_e32 v[2:3], 0
	s_cbranch_scc1 .LBB1_37
; %bb.35:                               ;   in Loop: Header=BB1_33 Depth=2
	s_lshl_b64 s[8:9], s[6:7], 3
	s_mov_b64 s[10:11], 0
	v_mov_b64_e32 v[2:3], 0
	s_mov_b64 s[12:13], s[2:3]
.LBB1_36:                               ;   Parent Loop BB1_2 Depth=1
                                        ;     Parent Loop BB1_33 Depth=2
                                        ; =>    This Inner Loop Header: Depth=3
	global_load_ubyte v4, v55, s[12:13]
	s_waitcnt vmcnt(0)
	v_and_b32_e32 v54, 0xffff, v4
	v_lshlrev_b64 v[4:5], s10, v[54:55]
	s_add_u32 s10, s10, 8
	s_addc_u32 s11, s11, 0
	s_add_u32 s12, s12, 1
	s_addc_u32 s13, s13, 0
	v_or_b32_e32 v2, v4, v2
	s_cmp_lg_u32 s8, s10
	v_or_b32_e32 v3, v5, v3
	s_cbranch_scc1 .LBB1_36
.LBB1_37:                               ;   in Loop: Header=BB1_33 Depth=2
	s_mov_b32 s12, 0
	s_andn2_b64 vcc, exec, s[0:1]
	s_mov_b64 s[0:1], s[2:3]
	s_cbranch_vccz .LBB1_39
	s_branch .LBB1_40
.LBB1_38:                               ;   in Loop: Header=BB1_33 Depth=2
                                        ; implicit-def: $vgpr2_vgpr3
                                        ; implicit-def: $sgpr12
	s_mov_b64 s[0:1], s[2:3]
.LBB1_39:                               ;   in Loop: Header=BB1_33 Depth=2
	global_load_dwordx2 v[2:3], v55, s[2:3]
	s_add_i32 s12, s6, -8
	s_add_u32 s0, s2, 8
	s_addc_u32 s1, s3, 0
.LBB1_40:                               ;   in Loop: Header=BB1_33 Depth=2
	s_cmp_gt_u32 s12, 7
	s_cbranch_scc1 .LBB1_44
; %bb.41:                               ;   in Loop: Header=BB1_33 Depth=2
	s_cmp_eq_u32 s12, 0
	s_cbranch_scc1 .LBB1_45
; %bb.42:                               ;   in Loop: Header=BB1_33 Depth=2
	s_mov_b64 s[8:9], 0
	v_mov_b64_e32 v[4:5], 0
	s_mov_b64 s[10:11], 0
.LBB1_43:                               ;   Parent Loop BB1_2 Depth=1
                                        ;     Parent Loop BB1_33 Depth=2
                                        ; =>    This Inner Loop Header: Depth=3
	s_add_u32 s14, s0, s10
	s_addc_u32 s15, s1, s11
	global_load_ubyte v6, v55, s[14:15]
	s_add_u32 s10, s10, 1
	s_addc_u32 s11, s11, 0
	s_waitcnt vmcnt(0)
	v_and_b32_e32 v54, 0xffff, v6
	v_lshlrev_b64 v[6:7], s8, v[54:55]
	s_add_u32 s8, s8, 8
	s_addc_u32 s9, s9, 0
	v_or_b32_e32 v4, v6, v4
	s_cmp_lg_u32 s12, s10
	v_or_b32_e32 v5, v7, v5
	s_cbranch_scc1 .LBB1_43
	s_branch .LBB1_46
.LBB1_44:                               ;   in Loop: Header=BB1_33 Depth=2
                                        ; implicit-def: $vgpr4_vgpr5
                                        ; implicit-def: $sgpr13
	s_branch .LBB1_47
.LBB1_45:                               ;   in Loop: Header=BB1_33 Depth=2
	v_mov_b64_e32 v[4:5], 0
.LBB1_46:                               ;   in Loop: Header=BB1_33 Depth=2
	s_mov_b32 s13, 0
	s_cbranch_execnz .LBB1_48
.LBB1_47:                               ;   in Loop: Header=BB1_33 Depth=2
	global_load_dwordx2 v[4:5], v55, s[0:1]
	s_add_i32 s13, s12, -8
	s_add_u32 s0, s0, 8
	s_addc_u32 s1, s1, 0
.LBB1_48:                               ;   in Loop: Header=BB1_33 Depth=2
	s_cmp_gt_u32 s13, 7
	s_cbranch_scc1 .LBB1_52
; %bb.49:                               ;   in Loop: Header=BB1_33 Depth=2
	s_cmp_eq_u32 s13, 0
	s_cbranch_scc1 .LBB1_53
; %bb.50:                               ;   in Loop: Header=BB1_33 Depth=2
	s_mov_b64 s[8:9], 0
	v_mov_b64_e32 v[6:7], 0
	s_mov_b64 s[10:11], 0
.LBB1_51:                               ;   Parent Loop BB1_2 Depth=1
                                        ;     Parent Loop BB1_33 Depth=2
                                        ; =>    This Inner Loop Header: Depth=3
	s_add_u32 s14, s0, s10
	s_addc_u32 s15, s1, s11
	global_load_ubyte v8, v55, s[14:15]
	s_add_u32 s10, s10, 1
	s_addc_u32 s11, s11, 0
	s_waitcnt vmcnt(0)
	v_and_b32_e32 v54, 0xffff, v8
	v_lshlrev_b64 v[8:9], s8, v[54:55]
	s_add_u32 s8, s8, 8
	s_addc_u32 s9, s9, 0
	v_or_b32_e32 v6, v8, v6
	s_cmp_lg_u32 s13, s10
	v_or_b32_e32 v7, v9, v7
	s_cbranch_scc1 .LBB1_51
	s_branch .LBB1_54
.LBB1_52:                               ;   in Loop: Header=BB1_33 Depth=2
                                        ; implicit-def: $sgpr12
	s_branch .LBB1_55
.LBB1_53:                               ;   in Loop: Header=BB1_33 Depth=2
	v_mov_b64_e32 v[6:7], 0
.LBB1_54:                               ;   in Loop: Header=BB1_33 Depth=2
	s_mov_b32 s12, 0
	s_cbranch_execnz .LBB1_56
.LBB1_55:                               ;   in Loop: Header=BB1_33 Depth=2
	global_load_dwordx2 v[6:7], v55, s[0:1]
	s_add_i32 s12, s13, -8
	s_add_u32 s0, s0, 8
	s_addc_u32 s1, s1, 0
.LBB1_56:                               ;   in Loop: Header=BB1_33 Depth=2
	s_cmp_gt_u32 s12, 7
	s_cbranch_scc1 .LBB1_60
; %bb.57:                               ;   in Loop: Header=BB1_33 Depth=2
	s_cmp_eq_u32 s12, 0
	s_cbranch_scc1 .LBB1_61
; %bb.58:                               ;   in Loop: Header=BB1_33 Depth=2
	s_mov_b64 s[8:9], 0
	v_mov_b64_e32 v[8:9], 0
	s_mov_b64 s[10:11], 0
.LBB1_59:                               ;   Parent Loop BB1_2 Depth=1
                                        ;     Parent Loop BB1_33 Depth=2
                                        ; =>    This Inner Loop Header: Depth=3
	s_add_u32 s14, s0, s10
	s_addc_u32 s15, s1, s11
	global_load_ubyte v10, v55, s[14:15]
	s_add_u32 s10, s10, 1
	s_addc_u32 s11, s11, 0
	s_waitcnt vmcnt(0)
	v_and_b32_e32 v54, 0xffff, v10
	v_lshlrev_b64 v[10:11], s8, v[54:55]
	s_add_u32 s8, s8, 8
	s_addc_u32 s9, s9, 0
	v_or_b32_e32 v8, v10, v8
	s_cmp_lg_u32 s12, s10
	v_or_b32_e32 v9, v11, v9
	s_cbranch_scc1 .LBB1_59
	s_branch .LBB1_62
.LBB1_60:                               ;   in Loop: Header=BB1_33 Depth=2
                                        ; implicit-def: $vgpr8_vgpr9
                                        ; implicit-def: $sgpr13
	s_branch .LBB1_63
.LBB1_61:                               ;   in Loop: Header=BB1_33 Depth=2
	v_mov_b64_e32 v[8:9], 0
.LBB1_62:                               ;   in Loop: Header=BB1_33 Depth=2
	s_mov_b32 s13, 0
	s_cbranch_execnz .LBB1_64
.LBB1_63:                               ;   in Loop: Header=BB1_33 Depth=2
	global_load_dwordx2 v[8:9], v55, s[0:1]
	s_add_i32 s13, s12, -8
	s_add_u32 s0, s0, 8
	s_addc_u32 s1, s1, 0
.LBB1_64:                               ;   in Loop: Header=BB1_33 Depth=2
	s_cmp_gt_u32 s13, 7
	s_cbranch_scc1 .LBB1_68
; %bb.65:                               ;   in Loop: Header=BB1_33 Depth=2
	s_cmp_eq_u32 s13, 0
	s_cbranch_scc1 .LBB1_69
; %bb.66:                               ;   in Loop: Header=BB1_33 Depth=2
	s_mov_b64 s[8:9], 0
	v_mov_b64_e32 v[10:11], 0
	s_mov_b64 s[10:11], 0
.LBB1_67:                               ;   Parent Loop BB1_2 Depth=1
                                        ;     Parent Loop BB1_33 Depth=2
                                        ; =>    This Inner Loop Header: Depth=3
	s_add_u32 s14, s0, s10
	s_addc_u32 s15, s1, s11
	global_load_ubyte v12, v55, s[14:15]
	s_add_u32 s10, s10, 1
	s_addc_u32 s11, s11, 0
	s_waitcnt vmcnt(0)
	v_and_b32_e32 v54, 0xffff, v12
	v_lshlrev_b64 v[12:13], s8, v[54:55]
	s_add_u32 s8, s8, 8
	s_addc_u32 s9, s9, 0
	v_or_b32_e32 v10, v12, v10
	s_cmp_lg_u32 s13, s10
	v_or_b32_e32 v11, v13, v11
	s_cbranch_scc1 .LBB1_67
	s_branch .LBB1_70
.LBB1_68:                               ;   in Loop: Header=BB1_33 Depth=2
                                        ; implicit-def: $sgpr12
	s_branch .LBB1_71
.LBB1_69:                               ;   in Loop: Header=BB1_33 Depth=2
	v_mov_b64_e32 v[10:11], 0
.LBB1_70:                               ;   in Loop: Header=BB1_33 Depth=2
	s_mov_b32 s12, 0
	s_cbranch_execnz .LBB1_72
.LBB1_71:                               ;   in Loop: Header=BB1_33 Depth=2
	global_load_dwordx2 v[10:11], v55, s[0:1]
	s_add_i32 s12, s13, -8
	s_add_u32 s0, s0, 8
	s_addc_u32 s1, s1, 0
.LBB1_72:                               ;   in Loop: Header=BB1_33 Depth=2
	s_cmp_gt_u32 s12, 7
	s_cbranch_scc1 .LBB1_76
; %bb.73:                               ;   in Loop: Header=BB1_33 Depth=2
	s_cmp_eq_u32 s12, 0
	s_cbranch_scc1 .LBB1_77
; %bb.74:                               ;   in Loop: Header=BB1_33 Depth=2
	s_mov_b64 s[8:9], 0
	v_mov_b64_e32 v[12:13], 0
	s_mov_b64 s[10:11], 0
.LBB1_75:                               ;   Parent Loop BB1_2 Depth=1
                                        ;     Parent Loop BB1_33 Depth=2
                                        ; =>    This Inner Loop Header: Depth=3
	s_add_u32 s14, s0, s10
	s_addc_u32 s15, s1, s11
	global_load_ubyte v14, v55, s[14:15]
	s_add_u32 s10, s10, 1
	s_addc_u32 s11, s11, 0
	s_waitcnt vmcnt(0)
	v_and_b32_e32 v54, 0xffff, v14
	v_lshlrev_b64 v[14:15], s8, v[54:55]
	s_add_u32 s8, s8, 8
	s_addc_u32 s9, s9, 0
	v_or_b32_e32 v12, v14, v12
	s_cmp_lg_u32 s12, s10
	v_or_b32_e32 v13, v15, v13
	s_cbranch_scc1 .LBB1_75
	s_branch .LBB1_78
.LBB1_76:                               ;   in Loop: Header=BB1_33 Depth=2
                                        ; implicit-def: $vgpr12_vgpr13
                                        ; implicit-def: $sgpr13
	s_branch .LBB1_79
.LBB1_77:                               ;   in Loop: Header=BB1_33 Depth=2
	v_mov_b64_e32 v[12:13], 0
.LBB1_78:                               ;   in Loop: Header=BB1_33 Depth=2
	s_mov_b32 s13, 0
	s_cbranch_execnz .LBB1_80
.LBB1_79:                               ;   in Loop: Header=BB1_33 Depth=2
	global_load_dwordx2 v[12:13], v55, s[0:1]
	s_add_i32 s13, s12, -8
	s_add_u32 s0, s0, 8
	s_addc_u32 s1, s1, 0
.LBB1_80:                               ;   in Loop: Header=BB1_33 Depth=2
	s_cmp_gt_u32 s13, 7
	s_cbranch_scc1 .LBB1_84
; %bb.81:                               ;   in Loop: Header=BB1_33 Depth=2
	s_cmp_eq_u32 s13, 0
	s_cbranch_scc1 .LBB1_85
; %bb.82:                               ;   in Loop: Header=BB1_33 Depth=2
	s_mov_b64 s[8:9], 0
	v_mov_b64_e32 v[14:15], 0
	s_mov_b64 s[10:11], s[0:1]
.LBB1_83:                               ;   Parent Loop BB1_2 Depth=1
                                        ;     Parent Loop BB1_33 Depth=2
                                        ; =>    This Inner Loop Header: Depth=3
	global_load_ubyte v16, v55, s[10:11]
	s_add_i32 s13, s13, -1
	s_waitcnt vmcnt(0)
	v_and_b32_e32 v54, 0xffff, v16
	v_lshlrev_b64 v[16:17], s8, v[54:55]
	s_add_u32 s8, s8, 8
	s_addc_u32 s9, s9, 0
	s_add_u32 s10, s10, 1
	s_addc_u32 s11, s11, 0
	v_or_b32_e32 v14, v16, v14
	s_cmp_lg_u32 s13, 0
	v_or_b32_e32 v15, v17, v15
	s_cbranch_scc1 .LBB1_83
	s_branch .LBB1_86
.LBB1_84:                               ;   in Loop: Header=BB1_33 Depth=2
	s_branch .LBB1_87
.LBB1_85:                               ;   in Loop: Header=BB1_33 Depth=2
	v_mov_b64_e32 v[14:15], 0
.LBB1_86:                               ;   in Loop: Header=BB1_33 Depth=2
	s_cbranch_execnz .LBB1_88
.LBB1_87:                               ;   in Loop: Header=BB1_33 Depth=2
	global_load_dwordx2 v[14:15], v55, s[0:1]
.LBB1_88:                               ;   in Loop: Header=BB1_33 Depth=2
	v_readfirstlane_b32 s0, v46
	v_mov_b64_e32 v[22:23], 0
	s_nop 0
	v_cmp_eq_u32_e64 s[0:1], s0, v46
	s_and_saveexec_b64 s[8:9], s[0:1]
	s_cbranch_execz .LBB1_94
; %bb.89:                               ;   in Loop: Header=BB1_33 Depth=2
	global_load_dwordx2 v[18:19], v55, s[26:27] offset:24 sc0 sc1
	s_waitcnt vmcnt(0)
	buffer_inv sc0 sc1
	global_load_dwordx2 v[16:17], v55, s[26:27] offset:40
	global_load_dwordx2 v[22:23], v55, s[26:27]
	s_waitcnt vmcnt(1)
	v_and_b32_e32 v16, v16, v18
	v_and_b32_e32 v17, v17, v19
	v_mul_lo_u32 v17, v17, 24
	v_mul_hi_u32 v24, v16, 24
	v_add_u32_e32 v17, v24, v17
	v_mul_lo_u32 v16, v16, 24
	s_waitcnt vmcnt(0)
	v_lshl_add_u64 v[16:17], v[22:23], 0, v[16:17]
	global_load_dwordx2 v[16:17], v[16:17], off sc0 sc1
	s_waitcnt vmcnt(0)
	global_atomic_cmpswap_x2 v[22:23], v55, v[16:19], s[26:27] offset:24 sc0 sc1
	s_waitcnt vmcnt(0)
	buffer_inv sc0 sc1
	v_cmp_ne_u64_e32 vcc, v[22:23], v[18:19]
	s_and_saveexec_b64 s[10:11], vcc
	s_cbranch_execz .LBB1_93
; %bb.90:                               ;   in Loop: Header=BB1_33 Depth=2
	s_mov_b64 s[12:13], 0
.LBB1_91:                               ;   Parent Loop BB1_2 Depth=1
                                        ;     Parent Loop BB1_33 Depth=2
                                        ; =>    This Inner Loop Header: Depth=3
	s_sleep 1
	global_load_dwordx2 v[16:17], v55, s[26:27] offset:40
	global_load_dwordx2 v[24:25], v55, s[26:27]
	v_mov_b64_e32 v[18:19], v[22:23]
	s_waitcnt vmcnt(1)
	v_and_b32_e32 v16, v16, v18
	v_and_b32_e32 v23, v17, v19
	s_waitcnt vmcnt(0)
	v_mad_u64_u32 v[16:17], s[14:15], v16, 24, v[24:25]
	v_mov_b32_e32 v22, v17
	v_mad_u64_u32 v[22:23], s[14:15], v23, 24, v[22:23]
	v_mov_b32_e32 v17, v22
	global_load_dwordx2 v[16:17], v[16:17], off sc0 sc1
	s_waitcnt vmcnt(0)
	global_atomic_cmpswap_x2 v[22:23], v55, v[16:19], s[26:27] offset:24 sc0 sc1
	s_waitcnt vmcnt(0)
	buffer_inv sc0 sc1
	v_cmp_eq_u64_e32 vcc, v[22:23], v[18:19]
	s_or_b64 s[12:13], vcc, s[12:13]
	s_andn2_b64 exec, exec, s[12:13]
	s_cbranch_execnz .LBB1_91
; %bb.92:                               ;   in Loop: Header=BB1_33 Depth=2
	s_or_b64 exec, exec, s[12:13]
.LBB1_93:                               ;   in Loop: Header=BB1_33 Depth=2
	s_or_b64 exec, exec, s[10:11]
.LBB1_94:                               ;   in Loop: Header=BB1_33 Depth=2
	s_or_b64 exec, exec, s[8:9]
	global_load_dwordx2 v[24:25], v55, s[26:27] offset:40
	global_load_dwordx4 v[16:19], v55, s[26:27]
	v_readfirstlane_b32 s8, v22
	v_readfirstlane_b32 s9, v23
	s_mov_b64 s[10:11], exec
	s_waitcnt vmcnt(1)
	v_readfirstlane_b32 s12, v24
	v_readfirstlane_b32 s13, v25
	s_and_b64 s[12:13], s[8:9], s[12:13]
	s_mul_i32 s14, s13, 24
	s_mul_hi_u32 s15, s12, 24
	s_add_i32 s15, s15, s14
	s_mul_i32 s14, s12, 24
	s_waitcnt vmcnt(0)
	v_lshl_add_u64 v[22:23], v[16:17], 0, s[14:15]
	s_and_saveexec_b64 s[14:15], s[0:1]
	s_cbranch_execz .LBB1_96
; %bb.95:                               ;   in Loop: Header=BB1_33 Depth=2
	v_mov_b64_e32 v[48:49], s[10:11]
	global_store_dwordx4 v[22:23], v[48:51], off offset:8
.LBB1_96:                               ;   in Loop: Header=BB1_33 Depth=2
	s_or_b64 exec, exec, s[14:15]
	s_lshl_b64 s[10:11], s[12:13], 12
	v_lshl_add_u64 v[18:19], v[18:19], 0, s[10:11]
	v_or_b32_e32 v25, v0, v20
	v_cmp_gt_u64_e64 vcc, s[4:5], 56
	s_lshl_b32 s10, s6, 2
	s_add_i32 s10, s10, 28
	v_cndmask_b32_e32 v0, v25, v0, vcc
	v_or_b32_e32 v24, 0, v1
	s_and_b32 s10, s10, 0x1e0
	v_and_b32_e32 v0, 0xffffff1f, v0
	v_cndmask_b32_e32 v1, v24, v1, vcc
	v_or_b32_e32 v0, s10, v0
	v_lshlrev_b32_e32 v54, 6, v46
	v_readfirstlane_b32 s10, v18
	v_readfirstlane_b32 s11, v19
	s_nop 4
	global_store_dwordx4 v54, v[0:3], s[10:11]
	global_store_dwordx4 v54, v[4:7], s[10:11] offset:16
	global_store_dwordx4 v54, v[8:11], s[10:11] offset:32
	;; [unrolled: 1-line block ×3, first 2 shown]
	s_and_saveexec_b64 s[10:11], s[0:1]
	s_cbranch_execz .LBB1_104
; %bb.97:                               ;   in Loop: Header=BB1_33 Depth=2
	global_load_dwordx2 v[8:9], v55, s[26:27] offset:32 sc0 sc1
	global_load_dwordx2 v[0:1], v55, s[26:27] offset:40
	v_mov_b32_e32 v6, s8
	v_mov_b32_e32 v7, s9
	s_waitcnt vmcnt(0)
	v_readfirstlane_b32 s12, v0
	v_readfirstlane_b32 s13, v1
	s_and_b64 s[12:13], s[12:13], s[8:9]
	s_mul_i32 s13, s13, 24
	s_mul_hi_u32 s14, s12, 24
	s_mul_i32 s12, s12, 24
	s_add_i32 s13, s14, s13
	v_lshl_add_u64 v[4:5], v[16:17], 0, s[12:13]
	global_store_dwordx2 v[4:5], v[8:9], off
	buffer_wbl2 sc0 sc1
	s_waitcnt vmcnt(0)
	global_atomic_cmpswap_x2 v[2:3], v55, v[6:9], s[26:27] offset:32 sc0 sc1
	s_waitcnt vmcnt(0)
	v_cmp_ne_u64_e32 vcc, v[2:3], v[8:9]
	s_and_saveexec_b64 s[12:13], vcc
	s_cbranch_execz .LBB1_100
; %bb.98:                               ;   in Loop: Header=BB1_33 Depth=2
	s_mov_b64 s[14:15], 0
.LBB1_99:                               ;   Parent Loop BB1_2 Depth=1
                                        ;     Parent Loop BB1_33 Depth=2
                                        ; =>    This Inner Loop Header: Depth=3
	s_sleep 1
	global_store_dwordx2 v[4:5], v[2:3], off
	v_mov_b32_e32 v0, s8
	v_mov_b32_e32 v1, s9
	buffer_wbl2 sc0 sc1
	s_waitcnt vmcnt(0)
	global_atomic_cmpswap_x2 v[0:1], v55, v[0:3], s[26:27] offset:32 sc0 sc1
	s_waitcnt vmcnt(0)
	v_cmp_eq_u64_e32 vcc, v[0:1], v[2:3]
	s_or_b64 s[14:15], vcc, s[14:15]
	v_mov_b64_e32 v[2:3], v[0:1]
	s_andn2_b64 exec, exec, s[14:15]
	s_cbranch_execnz .LBB1_99
.LBB1_100:                              ;   in Loop: Header=BB1_33 Depth=2
	s_or_b64 exec, exec, s[12:13]
	global_load_dwordx2 v[0:1], v55, s[26:27] offset:16
	s_mov_b64 s[14:15], exec
	v_mbcnt_lo_u32_b32 v2, s14, 0
	v_mbcnt_hi_u32_b32 v2, s15, v2
	v_cmp_eq_u32_e32 vcc, 0, v2
	s_and_saveexec_b64 s[12:13], vcc
	s_cbranch_execz .LBB1_102
; %bb.101:                              ;   in Loop: Header=BB1_33 Depth=2
	s_bcnt1_i32_b64 s14, s[14:15]
	v_mov_b32_e32 v2, s14
	v_mov_b32_e32 v3, v55
	buffer_wbl2 sc0 sc1
	s_waitcnt vmcnt(0)
	global_atomic_add_x2 v[0:1], v[2:3], off offset:8 sc1
.LBB1_102:                              ;   in Loop: Header=BB1_33 Depth=2
	s_or_b64 exec, exec, s[12:13]
	s_waitcnt vmcnt(0)
	global_load_dwordx2 v[2:3], v[0:1], off offset:16
	s_waitcnt vmcnt(0)
	v_cmp_eq_u64_e32 vcc, 0, v[2:3]
	s_cbranch_vccnz .LBB1_104
; %bb.103:                              ;   in Loop: Header=BB1_33 Depth=2
	global_load_dword v0, v[0:1], off offset:24
	v_mov_b32_e32 v1, v55
	buffer_wbl2 sc0 sc1
	s_waitcnt vmcnt(0)
	global_store_dwordx2 v[2:3], v[0:1], off sc0 sc1
	v_and_b32_e32 v0, 0xffffff, v0
	s_nop 0
	v_readfirstlane_b32 m0, v0
	s_sendmsg sendmsg(MSG_INTERRUPT)
.LBB1_104:                              ;   in Loop: Header=BB1_33 Depth=2
	s_or_b64 exec, exec, s[10:11]
	v_lshl_add_u64 v[0:1], v[18:19], 0, v[54:55]
	s_branch .LBB1_108
.LBB1_105:                              ;   in Loop: Header=BB1_108 Depth=3
	s_or_b64 exec, exec, s[10:11]
	v_readfirstlane_b32 s10, v2
	s_cmp_eq_u32 s10, 0
	s_cbranch_scc1 .LBB1_107
; %bb.106:                              ;   in Loop: Header=BB1_108 Depth=3
	s_sleep 1
	s_cbranch_execnz .LBB1_108
	s_branch .LBB1_110
.LBB1_107:                              ;   in Loop: Header=BB1_33 Depth=2
	s_branch .LBB1_110
.LBB1_108:                              ;   Parent Loop BB1_2 Depth=1
                                        ;     Parent Loop BB1_33 Depth=2
                                        ; =>    This Inner Loop Header: Depth=3
	v_mov_b32_e32 v2, 1
	s_and_saveexec_b64 s[10:11], s[0:1]
	s_cbranch_execz .LBB1_105
; %bb.109:                              ;   in Loop: Header=BB1_108 Depth=3
	global_load_dword v2, v[22:23], off offset:20 sc0 sc1
	s_waitcnt vmcnt(0)
	buffer_inv sc0 sc1
	v_and_b32_e32 v2, 1, v2
	s_branch .LBB1_105
.LBB1_110:                              ;   in Loop: Header=BB1_33 Depth=2
	global_load_dwordx4 v[0:3], v[0:1], off
	s_and_saveexec_b64 s[10:11], s[0:1]
	s_cbranch_execz .LBB1_32
; %bb.111:                              ;   in Loop: Header=BB1_33 Depth=2
	global_load_dwordx2 v[6:7], v55, s[26:27] offset:40
	global_load_dwordx2 v[8:9], v55, s[26:27] offset:24 sc0 sc1
	global_load_dwordx2 v[10:11], v55, s[26:27]
	s_waitcnt vmcnt(2)
	v_lshl_add_u64 v[2:3], v[6:7], 0, 1
	v_lshl_add_u64 v[12:13], v[2:3], 0, s[8:9]
	v_cmp_eq_u64_e32 vcc, 0, v[12:13]
	s_waitcnt vmcnt(1)
	v_mov_b32_e32 v4, v8
	v_cndmask_b32_e32 v3, v13, v3, vcc
	v_cndmask_b32_e32 v2, v12, v2, vcc
	v_and_b32_e32 v5, v3, v7
	v_and_b32_e32 v6, v2, v6
	v_mul_lo_u32 v5, v5, 24
	v_mul_hi_u32 v7, v6, 24
	v_mul_lo_u32 v6, v6, 24
	v_add_u32_e32 v7, v7, v5
	s_waitcnt vmcnt(0)
	v_lshl_add_u64 v[6:7], v[10:11], 0, v[6:7]
	global_store_dwordx2 v[6:7], v[8:9], off
	v_mov_b32_e32 v5, v9
	buffer_wbl2 sc0 sc1
	s_waitcnt vmcnt(0)
	global_atomic_cmpswap_x2 v[4:5], v55, v[2:5], s[26:27] offset:24 sc0 sc1
	s_waitcnt vmcnt(0)
	v_cmp_ne_u64_e32 vcc, v[4:5], v[8:9]
	s_and_b64 exec, exec, vcc
	s_cbranch_execz .LBB1_32
; %bb.112:                              ;   in Loop: Header=BB1_33 Depth=2
	s_mov_b64 s[0:1], 0
.LBB1_113:                              ;   Parent Loop BB1_2 Depth=1
                                        ;     Parent Loop BB1_33 Depth=2
                                        ; =>    This Inner Loop Header: Depth=3
	s_sleep 1
	global_store_dwordx2 v[6:7], v[4:5], off
	buffer_wbl2 sc0 sc1
	s_waitcnt vmcnt(0)
	global_atomic_cmpswap_x2 v[8:9], v55, v[2:5], s[26:27] offset:24 sc0 sc1
	s_waitcnt vmcnt(0)
	v_cmp_eq_u64_e32 vcc, v[8:9], v[4:5]
	s_or_b64 s[0:1], vcc, s[0:1]
	v_mov_b64_e32 v[4:5], v[8:9]
	s_andn2_b64 exec, exec, s[0:1]
	s_cbranch_execnz .LBB1_113
	s_branch .LBB1_32
.LBB1_114:                              ;   in Loop: Header=BB1_2 Depth=1
	s_branch .LBB1_143
.LBB1_115:                              ;   in Loop: Header=BB1_2 Depth=1
                                        ; implicit-def: $vgpr0_vgpr1
	s_cbranch_execz .LBB1_143
; %bb.116:                              ;   in Loop: Header=BB1_2 Depth=1
	v_readfirstlane_b32 s0, v46
	v_mov_b64_e32 v[4:5], 0
	s_nop 0
	v_cmp_eq_u32_e64 s[0:1], s0, v46
	s_and_saveexec_b64 s[2:3], s[0:1]
	s_cbranch_execz .LBB1_122
; %bb.117:                              ;   in Loop: Header=BB1_2 Depth=1
	global_load_dwordx2 v[2:3], v55, s[26:27] offset:24 sc0 sc1
	s_waitcnt vmcnt(0)
	buffer_inv sc0 sc1
	global_load_dwordx2 v[0:1], v55, s[26:27] offset:40
	global_load_dwordx2 v[4:5], v55, s[26:27]
	s_waitcnt vmcnt(1)
	v_and_b32_e32 v0, v0, v2
	v_and_b32_e32 v1, v1, v3
	v_mul_lo_u32 v1, v1, 24
	v_mul_hi_u32 v6, v0, 24
	v_add_u32_e32 v1, v6, v1
	v_mul_lo_u32 v0, v0, 24
	s_waitcnt vmcnt(0)
	v_lshl_add_u64 v[0:1], v[4:5], 0, v[0:1]
	global_load_dwordx2 v[0:1], v[0:1], off sc0 sc1
	s_waitcnt vmcnt(0)
	global_atomic_cmpswap_x2 v[4:5], v55, v[0:3], s[26:27] offset:24 sc0 sc1
	s_waitcnt vmcnt(0)
	buffer_inv sc0 sc1
	v_cmp_ne_u64_e32 vcc, v[4:5], v[2:3]
	s_and_saveexec_b64 s[4:5], vcc
	s_cbranch_execz .LBB1_121
; %bb.118:                              ;   in Loop: Header=BB1_2 Depth=1
	s_mov_b64 s[6:7], 0
.LBB1_119:                              ;   Parent Loop BB1_2 Depth=1
                                        ; =>  This Inner Loop Header: Depth=2
	s_sleep 1
	global_load_dwordx2 v[0:1], v55, s[26:27] offset:40
	global_load_dwordx2 v[6:7], v55, s[26:27]
	v_mov_b64_e32 v[2:3], v[4:5]
	s_waitcnt vmcnt(1)
	v_and_b32_e32 v0, v0, v2
	v_and_b32_e32 v5, v1, v3
	s_waitcnt vmcnt(0)
	v_mad_u64_u32 v[0:1], s[8:9], v0, 24, v[6:7]
	v_mov_b32_e32 v4, v1
	v_mad_u64_u32 v[4:5], s[8:9], v5, 24, v[4:5]
	v_mov_b32_e32 v1, v4
	global_load_dwordx2 v[0:1], v[0:1], off sc0 sc1
	s_waitcnt vmcnt(0)
	global_atomic_cmpswap_x2 v[4:5], v55, v[0:3], s[26:27] offset:24 sc0 sc1
	s_waitcnt vmcnt(0)
	buffer_inv sc0 sc1
	v_cmp_eq_u64_e32 vcc, v[4:5], v[2:3]
	s_or_b64 s[6:7], vcc, s[6:7]
	s_andn2_b64 exec, exec, s[6:7]
	s_cbranch_execnz .LBB1_119
; %bb.120:                              ;   in Loop: Header=BB1_2 Depth=1
	s_or_b64 exec, exec, s[6:7]
.LBB1_121:                              ;   in Loop: Header=BB1_2 Depth=1
	s_or_b64 exec, exec, s[4:5]
.LBB1_122:                              ;   in Loop: Header=BB1_2 Depth=1
	s_or_b64 exec, exec, s[2:3]
	global_load_dwordx2 v[6:7], v55, s[26:27] offset:40
	global_load_dwordx4 v[0:3], v55, s[26:27]
	v_readfirstlane_b32 s2, v4
	v_readfirstlane_b32 s3, v5
	s_mov_b64 s[4:5], exec
	s_waitcnt vmcnt(1)
	v_readfirstlane_b32 s6, v6
	v_readfirstlane_b32 s7, v7
	s_and_b64 s[6:7], s[2:3], s[6:7]
	s_mul_i32 s8, s7, 24
	s_mul_hi_u32 s9, s6, 24
	s_add_i32 s9, s9, s8
	s_mul_i32 s8, s6, 24
	s_waitcnt vmcnt(0)
	v_lshl_add_u64 v[4:5], v[0:1], 0, s[8:9]
	s_and_saveexec_b64 s[8:9], s[0:1]
	s_cbranch_execz .LBB1_124
; %bb.123:                              ;   in Loop: Header=BB1_2 Depth=1
	v_mov_b64_e32 v[48:49], s[4:5]
	global_store_dwordx4 v[4:5], v[48:51], off offset:8
.LBB1_124:                              ;   in Loop: Header=BB1_2 Depth=1
	s_or_b64 exec, exec, s[8:9]
	s_lshl_b64 s[4:5], s[6:7], 12
	v_lshl_add_u64 v[6:7], v[2:3], 0, s[4:5]
	v_mov_b64_e32 v[10:11], s[20:21]
	v_and_or_b32 v52, v52, s34, 32
	v_lshlrev_b32_e32 v8, 6, v46
	v_mov_b32_e32 v54, v55
	v_readfirstlane_b32 s4, v6
	v_readfirstlane_b32 s5, v7
	v_mov_b64_e32 v[12:13], s[22:23]
	s_nop 3
	global_store_dwordx4 v8, v[52:55], s[4:5]
	global_store_dwordx4 v8, v[10:13], s[4:5] offset:16
	global_store_dwordx4 v8, v[10:13], s[4:5] offset:32
	;; [unrolled: 1-line block ×3, first 2 shown]
	s_and_saveexec_b64 s[4:5], s[0:1]
	s_cbranch_execz .LBB1_132
; %bb.125:                              ;   in Loop: Header=BB1_2 Depth=1
	global_load_dwordx2 v[14:15], v55, s[26:27] offset:32 sc0 sc1
	global_load_dwordx2 v[2:3], v55, s[26:27] offset:40
	v_mov_b32_e32 v12, s2
	v_mov_b32_e32 v13, s3
	s_waitcnt vmcnt(0)
	v_readfirstlane_b32 s6, v2
	v_readfirstlane_b32 s7, v3
	s_and_b64 s[6:7], s[6:7], s[2:3]
	s_mul_i32 s7, s7, 24
	s_mul_hi_u32 s8, s6, 24
	s_mul_i32 s6, s6, 24
	s_add_i32 s7, s8, s7
	v_lshl_add_u64 v[10:11], v[0:1], 0, s[6:7]
	global_store_dwordx2 v[10:11], v[14:15], off
	buffer_wbl2 sc0 sc1
	s_waitcnt vmcnt(0)
	global_atomic_cmpswap_x2 v[2:3], v55, v[12:15], s[26:27] offset:32 sc0 sc1
	s_waitcnt vmcnt(0)
	v_cmp_ne_u64_e32 vcc, v[2:3], v[14:15]
	s_and_saveexec_b64 s[6:7], vcc
	s_cbranch_execz .LBB1_128
; %bb.126:                              ;   in Loop: Header=BB1_2 Depth=1
	s_mov_b64 s[8:9], 0
.LBB1_127:                              ;   Parent Loop BB1_2 Depth=1
                                        ; =>  This Inner Loop Header: Depth=2
	s_sleep 1
	global_store_dwordx2 v[10:11], v[2:3], off
	v_mov_b32_e32 v0, s2
	v_mov_b32_e32 v1, s3
	buffer_wbl2 sc0 sc1
	s_waitcnt vmcnt(0)
	global_atomic_cmpswap_x2 v[0:1], v55, v[0:3], s[26:27] offset:32 sc0 sc1
	s_waitcnt vmcnt(0)
	v_cmp_eq_u64_e32 vcc, v[0:1], v[2:3]
	s_or_b64 s[8:9], vcc, s[8:9]
	v_mov_b64_e32 v[2:3], v[0:1]
	s_andn2_b64 exec, exec, s[8:9]
	s_cbranch_execnz .LBB1_127
.LBB1_128:                              ;   in Loop: Header=BB1_2 Depth=1
	s_or_b64 exec, exec, s[6:7]
	global_load_dwordx2 v[0:1], v55, s[26:27] offset:16
	s_mov_b64 s[8:9], exec
	v_mbcnt_lo_u32_b32 v2, s8, 0
	v_mbcnt_hi_u32_b32 v2, s9, v2
	v_cmp_eq_u32_e32 vcc, 0, v2
	s_and_saveexec_b64 s[6:7], vcc
	s_cbranch_execz .LBB1_130
; %bb.129:                              ;   in Loop: Header=BB1_2 Depth=1
	s_bcnt1_i32_b64 s8, s[8:9]
	v_mov_b32_e32 v54, s8
	buffer_wbl2 sc0 sc1
	s_waitcnt vmcnt(0)
	global_atomic_add_x2 v[0:1], v[54:55], off offset:8 sc1
.LBB1_130:                              ;   in Loop: Header=BB1_2 Depth=1
	s_or_b64 exec, exec, s[6:7]
	s_waitcnt vmcnt(0)
	global_load_dwordx2 v[2:3], v[0:1], off offset:16
	s_waitcnt vmcnt(0)
	v_cmp_eq_u64_e32 vcc, 0, v[2:3]
	s_cbranch_vccnz .LBB1_132
; %bb.131:                              ;   in Loop: Header=BB1_2 Depth=1
	global_load_dword v54, v[0:1], off offset:24
	s_waitcnt vmcnt(0)
	v_and_b32_e32 v0, 0xffffff, v54
	s_nop 0
	v_readfirstlane_b32 m0, v0
	buffer_wbl2 sc0 sc1
	global_store_dwordx2 v[2:3], v[54:55], off sc0 sc1
	s_sendmsg sendmsg(MSG_INTERRUPT)
.LBB1_132:                              ;   in Loop: Header=BB1_2 Depth=1
	s_or_b64 exec, exec, s[4:5]
	v_mov_b32_e32 v9, v55
	v_lshl_add_u64 v[0:1], v[6:7], 0, v[8:9]
	s_branch .LBB1_136
.LBB1_133:                              ;   in Loop: Header=BB1_136 Depth=2
	s_or_b64 exec, exec, s[4:5]
	v_readfirstlane_b32 s4, v2
	s_cmp_eq_u32 s4, 0
	s_cbranch_scc1 .LBB1_135
; %bb.134:                              ;   in Loop: Header=BB1_136 Depth=2
	s_sleep 1
	s_cbranch_execnz .LBB1_136
	s_branch .LBB1_138
.LBB1_135:                              ;   in Loop: Header=BB1_2 Depth=1
	s_branch .LBB1_138
.LBB1_136:                              ;   Parent Loop BB1_2 Depth=1
                                        ; =>  This Inner Loop Header: Depth=2
	v_mov_b32_e32 v2, 1
	s_and_saveexec_b64 s[4:5], s[0:1]
	s_cbranch_execz .LBB1_133
; %bb.137:                              ;   in Loop: Header=BB1_136 Depth=2
	global_load_dword v2, v[4:5], off offset:20 sc0 sc1
	s_waitcnt vmcnt(0)
	buffer_inv sc0 sc1
	v_and_b32_e32 v2, 1, v2
	s_branch .LBB1_133
.LBB1_138:                              ;   in Loop: Header=BB1_2 Depth=1
	global_load_dwordx2 v[0:1], v[0:1], off
	s_and_saveexec_b64 s[4:5], s[0:1]
	s_cbranch_execz .LBB1_142
; %bb.139:                              ;   in Loop: Header=BB1_2 Depth=1
	global_load_dwordx2 v[6:7], v55, s[26:27] offset:40
	global_load_dwordx2 v[8:9], v55, s[26:27] offset:24 sc0 sc1
	global_load_dwordx2 v[10:11], v55, s[26:27]
	s_waitcnt vmcnt(2)
	v_lshl_add_u64 v[2:3], v[6:7], 0, 1
	v_lshl_add_u64 v[12:13], v[2:3], 0, s[2:3]
	v_cmp_eq_u64_e32 vcc, 0, v[12:13]
	s_waitcnt vmcnt(1)
	v_mov_b32_e32 v4, v8
	v_cndmask_b32_e32 v3, v13, v3, vcc
	v_cndmask_b32_e32 v2, v12, v2, vcc
	v_and_b32_e32 v5, v3, v7
	v_and_b32_e32 v6, v2, v6
	v_mul_lo_u32 v5, v5, 24
	v_mul_hi_u32 v7, v6, 24
	v_mul_lo_u32 v6, v6, 24
	v_add_u32_e32 v7, v7, v5
	s_waitcnt vmcnt(0)
	v_lshl_add_u64 v[6:7], v[10:11], 0, v[6:7]
	global_store_dwordx2 v[6:7], v[8:9], off
	v_mov_b32_e32 v5, v9
	buffer_wbl2 sc0 sc1
	s_waitcnt vmcnt(0)
	global_atomic_cmpswap_x2 v[4:5], v55, v[2:5], s[26:27] offset:24 sc0 sc1
	s_waitcnt vmcnt(0)
	v_cmp_ne_u64_e32 vcc, v[4:5], v[8:9]
	s_and_b64 exec, exec, vcc
	s_cbranch_execz .LBB1_142
; %bb.140:                              ;   in Loop: Header=BB1_2 Depth=1
	s_mov_b64 s[0:1], 0
.LBB1_141:                              ;   Parent Loop BB1_2 Depth=1
                                        ; =>  This Inner Loop Header: Depth=2
	s_sleep 1
	global_store_dwordx2 v[6:7], v[4:5], off
	buffer_wbl2 sc0 sc1
	s_waitcnt vmcnt(0)
	global_atomic_cmpswap_x2 v[8:9], v55, v[2:5], s[26:27] offset:24 sc0 sc1
	s_waitcnt vmcnt(0)
	v_cmp_eq_u64_e32 vcc, v[8:9], v[4:5]
	s_or_b64 s[0:1], vcc, s[0:1]
	v_mov_b64_e32 v[4:5], v[8:9]
	s_andn2_b64 exec, exec, s[0:1]
	s_cbranch_execnz .LBB1_141
.LBB1_142:                              ;   in Loop: Header=BB1_2 Depth=1
	s_or_b64 exec, exec, s[4:5]
.LBB1_143:                              ;   in Loop: Header=BB1_2 Depth=1
	v_readfirstlane_b32 s0, v46
	s_waitcnt vmcnt(0)
	v_mov_b64_e32 v[2:3], 0
	v_cmp_eq_u32_e64 s[0:1], s0, v46
	s_and_saveexec_b64 s[2:3], s[0:1]
	s_cbranch_execz .LBB1_149
; %bb.144:                              ;   in Loop: Header=BB1_2 Depth=1
	global_load_dwordx2 v[4:5], v55, s[26:27] offset:24 sc0 sc1
	s_waitcnt vmcnt(0)
	buffer_inv sc0 sc1
	global_load_dwordx2 v[2:3], v55, s[26:27] offset:40
	global_load_dwordx2 v[6:7], v55, s[26:27]
	s_waitcnt vmcnt(1)
	v_and_b32_e32 v2, v2, v4
	v_and_b32_e32 v3, v3, v5
	v_mul_lo_u32 v3, v3, 24
	v_mul_hi_u32 v8, v2, 24
	v_add_u32_e32 v3, v8, v3
	v_mul_lo_u32 v2, v2, 24
	s_waitcnt vmcnt(0)
	v_lshl_add_u64 v[2:3], v[6:7], 0, v[2:3]
	global_load_dwordx2 v[2:3], v[2:3], off sc0 sc1
	s_waitcnt vmcnt(0)
	global_atomic_cmpswap_x2 v[2:3], v55, v[2:5], s[26:27] offset:24 sc0 sc1
	s_waitcnt vmcnt(0)
	buffer_inv sc0 sc1
	v_cmp_ne_u64_e32 vcc, v[2:3], v[4:5]
	s_and_saveexec_b64 s[4:5], vcc
	s_cbranch_execz .LBB1_148
; %bb.145:                              ;   in Loop: Header=BB1_2 Depth=1
	s_mov_b64 s[6:7], 0
.LBB1_146:                              ;   Parent Loop BB1_2 Depth=1
                                        ; =>  This Inner Loop Header: Depth=2
	s_sleep 1
	global_load_dwordx2 v[6:7], v55, s[26:27] offset:40
	global_load_dwordx2 v[8:9], v55, s[26:27]
	v_mov_b64_e32 v[4:5], v[2:3]
	s_waitcnt vmcnt(1)
	v_and_b32_e32 v2, v6, v4
	s_waitcnt vmcnt(0)
	v_mad_u64_u32 v[2:3], s[8:9], v2, 24, v[8:9]
	v_and_b32_e32 v7, v7, v5
	v_mov_b32_e32 v6, v3
	v_mad_u64_u32 v[6:7], s[8:9], v7, 24, v[6:7]
	v_mov_b32_e32 v3, v6
	global_load_dwordx2 v[2:3], v[2:3], off sc0 sc1
	s_waitcnt vmcnt(0)
	global_atomic_cmpswap_x2 v[2:3], v55, v[2:5], s[26:27] offset:24 sc0 sc1
	s_waitcnt vmcnt(0)
	buffer_inv sc0 sc1
	v_cmp_eq_u64_e32 vcc, v[2:3], v[4:5]
	s_or_b64 s[6:7], vcc, s[6:7]
	s_andn2_b64 exec, exec, s[6:7]
	s_cbranch_execnz .LBB1_146
; %bb.147:                              ;   in Loop: Header=BB1_2 Depth=1
	s_or_b64 exec, exec, s[6:7]
.LBB1_148:                              ;   in Loop: Header=BB1_2 Depth=1
	s_or_b64 exec, exec, s[4:5]
.LBB1_149:                              ;   in Loop: Header=BB1_2 Depth=1
	s_or_b64 exec, exec, s[2:3]
	global_load_dwordx2 v[8:9], v55, s[26:27] offset:40
	global_load_dwordx4 v[4:7], v55, s[26:27]
	v_readfirstlane_b32 s2, v2
	v_readfirstlane_b32 s3, v3
	s_mov_b64 s[4:5], exec
	s_waitcnt vmcnt(1)
	v_readfirstlane_b32 s6, v8
	v_readfirstlane_b32 s7, v9
	s_and_b64 s[6:7], s[2:3], s[6:7]
	s_mul_i32 s8, s7, 24
	s_mul_hi_u32 s9, s6, 24
	s_add_i32 s9, s9, s8
	s_mul_i32 s8, s6, 24
	s_waitcnt vmcnt(0)
	v_lshl_add_u64 v[8:9], v[4:5], 0, s[8:9]
	s_and_saveexec_b64 s[8:9], s[0:1]
	s_cbranch_execz .LBB1_151
; %bb.150:                              ;   in Loop: Header=BB1_2 Depth=1
	v_mov_b64_e32 v[48:49], s[4:5]
	global_store_dwordx4 v[8:9], v[48:51], off offset:8
.LBB1_151:                              ;   in Loop: Header=BB1_2 Depth=1
	s_or_b64 exec, exec, s[8:9]
	s_lshl_b64 s[4:5], s[6:7], 12
	v_lshl_add_u64 v[6:7], v[6:7], 0, s[4:5]
	v_and_or_b32 v0, v0, s35, 34
	v_ashrrev_i32_e32 v3, 31, v21
	v_lshlrev_b32_e32 v10, 6, v46
	v_mov_b32_e32 v2, v21
	v_readfirstlane_b32 s4, v6
	v_readfirstlane_b32 s5, v7
	s_nop 4
	global_store_dwordx4 v10, v[0:3], s[4:5]
	s_nop 1
	v_mov_b64_e32 v[0:1], s[20:21]
	v_mov_b64_e32 v[2:3], s[22:23]
	global_store_dwordx4 v10, v[0:3], s[4:5] offset:16
	global_store_dwordx4 v10, v[0:3], s[4:5] offset:32
	;; [unrolled: 1-line block ×3, first 2 shown]
	s_and_saveexec_b64 s[4:5], s[0:1]
	s_cbranch_execz .LBB1_159
; %bb.152:                              ;   in Loop: Header=BB1_2 Depth=1
	global_load_dwordx2 v[12:13], v55, s[26:27] offset:32 sc0 sc1
	global_load_dwordx2 v[0:1], v55, s[26:27] offset:40
	v_mov_b32_e32 v10, s2
	v_mov_b32_e32 v11, s3
	s_waitcnt vmcnt(0)
	v_readfirstlane_b32 s6, v0
	v_readfirstlane_b32 s7, v1
	s_and_b64 s[6:7], s[6:7], s[2:3]
	s_mul_i32 s7, s7, 24
	s_mul_hi_u32 s8, s6, 24
	s_mul_i32 s6, s6, 24
	s_add_i32 s7, s8, s7
	v_lshl_add_u64 v[4:5], v[4:5], 0, s[6:7]
	global_store_dwordx2 v[4:5], v[12:13], off
	buffer_wbl2 sc0 sc1
	s_waitcnt vmcnt(0)
	global_atomic_cmpswap_x2 v[2:3], v55, v[10:13], s[26:27] offset:32 sc0 sc1
	s_waitcnt vmcnt(0)
	v_cmp_ne_u64_e32 vcc, v[2:3], v[12:13]
	s_and_saveexec_b64 s[6:7], vcc
	s_cbranch_execz .LBB1_155
; %bb.153:                              ;   in Loop: Header=BB1_2 Depth=1
	s_mov_b64 s[8:9], 0
.LBB1_154:                              ;   Parent Loop BB1_2 Depth=1
                                        ; =>  This Inner Loop Header: Depth=2
	s_sleep 1
	global_store_dwordx2 v[4:5], v[2:3], off
	v_mov_b32_e32 v0, s2
	v_mov_b32_e32 v1, s3
	buffer_wbl2 sc0 sc1
	s_waitcnt vmcnt(0)
	global_atomic_cmpswap_x2 v[0:1], v55, v[0:3], s[26:27] offset:32 sc0 sc1
	s_waitcnt vmcnt(0)
	v_cmp_eq_u64_e32 vcc, v[0:1], v[2:3]
	s_or_b64 s[8:9], vcc, s[8:9]
	v_mov_b64_e32 v[2:3], v[0:1]
	s_andn2_b64 exec, exec, s[8:9]
	s_cbranch_execnz .LBB1_154
.LBB1_155:                              ;   in Loop: Header=BB1_2 Depth=1
	s_or_b64 exec, exec, s[6:7]
	global_load_dwordx2 v[0:1], v55, s[26:27] offset:16
	s_mov_b64 s[8:9], exec
	v_mbcnt_lo_u32_b32 v2, s8, 0
	v_mbcnt_hi_u32_b32 v2, s9, v2
	v_cmp_eq_u32_e32 vcc, 0, v2
	s_and_saveexec_b64 s[6:7], vcc
	s_cbranch_execz .LBB1_157
; %bb.156:                              ;   in Loop: Header=BB1_2 Depth=1
	s_bcnt1_i32_b64 s8, s[8:9]
	v_mov_b32_e32 v54, s8
	buffer_wbl2 sc0 sc1
	s_waitcnt vmcnt(0)
	global_atomic_add_x2 v[0:1], v[54:55], off offset:8 sc1
.LBB1_157:                              ;   in Loop: Header=BB1_2 Depth=1
	s_or_b64 exec, exec, s[6:7]
	s_waitcnt vmcnt(0)
	global_load_dwordx2 v[2:3], v[0:1], off offset:16
	s_waitcnt vmcnt(0)
	v_cmp_eq_u64_e32 vcc, 0, v[2:3]
	s_cbranch_vccnz .LBB1_159
; %bb.158:                              ;   in Loop: Header=BB1_2 Depth=1
	global_load_dword v54, v[0:1], off offset:24
	s_waitcnt vmcnt(0)
	v_and_b32_e32 v0, 0xffffff, v54
	s_nop 0
	v_readfirstlane_b32 m0, v0
	buffer_wbl2 sc0 sc1
	global_store_dwordx2 v[2:3], v[54:55], off sc0 sc1
	s_sendmsg sendmsg(MSG_INTERRUPT)
.LBB1_159:                              ;   in Loop: Header=BB1_2 Depth=1
	s_or_b64 exec, exec, s[4:5]
	s_branch .LBB1_163
.LBB1_160:                              ;   in Loop: Header=BB1_163 Depth=2
	s_or_b64 exec, exec, s[4:5]
	v_readfirstlane_b32 s4, v0
	s_cmp_eq_u32 s4, 0
	s_cbranch_scc1 .LBB1_162
; %bb.161:                              ;   in Loop: Header=BB1_163 Depth=2
	s_sleep 1
	s_cbranch_execnz .LBB1_163
	s_branch .LBB1_165
.LBB1_162:                              ;   in Loop: Header=BB1_2 Depth=1
	s_branch .LBB1_165
.LBB1_163:                              ;   Parent Loop BB1_2 Depth=1
                                        ; =>  This Inner Loop Header: Depth=2
	v_mov_b32_e32 v0, 1
	s_and_saveexec_b64 s[4:5], s[0:1]
	s_cbranch_execz .LBB1_160
; %bb.164:                              ;   in Loop: Header=BB1_163 Depth=2
	global_load_dword v0, v[8:9], off offset:20 sc0 sc1
	s_waitcnt vmcnt(0)
	buffer_inv sc0 sc1
	v_and_b32_e32 v0, 1, v0
	s_branch .LBB1_160
.LBB1_165:                              ;   in Loop: Header=BB1_2 Depth=1
	s_and_saveexec_b64 s[4:5], s[0:1]
	s_cbranch_execz .LBB1_1
; %bb.166:                              ;   in Loop: Header=BB1_2 Depth=1
	global_load_dwordx2 v[4:5], v55, s[26:27] offset:40
	global_load_dwordx2 v[6:7], v55, s[26:27] offset:24 sc0 sc1
	global_load_dwordx2 v[8:9], v55, s[26:27]
	s_waitcnt vmcnt(2)
	v_lshl_add_u64 v[0:1], v[4:5], 0, 1
	v_lshl_add_u64 v[10:11], v[0:1], 0, s[2:3]
	v_cmp_eq_u64_e32 vcc, 0, v[10:11]
	s_waitcnt vmcnt(1)
	v_mov_b32_e32 v2, v6
	v_cndmask_b32_e32 v1, v11, v1, vcc
	v_cndmask_b32_e32 v0, v10, v0, vcc
	v_and_b32_e32 v3, v1, v5
	v_and_b32_e32 v4, v0, v4
	v_mul_lo_u32 v3, v3, 24
	v_mul_hi_u32 v5, v4, 24
	v_mul_lo_u32 v4, v4, 24
	v_add_u32_e32 v5, v5, v3
	s_waitcnt vmcnt(0)
	v_lshl_add_u64 v[4:5], v[8:9], 0, v[4:5]
	global_store_dwordx2 v[4:5], v[6:7], off
	v_mov_b32_e32 v3, v7
	buffer_wbl2 sc0 sc1
	s_waitcnt vmcnt(0)
	global_atomic_cmpswap_x2 v[2:3], v55, v[0:3], s[26:27] offset:24 sc0 sc1
	s_waitcnt vmcnt(0)
	v_cmp_ne_u64_e32 vcc, v[2:3], v[6:7]
	s_and_b64 exec, exec, vcc
	s_cbranch_execz .LBB1_1
; %bb.167:                              ;   in Loop: Header=BB1_2 Depth=1
	s_mov_b64 s[0:1], 0
.LBB1_168:                              ;   Parent Loop BB1_2 Depth=1
                                        ; =>  This Inner Loop Header: Depth=2
	s_sleep 1
	global_store_dwordx2 v[4:5], v[2:3], off
	buffer_wbl2 sc0 sc1
	s_waitcnt vmcnt(0)
	global_atomic_cmpswap_x2 v[6:7], v55, v[0:3], s[26:27] offset:24 sc0 sc1
	s_waitcnt vmcnt(0)
	v_cmp_eq_u64_e32 vcc, v[6:7], v[2:3]
	s_or_b64 s[0:1], vcc, s[0:1]
	v_mov_b64_e32 v[2:3], v[6:7]
	s_andn2_b64 exec, exec, s[0:1]
	s_cbranch_execnz .LBB1_168
	s_branch .LBB1_1
.LBB1_169:
	s_getpc_b64 s[20:21]
	s_add_u32 s20, s20, .str.8@rel32@lo+4
	s_addc_u32 s21, s21, .str.8@rel32@hi+12
	s_mov_b64 s[8:9], s[18:19]
	v_mov_b32_e32 v0, s20
	v_mov_b32_e32 v1, s21
	s_getpc_b64 s[22:23]
	s_add_u32 s22, s22, _ZNK8migraphx13basic_printerIZNS_4coutEvEUlT_E_ElsEPKc@rel32@lo+4
	s_addc_u32 s23, s23, _ZNK8migraphx13basic_printerIZNS_4coutEvEUlT_E_ElsEPKc@rel32@hi+12
	s_swappc_b64 s[30:31], s[22:23]
	s_getpc_b64 s[0:1]
	s_add_u32 s0, s0, .str.10@rel32@lo+4
	s_addc_u32 s1, s1, .str.10@rel32@hi+12
	s_mov_b64 s[8:9], s[18:19]
	v_mov_b32_e32 v0, s0
	v_mov_b32_e32 v1, s1
	s_swappc_b64 s[30:31], s[22:23]
	s_mov_b64 s[8:9], s[18:19]
	v_mov_b32_e32 v0, s20
	v_mov_b32_e32 v1, s21
	s_swappc_b64 s[30:31], s[22:23]
	flat_load_dwordx2 v[58:59], v[38:39] offset:8
	s_mov_b32 s29, 0
	s_mov_b32 s22, s29
	;; [unrolled: 1-line block ×3, first 2 shown]
	v_mov_b32_e32 v55, 0
	s_mov_b32 s20, s29
	s_mov_b32 s21, s29
	v_mov_b64_e32 v[44:45], s[22:23]
	v_mov_b32_e32 v50, 2
	v_mov_b32_e32 v60, v56
	;; [unrolled: 1-line block ×7, first 2 shown]
	v_mov_b64_e32 v[42:43], s[20:21]
	s_movk_i32 s34, 0xff1f
	s_movk_i32 s35, 0xff1d
	v_mov_b32_e32 v51, 1
	s_mov_b32 s28, s29
	s_branch .LBB1_171
.LBB1_170:                              ;   in Loop: Header=BB1_171 Depth=1
	s_or_b64 exec, exec, s[4:5]
	s_add_i32 s28, s28, 1
	s_cmp_lg_u32 s28, 6
	s_cbranch_scc0 .LBB1_338
.LBB1_171:                              ; =>This Loop Header: Depth=1
                                        ;     Child Loop BB1_176 Depth 2
                                        ;     Child Loop BB1_184 Depth 2
	;; [unrolled: 1-line block ×9, first 2 shown]
                                        ;       Child Loop BB1_205 Depth 3
                                        ;       Child Loop BB1_212 Depth 3
                                        ;       Child Loop BB1_220 Depth 3
                                        ;       Child Loop BB1_228 Depth 3
                                        ;       Child Loop BB1_236 Depth 3
                                        ;       Child Loop BB1_244 Depth 3
                                        ;       Child Loop BB1_252 Depth 3
                                        ;       Child Loop BB1_260 Depth 3
                                        ;       Child Loop BB1_268 Depth 3
                                        ;       Child Loop BB1_277 Depth 3
                                        ;       Child Loop BB1_282 Depth 3
                                        ;     Child Loop BB1_315 Depth 2
                                        ;     Child Loop BB1_323 Depth 2
	;; [unrolled: 1-line block ×4, first 2 shown]
	s_cmp_eq_u32 s28, 0
	s_cbranch_scc1 .LBB1_173
; %bb.172:                              ;   in Loop: Header=BB1_171 Depth=1
	s_getpc_b64 s[0:1]
	s_add_u32 s0, s0, .str.11@rel32@lo+4
	s_addc_u32 s1, s1, .str.11@rel32@hi+12
	s_mov_b64 s[8:9], s[18:19]
	v_mov_b32_e32 v0, s0
	v_mov_b32_e32 v1, s1
	s_getpc_b64 s[2:3]
	s_add_u32 s2, s2, _ZNK8migraphx13basic_printerIZNS_4coutEvEUlT_E_ElsEPKc@rel32@lo+4
	s_addc_u32 s3, s3, _ZNK8migraphx13basic_printerIZNS_4coutEvEUlT_E_ElsEPKc@rel32@hi+12
	s_swappc_b64 s[30:31], s[2:3]
.LBB1_173:                              ;   in Loop: Header=BB1_171 Depth=1
	s_waitcnt vmcnt(0) lgkmcnt(0)
	v_lshl_add_u64 v[0:1], s[28:29], 2, v[58:59]
	flat_load_dword v21, v[0:1]
	v_readfirstlane_b32 s0, v46
	v_mov_b64_e32 v[4:5], 0
	s_nop 0
	v_cmp_eq_u32_e64 s[0:1], s0, v46
	s_and_saveexec_b64 s[2:3], s[0:1]
	s_cbranch_execz .LBB1_179
; %bb.174:                              ;   in Loop: Header=BB1_171 Depth=1
	global_load_dwordx2 v[2:3], v55, s[26:27] offset:24 sc0 sc1
	s_waitcnt vmcnt(0)
	buffer_inv sc0 sc1
	global_load_dwordx2 v[0:1], v55, s[26:27] offset:40
	global_load_dwordx2 v[4:5], v55, s[26:27]
	s_waitcnt vmcnt(0)
	v_and_b32_e32 v0, v0, v2
	v_and_b32_e32 v1, v1, v3
	v_mul_lo_u32 v1, v1, 24
	v_mul_hi_u32 v6, v0, 24
	v_add_u32_e32 v1, v6, v1
	v_mul_lo_u32 v0, v0, 24
	v_lshl_add_u64 v[0:1], v[4:5], 0, v[0:1]
	global_load_dwordx2 v[0:1], v[0:1], off sc0 sc1
	s_waitcnt vmcnt(0)
	global_atomic_cmpswap_x2 v[4:5], v55, v[0:3], s[26:27] offset:24 sc0 sc1
	s_waitcnt vmcnt(0)
	buffer_inv sc0 sc1
	v_cmp_ne_u64_e32 vcc, v[4:5], v[2:3]
	s_and_saveexec_b64 s[4:5], vcc
	s_cbranch_execz .LBB1_178
; %bb.175:                              ;   in Loop: Header=BB1_171 Depth=1
	s_mov_b64 s[6:7], 0
.LBB1_176:                              ;   Parent Loop BB1_171 Depth=1
                                        ; =>  This Inner Loop Header: Depth=2
	s_sleep 1
	global_load_dwordx2 v[0:1], v55, s[26:27] offset:40
	global_load_dwordx2 v[6:7], v55, s[26:27]
	v_mov_b64_e32 v[2:3], v[4:5]
	s_waitcnt vmcnt(0)
	v_and_b32_e32 v0, v0, v2
	v_and_b32_e32 v5, v1, v3
	v_mad_u64_u32 v[0:1], s[8:9], v0, 24, v[6:7]
	v_mov_b32_e32 v4, v1
	v_mad_u64_u32 v[4:5], s[8:9], v5, 24, v[4:5]
	v_mov_b32_e32 v1, v4
	global_load_dwordx2 v[0:1], v[0:1], off sc0 sc1
	s_waitcnt vmcnt(0)
	global_atomic_cmpswap_x2 v[4:5], v55, v[0:3], s[26:27] offset:24 sc0 sc1
	s_waitcnt vmcnt(0)
	buffer_inv sc0 sc1
	v_cmp_eq_u64_e32 vcc, v[4:5], v[2:3]
	s_or_b64 s[6:7], vcc, s[6:7]
	s_andn2_b64 exec, exec, s[6:7]
	s_cbranch_execnz .LBB1_176
; %bb.177:                              ;   in Loop: Header=BB1_171 Depth=1
	s_or_b64 exec, exec, s[6:7]
.LBB1_178:                              ;   in Loop: Header=BB1_171 Depth=1
	s_or_b64 exec, exec, s[4:5]
.LBB1_179:                              ;   in Loop: Header=BB1_171 Depth=1
	s_or_b64 exec, exec, s[2:3]
	global_load_dwordx2 v[6:7], v55, s[26:27] offset:40
	global_load_dwordx4 v[0:3], v55, s[26:27]
	v_readfirstlane_b32 s2, v4
	v_readfirstlane_b32 s3, v5
	s_mov_b64 s[4:5], exec
	s_waitcnt vmcnt(0)
	v_readfirstlane_b32 s6, v6
	v_readfirstlane_b32 s7, v7
	s_and_b64 s[6:7], s[2:3], s[6:7]
	s_mul_i32 s8, s7, 24
	s_mul_hi_u32 s9, s6, 24
	s_add_i32 s9, s9, s8
	s_mul_i32 s8, s6, 24
	v_lshl_add_u64 v[4:5], v[0:1], 0, s[8:9]
	s_and_saveexec_b64 s[8:9], s[0:1]
	s_cbranch_execz .LBB1_181
; %bb.180:                              ;   in Loop: Header=BB1_171 Depth=1
	v_mov_b64_e32 v[48:49], s[4:5]
	global_store_dwordx4 v[4:5], v[48:51], off offset:8
.LBB1_181:                              ;   in Loop: Header=BB1_171 Depth=1
	s_or_b64 exec, exec, s[8:9]
	s_lshl_b64 s[4:5], s[6:7], 12
	v_lshl_add_u64 v[6:7], v[2:3], 0, s[4:5]
	v_mov_b64_e32 v[8:9], s[20:21]
	v_readfirstlane_b32 s4, v6
	v_readfirstlane_b32 s5, v7
	v_mov_b64_e32 v[10:11], s[22:23]
	s_nop 3
	global_store_dwordx4 v56, v[38:41], s[4:5]
	global_store_dwordx4 v56, v[42:45], s[4:5] offset:16
	global_store_dwordx4 v56, v[8:11], s[4:5] offset:32
	;; [unrolled: 1-line block ×3, first 2 shown]
	s_and_saveexec_b64 s[4:5], s[0:1]
	s_cbranch_execz .LBB1_189
; %bb.182:                              ;   in Loop: Header=BB1_171 Depth=1
	global_load_dwordx2 v[12:13], v55, s[26:27] offset:32 sc0 sc1
	global_load_dwordx2 v[2:3], v55, s[26:27] offset:40
	v_mov_b32_e32 v10, s2
	v_mov_b32_e32 v11, s3
	s_waitcnt vmcnt(0)
	v_readfirstlane_b32 s6, v2
	v_readfirstlane_b32 s7, v3
	s_and_b64 s[6:7], s[6:7], s[2:3]
	s_mul_i32 s7, s7, 24
	s_mul_hi_u32 s8, s6, 24
	s_mul_i32 s6, s6, 24
	s_add_i32 s7, s8, s7
	v_lshl_add_u64 v[8:9], v[0:1], 0, s[6:7]
	global_store_dwordx2 v[8:9], v[12:13], off
	buffer_wbl2 sc0 sc1
	s_waitcnt vmcnt(0)
	global_atomic_cmpswap_x2 v[2:3], v55, v[10:13], s[26:27] offset:32 sc0 sc1
	s_waitcnt vmcnt(0)
	v_cmp_ne_u64_e32 vcc, v[2:3], v[12:13]
	s_and_saveexec_b64 s[6:7], vcc
	s_cbranch_execz .LBB1_185
; %bb.183:                              ;   in Loop: Header=BB1_171 Depth=1
	s_mov_b64 s[8:9], 0
.LBB1_184:                              ;   Parent Loop BB1_171 Depth=1
                                        ; =>  This Inner Loop Header: Depth=2
	s_sleep 1
	global_store_dwordx2 v[8:9], v[2:3], off
	v_mov_b32_e32 v0, s2
	v_mov_b32_e32 v1, s3
	buffer_wbl2 sc0 sc1
	s_waitcnt vmcnt(0)
	global_atomic_cmpswap_x2 v[0:1], v55, v[0:3], s[26:27] offset:32 sc0 sc1
	s_waitcnt vmcnt(0)
	v_cmp_eq_u64_e32 vcc, v[0:1], v[2:3]
	s_or_b64 s[8:9], vcc, s[8:9]
	v_mov_b64_e32 v[2:3], v[0:1]
	s_andn2_b64 exec, exec, s[8:9]
	s_cbranch_execnz .LBB1_184
.LBB1_185:                              ;   in Loop: Header=BB1_171 Depth=1
	s_or_b64 exec, exec, s[6:7]
	global_load_dwordx2 v[0:1], v55, s[26:27] offset:16
	s_mov_b64 s[8:9], exec
	v_mbcnt_lo_u32_b32 v2, s8, 0
	v_mbcnt_hi_u32_b32 v2, s9, v2
	v_cmp_eq_u32_e32 vcc, 0, v2
	s_and_saveexec_b64 s[6:7], vcc
	s_cbranch_execz .LBB1_187
; %bb.186:                              ;   in Loop: Header=BB1_171 Depth=1
	s_bcnt1_i32_b64 s8, s[8:9]
	v_mov_b32_e32 v54, s8
	buffer_wbl2 sc0 sc1
	s_waitcnt vmcnt(0)
	global_atomic_add_x2 v[0:1], v[54:55], off offset:8 sc1
.LBB1_187:                              ;   in Loop: Header=BB1_171 Depth=1
	s_or_b64 exec, exec, s[6:7]
	s_waitcnt vmcnt(0)
	global_load_dwordx2 v[2:3], v[0:1], off offset:16
	s_waitcnt vmcnt(0)
	v_cmp_eq_u64_e32 vcc, 0, v[2:3]
	s_cbranch_vccnz .LBB1_189
; %bb.188:                              ;   in Loop: Header=BB1_171 Depth=1
	global_load_dword v54, v[0:1], off offset:24
	s_waitcnt vmcnt(0)
	v_and_b32_e32 v0, 0xffffff, v54
	s_nop 0
	v_readfirstlane_b32 m0, v0
	buffer_wbl2 sc0 sc1
	global_store_dwordx2 v[2:3], v[54:55], off sc0 sc1
	s_sendmsg sendmsg(MSG_INTERRUPT)
.LBB1_189:                              ;   in Loop: Header=BB1_171 Depth=1
	s_or_b64 exec, exec, s[4:5]
	v_lshl_add_u64 v[0:1], v[6:7], 0, v[60:61]
	s_branch .LBB1_193
.LBB1_190:                              ;   in Loop: Header=BB1_193 Depth=2
	s_or_b64 exec, exec, s[4:5]
	v_readfirstlane_b32 s4, v2
	s_cmp_eq_u32 s4, 0
	s_cbranch_scc1 .LBB1_192
; %bb.191:                              ;   in Loop: Header=BB1_193 Depth=2
	s_sleep 1
	s_cbranch_execnz .LBB1_193
	s_branch .LBB1_195
.LBB1_192:                              ;   in Loop: Header=BB1_171 Depth=1
	s_branch .LBB1_195
.LBB1_193:                              ;   Parent Loop BB1_171 Depth=1
                                        ; =>  This Inner Loop Header: Depth=2
	v_mov_b32_e32 v2, 1
	s_and_saveexec_b64 s[4:5], s[0:1]
	s_cbranch_execz .LBB1_190
; %bb.194:                              ;   in Loop: Header=BB1_193 Depth=2
	global_load_dword v2, v[4:5], off offset:20 sc0 sc1
	s_waitcnt vmcnt(0)
	buffer_inv sc0 sc1
	v_and_b32_e32 v2, 1, v2
	s_branch .LBB1_190
.LBB1_195:                              ;   in Loop: Header=BB1_171 Depth=1
	global_load_dwordx2 v[52:53], v[0:1], off
	s_and_saveexec_b64 s[4:5], s[0:1]
	s_cbranch_execz .LBB1_199
; %bb.196:                              ;   in Loop: Header=BB1_171 Depth=1
	global_load_dwordx2 v[4:5], v55, s[26:27] offset:40
	global_load_dwordx2 v[6:7], v55, s[26:27] offset:24 sc0 sc1
	global_load_dwordx2 v[8:9], v55, s[26:27]
	s_waitcnt vmcnt(0)
	v_lshl_add_u64 v[0:1], v[4:5], 0, 1
	v_lshl_add_u64 v[10:11], v[0:1], 0, s[2:3]
	v_cmp_eq_u64_e32 vcc, 0, v[10:11]
	v_mov_b32_e32 v2, v6
	s_nop 0
	v_cndmask_b32_e32 v1, v11, v1, vcc
	v_cndmask_b32_e32 v0, v10, v0, vcc
	v_and_b32_e32 v3, v1, v5
	v_and_b32_e32 v4, v0, v4
	v_mul_lo_u32 v3, v3, 24
	v_mul_hi_u32 v5, v4, 24
	v_mul_lo_u32 v4, v4, 24
	v_add_u32_e32 v5, v5, v3
	v_lshl_add_u64 v[4:5], v[8:9], 0, v[4:5]
	global_store_dwordx2 v[4:5], v[6:7], off
	v_mov_b32_e32 v3, v7
	buffer_wbl2 sc0 sc1
	s_waitcnt vmcnt(0)
	global_atomic_cmpswap_x2 v[2:3], v55, v[0:3], s[26:27] offset:24 sc0 sc1
	s_waitcnt vmcnt(0)
	v_cmp_ne_u64_e32 vcc, v[2:3], v[6:7]
	s_and_b64 exec, exec, vcc
	s_cbranch_execz .LBB1_199
; %bb.197:                              ;   in Loop: Header=BB1_171 Depth=1
	s_mov_b64 s[0:1], 0
.LBB1_198:                              ;   Parent Loop BB1_171 Depth=1
                                        ; =>  This Inner Loop Header: Depth=2
	s_sleep 1
	global_store_dwordx2 v[4:5], v[2:3], off
	buffer_wbl2 sc0 sc1
	s_waitcnt vmcnt(0)
	global_atomic_cmpswap_x2 v[6:7], v55, v[0:3], s[26:27] offset:24 sc0 sc1
	s_waitcnt vmcnt(0)
	v_cmp_eq_u64_e32 vcc, v[6:7], v[2:3]
	s_or_b64 s[0:1], vcc, s[0:1]
	v_mov_b64_e32 v[2:3], v[6:7]
	s_andn2_b64 exec, exec, s[0:1]
	s_cbranch_execnz .LBB1_198
.LBB1_199:                              ;   in Loop: Header=BB1_171 Depth=1
	s_or_b64 exec, exec, s[4:5]
	s_and_b64 vcc, exec, s[24:25]
	s_cbranch_vccz .LBB1_284
; %bb.200:                              ;   in Loop: Header=BB1_171 Depth=1
	s_waitcnt vmcnt(0)
	v_and_b32_e32 v20, 2, v52
	v_and_b32_e32 v0, -3, v52
	v_mov_b32_e32 v1, v53
	s_mov_b64 s[4:5], 4
	s_getpc_b64 s[2:3]
	s_add_u32 s2, s2, .str.7@rel32@lo+4
	s_addc_u32 s3, s3, .str.7@rel32@hi+12
	s_branch .LBB1_202
.LBB1_201:                              ;   in Loop: Header=BB1_202 Depth=2
	s_or_b64 exec, exec, s[10:11]
	s_sub_u32 s4, s4, s6
	s_subb_u32 s5, s5, s7
	s_add_u32 s2, s2, s6
	s_addc_u32 s3, s3, s7
	s_cmp_lg_u64 s[4:5], 0
	s_cbranch_scc0 .LBB1_283
.LBB1_202:                              ;   Parent Loop BB1_171 Depth=1
                                        ; =>  This Loop Header: Depth=2
                                        ;       Child Loop BB1_205 Depth 3
                                        ;       Child Loop BB1_212 Depth 3
	;; [unrolled: 1-line block ×11, first 2 shown]
	v_cmp_lt_u64_e64 s[0:1], s[4:5], 56
	s_and_b64 s[0:1], s[0:1], exec
	v_cmp_gt_u64_e64 s[0:1], s[4:5], 7
	s_cselect_b32 s7, s5, 0
	s_cselect_b32 s6, s4, 56
	s_and_b64 vcc, exec, s[0:1]
	s_cbranch_vccnz .LBB1_207
; %bb.203:                              ;   in Loop: Header=BB1_202 Depth=2
	s_mov_b64 s[0:1], 0
	s_cmp_eq_u64 s[4:5], 0
	s_waitcnt vmcnt(0)
	v_mov_b64_e32 v[2:3], 0
	s_cbranch_scc1 .LBB1_206
; %bb.204:                              ;   in Loop: Header=BB1_202 Depth=2
	s_lshl_b64 s[8:9], s[6:7], 3
	s_mov_b64 s[10:11], 0
	v_mov_b64_e32 v[2:3], 0
	s_mov_b64 s[12:13], s[2:3]
.LBB1_205:                              ;   Parent Loop BB1_171 Depth=1
                                        ;     Parent Loop BB1_202 Depth=2
                                        ; =>    This Inner Loop Header: Depth=3
	global_load_ubyte v4, v55, s[12:13]
	s_waitcnt vmcnt(0)
	v_and_b32_e32 v54, 0xffff, v4
	v_lshlrev_b64 v[4:5], s10, v[54:55]
	s_add_u32 s10, s10, 8
	s_addc_u32 s11, s11, 0
	s_add_u32 s12, s12, 1
	s_addc_u32 s13, s13, 0
	v_or_b32_e32 v2, v4, v2
	s_cmp_lg_u32 s8, s10
	v_or_b32_e32 v3, v5, v3
	s_cbranch_scc1 .LBB1_205
.LBB1_206:                              ;   in Loop: Header=BB1_202 Depth=2
	s_mov_b32 s12, 0
	s_andn2_b64 vcc, exec, s[0:1]
	s_mov_b64 s[0:1], s[2:3]
	s_cbranch_vccz .LBB1_208
	s_branch .LBB1_209
.LBB1_207:                              ;   in Loop: Header=BB1_202 Depth=2
                                        ; implicit-def: $vgpr2_vgpr3
                                        ; implicit-def: $sgpr12
	s_mov_b64 s[0:1], s[2:3]
.LBB1_208:                              ;   in Loop: Header=BB1_202 Depth=2
	global_load_dwordx2 v[2:3], v55, s[2:3]
	s_add_i32 s12, s6, -8
	s_add_u32 s0, s2, 8
	s_addc_u32 s1, s3, 0
.LBB1_209:                              ;   in Loop: Header=BB1_202 Depth=2
	s_cmp_gt_u32 s12, 7
	s_cbranch_scc1 .LBB1_213
; %bb.210:                              ;   in Loop: Header=BB1_202 Depth=2
	s_cmp_eq_u32 s12, 0
	s_cbranch_scc1 .LBB1_214
; %bb.211:                              ;   in Loop: Header=BB1_202 Depth=2
	s_mov_b64 s[8:9], 0
	v_mov_b64_e32 v[4:5], 0
	s_mov_b64 s[10:11], 0
.LBB1_212:                              ;   Parent Loop BB1_171 Depth=1
                                        ;     Parent Loop BB1_202 Depth=2
                                        ; =>    This Inner Loop Header: Depth=3
	s_add_u32 s14, s0, s10
	s_addc_u32 s15, s1, s11
	global_load_ubyte v6, v55, s[14:15]
	s_add_u32 s10, s10, 1
	s_addc_u32 s11, s11, 0
	s_waitcnt vmcnt(0)
	v_and_b32_e32 v54, 0xffff, v6
	v_lshlrev_b64 v[6:7], s8, v[54:55]
	s_add_u32 s8, s8, 8
	s_addc_u32 s9, s9, 0
	v_or_b32_e32 v4, v6, v4
	s_cmp_lg_u32 s12, s10
	v_or_b32_e32 v5, v7, v5
	s_cbranch_scc1 .LBB1_212
	s_branch .LBB1_215
.LBB1_213:                              ;   in Loop: Header=BB1_202 Depth=2
                                        ; implicit-def: $vgpr4_vgpr5
                                        ; implicit-def: $sgpr13
	s_branch .LBB1_216
.LBB1_214:                              ;   in Loop: Header=BB1_202 Depth=2
	v_mov_b64_e32 v[4:5], 0
.LBB1_215:                              ;   in Loop: Header=BB1_202 Depth=2
	s_mov_b32 s13, 0
	s_cbranch_execnz .LBB1_217
.LBB1_216:                              ;   in Loop: Header=BB1_202 Depth=2
	global_load_dwordx2 v[4:5], v55, s[0:1]
	s_add_i32 s13, s12, -8
	s_add_u32 s0, s0, 8
	s_addc_u32 s1, s1, 0
.LBB1_217:                              ;   in Loop: Header=BB1_202 Depth=2
	s_cmp_gt_u32 s13, 7
	s_cbranch_scc1 .LBB1_221
; %bb.218:                              ;   in Loop: Header=BB1_202 Depth=2
	s_cmp_eq_u32 s13, 0
	s_cbranch_scc1 .LBB1_222
; %bb.219:                              ;   in Loop: Header=BB1_202 Depth=2
	s_mov_b64 s[8:9], 0
	v_mov_b64_e32 v[6:7], 0
	s_mov_b64 s[10:11], 0
.LBB1_220:                              ;   Parent Loop BB1_171 Depth=1
                                        ;     Parent Loop BB1_202 Depth=2
                                        ; =>    This Inner Loop Header: Depth=3
	s_add_u32 s14, s0, s10
	s_addc_u32 s15, s1, s11
	global_load_ubyte v8, v55, s[14:15]
	s_add_u32 s10, s10, 1
	s_addc_u32 s11, s11, 0
	s_waitcnt vmcnt(0)
	v_and_b32_e32 v54, 0xffff, v8
	v_lshlrev_b64 v[8:9], s8, v[54:55]
	s_add_u32 s8, s8, 8
	s_addc_u32 s9, s9, 0
	v_or_b32_e32 v6, v8, v6
	s_cmp_lg_u32 s13, s10
	v_or_b32_e32 v7, v9, v7
	s_cbranch_scc1 .LBB1_220
	s_branch .LBB1_223
.LBB1_221:                              ;   in Loop: Header=BB1_202 Depth=2
                                        ; implicit-def: $sgpr12
	s_branch .LBB1_224
.LBB1_222:                              ;   in Loop: Header=BB1_202 Depth=2
	v_mov_b64_e32 v[6:7], 0
.LBB1_223:                              ;   in Loop: Header=BB1_202 Depth=2
	s_mov_b32 s12, 0
	s_cbranch_execnz .LBB1_225
.LBB1_224:                              ;   in Loop: Header=BB1_202 Depth=2
	global_load_dwordx2 v[6:7], v55, s[0:1]
	s_add_i32 s12, s13, -8
	s_add_u32 s0, s0, 8
	s_addc_u32 s1, s1, 0
.LBB1_225:                              ;   in Loop: Header=BB1_202 Depth=2
	s_cmp_gt_u32 s12, 7
	s_cbranch_scc1 .LBB1_229
; %bb.226:                              ;   in Loop: Header=BB1_202 Depth=2
	s_cmp_eq_u32 s12, 0
	s_cbranch_scc1 .LBB1_230
; %bb.227:                              ;   in Loop: Header=BB1_202 Depth=2
	s_mov_b64 s[8:9], 0
	v_mov_b64_e32 v[8:9], 0
	s_mov_b64 s[10:11], 0
.LBB1_228:                              ;   Parent Loop BB1_171 Depth=1
                                        ;     Parent Loop BB1_202 Depth=2
                                        ; =>    This Inner Loop Header: Depth=3
	s_add_u32 s14, s0, s10
	s_addc_u32 s15, s1, s11
	global_load_ubyte v10, v55, s[14:15]
	s_add_u32 s10, s10, 1
	s_addc_u32 s11, s11, 0
	s_waitcnt vmcnt(0)
	v_and_b32_e32 v54, 0xffff, v10
	v_lshlrev_b64 v[10:11], s8, v[54:55]
	s_add_u32 s8, s8, 8
	s_addc_u32 s9, s9, 0
	v_or_b32_e32 v8, v10, v8
	s_cmp_lg_u32 s12, s10
	v_or_b32_e32 v9, v11, v9
	s_cbranch_scc1 .LBB1_228
	s_branch .LBB1_231
.LBB1_229:                              ;   in Loop: Header=BB1_202 Depth=2
                                        ; implicit-def: $vgpr8_vgpr9
                                        ; implicit-def: $sgpr13
	s_branch .LBB1_232
.LBB1_230:                              ;   in Loop: Header=BB1_202 Depth=2
	v_mov_b64_e32 v[8:9], 0
.LBB1_231:                              ;   in Loop: Header=BB1_202 Depth=2
	s_mov_b32 s13, 0
	s_cbranch_execnz .LBB1_233
.LBB1_232:                              ;   in Loop: Header=BB1_202 Depth=2
	global_load_dwordx2 v[8:9], v55, s[0:1]
	s_add_i32 s13, s12, -8
	s_add_u32 s0, s0, 8
	s_addc_u32 s1, s1, 0
.LBB1_233:                              ;   in Loop: Header=BB1_202 Depth=2
	s_cmp_gt_u32 s13, 7
	s_cbranch_scc1 .LBB1_237
; %bb.234:                              ;   in Loop: Header=BB1_202 Depth=2
	s_cmp_eq_u32 s13, 0
	s_cbranch_scc1 .LBB1_238
; %bb.235:                              ;   in Loop: Header=BB1_202 Depth=2
	s_mov_b64 s[8:9], 0
	v_mov_b64_e32 v[10:11], 0
	s_mov_b64 s[10:11], 0
.LBB1_236:                              ;   Parent Loop BB1_171 Depth=1
                                        ;     Parent Loop BB1_202 Depth=2
                                        ; =>    This Inner Loop Header: Depth=3
	s_add_u32 s14, s0, s10
	s_addc_u32 s15, s1, s11
	global_load_ubyte v12, v55, s[14:15]
	s_add_u32 s10, s10, 1
	s_addc_u32 s11, s11, 0
	s_waitcnt vmcnt(0)
	v_and_b32_e32 v54, 0xffff, v12
	v_lshlrev_b64 v[12:13], s8, v[54:55]
	s_add_u32 s8, s8, 8
	s_addc_u32 s9, s9, 0
	v_or_b32_e32 v10, v12, v10
	s_cmp_lg_u32 s13, s10
	v_or_b32_e32 v11, v13, v11
	s_cbranch_scc1 .LBB1_236
	s_branch .LBB1_239
.LBB1_237:                              ;   in Loop: Header=BB1_202 Depth=2
                                        ; implicit-def: $sgpr12
	s_branch .LBB1_240
.LBB1_238:                              ;   in Loop: Header=BB1_202 Depth=2
	v_mov_b64_e32 v[10:11], 0
.LBB1_239:                              ;   in Loop: Header=BB1_202 Depth=2
	s_mov_b32 s12, 0
	s_cbranch_execnz .LBB1_241
.LBB1_240:                              ;   in Loop: Header=BB1_202 Depth=2
	global_load_dwordx2 v[10:11], v55, s[0:1]
	s_add_i32 s12, s13, -8
	s_add_u32 s0, s0, 8
	s_addc_u32 s1, s1, 0
.LBB1_241:                              ;   in Loop: Header=BB1_202 Depth=2
	s_cmp_gt_u32 s12, 7
	s_cbranch_scc1 .LBB1_245
; %bb.242:                              ;   in Loop: Header=BB1_202 Depth=2
	s_cmp_eq_u32 s12, 0
	s_cbranch_scc1 .LBB1_246
; %bb.243:                              ;   in Loop: Header=BB1_202 Depth=2
	s_mov_b64 s[8:9], 0
	v_mov_b64_e32 v[12:13], 0
	s_mov_b64 s[10:11], 0
.LBB1_244:                              ;   Parent Loop BB1_171 Depth=1
                                        ;     Parent Loop BB1_202 Depth=2
                                        ; =>    This Inner Loop Header: Depth=3
	s_add_u32 s14, s0, s10
	s_addc_u32 s15, s1, s11
	global_load_ubyte v14, v55, s[14:15]
	s_add_u32 s10, s10, 1
	s_addc_u32 s11, s11, 0
	s_waitcnt vmcnt(0)
	v_and_b32_e32 v54, 0xffff, v14
	v_lshlrev_b64 v[14:15], s8, v[54:55]
	s_add_u32 s8, s8, 8
	s_addc_u32 s9, s9, 0
	v_or_b32_e32 v12, v14, v12
	s_cmp_lg_u32 s12, s10
	v_or_b32_e32 v13, v15, v13
	s_cbranch_scc1 .LBB1_244
	s_branch .LBB1_247
.LBB1_245:                              ;   in Loop: Header=BB1_202 Depth=2
                                        ; implicit-def: $vgpr12_vgpr13
                                        ; implicit-def: $sgpr13
	s_branch .LBB1_248
.LBB1_246:                              ;   in Loop: Header=BB1_202 Depth=2
	v_mov_b64_e32 v[12:13], 0
.LBB1_247:                              ;   in Loop: Header=BB1_202 Depth=2
	s_mov_b32 s13, 0
	s_cbranch_execnz .LBB1_249
.LBB1_248:                              ;   in Loop: Header=BB1_202 Depth=2
	global_load_dwordx2 v[12:13], v55, s[0:1]
	s_add_i32 s13, s12, -8
	s_add_u32 s0, s0, 8
	s_addc_u32 s1, s1, 0
.LBB1_249:                              ;   in Loop: Header=BB1_202 Depth=2
	s_cmp_gt_u32 s13, 7
	s_cbranch_scc1 .LBB1_253
; %bb.250:                              ;   in Loop: Header=BB1_202 Depth=2
	s_cmp_eq_u32 s13, 0
	s_cbranch_scc1 .LBB1_254
; %bb.251:                              ;   in Loop: Header=BB1_202 Depth=2
	s_mov_b64 s[8:9], 0
	v_mov_b64_e32 v[14:15], 0
	s_mov_b64 s[10:11], s[0:1]
.LBB1_252:                              ;   Parent Loop BB1_171 Depth=1
                                        ;     Parent Loop BB1_202 Depth=2
                                        ; =>    This Inner Loop Header: Depth=3
	global_load_ubyte v16, v55, s[10:11]
	s_add_i32 s13, s13, -1
	s_waitcnt vmcnt(0)
	v_and_b32_e32 v54, 0xffff, v16
	v_lshlrev_b64 v[16:17], s8, v[54:55]
	s_add_u32 s8, s8, 8
	s_addc_u32 s9, s9, 0
	s_add_u32 s10, s10, 1
	s_addc_u32 s11, s11, 0
	v_or_b32_e32 v14, v16, v14
	s_cmp_lg_u32 s13, 0
	v_or_b32_e32 v15, v17, v15
	s_cbranch_scc1 .LBB1_252
	s_branch .LBB1_255
.LBB1_253:                              ;   in Loop: Header=BB1_202 Depth=2
	s_branch .LBB1_256
.LBB1_254:                              ;   in Loop: Header=BB1_202 Depth=2
	v_mov_b64_e32 v[14:15], 0
.LBB1_255:                              ;   in Loop: Header=BB1_202 Depth=2
	s_cbranch_execnz .LBB1_257
.LBB1_256:                              ;   in Loop: Header=BB1_202 Depth=2
	global_load_dwordx2 v[14:15], v55, s[0:1]
.LBB1_257:                              ;   in Loop: Header=BB1_202 Depth=2
	v_readfirstlane_b32 s0, v46
	v_mov_b64_e32 v[22:23], 0
	s_nop 0
	v_cmp_eq_u32_e64 s[0:1], s0, v46
	s_and_saveexec_b64 s[8:9], s[0:1]
	s_cbranch_execz .LBB1_263
; %bb.258:                              ;   in Loop: Header=BB1_202 Depth=2
	global_load_dwordx2 v[18:19], v55, s[26:27] offset:24 sc0 sc1
	s_waitcnt vmcnt(0)
	buffer_inv sc0 sc1
	global_load_dwordx2 v[16:17], v55, s[26:27] offset:40
	global_load_dwordx2 v[22:23], v55, s[26:27]
	s_waitcnt vmcnt(0)
	v_and_b32_e32 v16, v16, v18
	v_and_b32_e32 v17, v17, v19
	v_mul_lo_u32 v17, v17, 24
	v_mul_hi_u32 v24, v16, 24
	v_add_u32_e32 v17, v24, v17
	v_mul_lo_u32 v16, v16, 24
	v_lshl_add_u64 v[16:17], v[22:23], 0, v[16:17]
	global_load_dwordx2 v[16:17], v[16:17], off sc0 sc1
	s_waitcnt vmcnt(0)
	global_atomic_cmpswap_x2 v[22:23], v55, v[16:19], s[26:27] offset:24 sc0 sc1
	s_waitcnt vmcnt(0)
	buffer_inv sc0 sc1
	v_cmp_ne_u64_e32 vcc, v[22:23], v[18:19]
	s_and_saveexec_b64 s[10:11], vcc
	s_cbranch_execz .LBB1_262
; %bb.259:                              ;   in Loop: Header=BB1_202 Depth=2
	s_mov_b64 s[12:13], 0
.LBB1_260:                              ;   Parent Loop BB1_171 Depth=1
                                        ;     Parent Loop BB1_202 Depth=2
                                        ; =>    This Inner Loop Header: Depth=3
	s_sleep 1
	global_load_dwordx2 v[16:17], v55, s[26:27] offset:40
	global_load_dwordx2 v[24:25], v55, s[26:27]
	v_mov_b64_e32 v[18:19], v[22:23]
	s_waitcnt vmcnt(0)
	v_and_b32_e32 v16, v16, v18
	v_and_b32_e32 v23, v17, v19
	v_mad_u64_u32 v[16:17], s[14:15], v16, 24, v[24:25]
	v_mov_b32_e32 v22, v17
	v_mad_u64_u32 v[22:23], s[14:15], v23, 24, v[22:23]
	v_mov_b32_e32 v17, v22
	global_load_dwordx2 v[16:17], v[16:17], off sc0 sc1
	s_waitcnt vmcnt(0)
	global_atomic_cmpswap_x2 v[22:23], v55, v[16:19], s[26:27] offset:24 sc0 sc1
	s_waitcnt vmcnt(0)
	buffer_inv sc0 sc1
	v_cmp_eq_u64_e32 vcc, v[22:23], v[18:19]
	s_or_b64 s[12:13], vcc, s[12:13]
	s_andn2_b64 exec, exec, s[12:13]
	s_cbranch_execnz .LBB1_260
; %bb.261:                              ;   in Loop: Header=BB1_202 Depth=2
	s_or_b64 exec, exec, s[12:13]
.LBB1_262:                              ;   in Loop: Header=BB1_202 Depth=2
	s_or_b64 exec, exec, s[10:11]
.LBB1_263:                              ;   in Loop: Header=BB1_202 Depth=2
	s_or_b64 exec, exec, s[8:9]
	global_load_dwordx2 v[24:25], v55, s[26:27] offset:40
	global_load_dwordx4 v[16:19], v55, s[26:27]
	v_readfirstlane_b32 s8, v22
	v_readfirstlane_b32 s9, v23
	s_mov_b64 s[10:11], exec
	s_waitcnt vmcnt(0)
	v_readfirstlane_b32 s12, v24
	v_readfirstlane_b32 s13, v25
	s_and_b64 s[12:13], s[8:9], s[12:13]
	s_mul_i32 s14, s13, 24
	s_mul_hi_u32 s15, s12, 24
	s_add_i32 s15, s15, s14
	s_mul_i32 s14, s12, 24
	v_lshl_add_u64 v[22:23], v[16:17], 0, s[14:15]
	s_and_saveexec_b64 s[14:15], s[0:1]
	s_cbranch_execz .LBB1_265
; %bb.264:                              ;   in Loop: Header=BB1_202 Depth=2
	v_mov_b64_e32 v[48:49], s[10:11]
	global_store_dwordx4 v[22:23], v[48:51], off offset:8
.LBB1_265:                              ;   in Loop: Header=BB1_202 Depth=2
	s_or_b64 exec, exec, s[14:15]
	s_lshl_b64 s[10:11], s[12:13], 12
	v_lshl_add_u64 v[18:19], v[18:19], 0, s[10:11]
	v_or_b32_e32 v25, v0, v20
	v_cmp_gt_u64_e64 vcc, s[4:5], 56
	s_lshl_b32 s10, s6, 2
	s_add_i32 s10, s10, 28
	v_cndmask_b32_e32 v0, v25, v0, vcc
	v_or_b32_e32 v24, 0, v1
	s_and_b32 s10, s10, 0x1e0
	v_and_b32_e32 v0, 0xffffff1f, v0
	v_cndmask_b32_e32 v1, v24, v1, vcc
	v_or_b32_e32 v0, s10, v0
	v_readfirstlane_b32 s10, v18
	v_readfirstlane_b32 s11, v19
	s_nop 4
	global_store_dwordx4 v56, v[0:3], s[10:11]
	global_store_dwordx4 v56, v[4:7], s[10:11] offset:16
	global_store_dwordx4 v56, v[8:11], s[10:11] offset:32
	global_store_dwordx4 v56, v[12:15], s[10:11] offset:48
	s_and_saveexec_b64 s[10:11], s[0:1]
	s_cbranch_execz .LBB1_273
; %bb.266:                              ;   in Loop: Header=BB1_202 Depth=2
	global_load_dwordx2 v[8:9], v55, s[26:27] offset:32 sc0 sc1
	global_load_dwordx2 v[0:1], v55, s[26:27] offset:40
	v_mov_b32_e32 v6, s8
	v_mov_b32_e32 v7, s9
	s_waitcnt vmcnt(0)
	v_readfirstlane_b32 s12, v0
	v_readfirstlane_b32 s13, v1
	s_and_b64 s[12:13], s[12:13], s[8:9]
	s_mul_i32 s13, s13, 24
	s_mul_hi_u32 s14, s12, 24
	s_mul_i32 s12, s12, 24
	s_add_i32 s13, s14, s13
	v_lshl_add_u64 v[4:5], v[16:17], 0, s[12:13]
	global_store_dwordx2 v[4:5], v[8:9], off
	buffer_wbl2 sc0 sc1
	s_waitcnt vmcnt(0)
	global_atomic_cmpswap_x2 v[2:3], v55, v[6:9], s[26:27] offset:32 sc0 sc1
	s_waitcnt vmcnt(0)
	v_cmp_ne_u64_e32 vcc, v[2:3], v[8:9]
	s_and_saveexec_b64 s[12:13], vcc
	s_cbranch_execz .LBB1_269
; %bb.267:                              ;   in Loop: Header=BB1_202 Depth=2
	s_mov_b64 s[14:15], 0
.LBB1_268:                              ;   Parent Loop BB1_171 Depth=1
                                        ;     Parent Loop BB1_202 Depth=2
                                        ; =>    This Inner Loop Header: Depth=3
	s_sleep 1
	global_store_dwordx2 v[4:5], v[2:3], off
	v_mov_b32_e32 v0, s8
	v_mov_b32_e32 v1, s9
	buffer_wbl2 sc0 sc1
	s_waitcnt vmcnt(0)
	global_atomic_cmpswap_x2 v[0:1], v55, v[0:3], s[26:27] offset:32 sc0 sc1
	s_waitcnt vmcnt(0)
	v_cmp_eq_u64_e32 vcc, v[0:1], v[2:3]
	s_or_b64 s[14:15], vcc, s[14:15]
	v_mov_b64_e32 v[2:3], v[0:1]
	s_andn2_b64 exec, exec, s[14:15]
	s_cbranch_execnz .LBB1_268
.LBB1_269:                              ;   in Loop: Header=BB1_202 Depth=2
	s_or_b64 exec, exec, s[12:13]
	global_load_dwordx2 v[0:1], v55, s[26:27] offset:16
	s_mov_b64 s[14:15], exec
	v_mbcnt_lo_u32_b32 v2, s14, 0
	v_mbcnt_hi_u32_b32 v2, s15, v2
	v_cmp_eq_u32_e32 vcc, 0, v2
	s_and_saveexec_b64 s[12:13], vcc
	s_cbranch_execz .LBB1_271
; %bb.270:                              ;   in Loop: Header=BB1_202 Depth=2
	s_bcnt1_i32_b64 s14, s[14:15]
	v_mov_b32_e32 v54, s14
	buffer_wbl2 sc0 sc1
	s_waitcnt vmcnt(0)
	global_atomic_add_x2 v[0:1], v[54:55], off offset:8 sc1
.LBB1_271:                              ;   in Loop: Header=BB1_202 Depth=2
	s_or_b64 exec, exec, s[12:13]
	s_waitcnt vmcnt(0)
	global_load_dwordx2 v[2:3], v[0:1], off offset:16
	s_waitcnt vmcnt(0)
	v_cmp_eq_u64_e32 vcc, 0, v[2:3]
	s_cbranch_vccnz .LBB1_273
; %bb.272:                              ;   in Loop: Header=BB1_202 Depth=2
	global_load_dword v54, v[0:1], off offset:24
	s_waitcnt vmcnt(0)
	v_and_b32_e32 v0, 0xffffff, v54
	s_nop 0
	v_readfirstlane_b32 m0, v0
	buffer_wbl2 sc0 sc1
	global_store_dwordx2 v[2:3], v[54:55], off sc0 sc1
	s_sendmsg sendmsg(MSG_INTERRUPT)
.LBB1_273:                              ;   in Loop: Header=BB1_202 Depth=2
	s_or_b64 exec, exec, s[10:11]
	v_mov_b32_e32 v57, v55
	v_lshl_add_u64 v[0:1], v[18:19], 0, v[56:57]
	s_branch .LBB1_277
.LBB1_274:                              ;   in Loop: Header=BB1_277 Depth=3
	s_or_b64 exec, exec, s[10:11]
	v_readfirstlane_b32 s10, v2
	s_cmp_eq_u32 s10, 0
	s_cbranch_scc1 .LBB1_276
; %bb.275:                              ;   in Loop: Header=BB1_277 Depth=3
	s_sleep 1
	s_cbranch_execnz .LBB1_277
	s_branch .LBB1_279
.LBB1_276:                              ;   in Loop: Header=BB1_202 Depth=2
	s_branch .LBB1_279
.LBB1_277:                              ;   Parent Loop BB1_171 Depth=1
                                        ;     Parent Loop BB1_202 Depth=2
                                        ; =>    This Inner Loop Header: Depth=3
	v_mov_b32_e32 v2, 1
	s_and_saveexec_b64 s[10:11], s[0:1]
	s_cbranch_execz .LBB1_274
; %bb.278:                              ;   in Loop: Header=BB1_277 Depth=3
	global_load_dword v2, v[22:23], off offset:20 sc0 sc1
	s_waitcnt vmcnt(0)
	buffer_inv sc0 sc1
	v_and_b32_e32 v2, 1, v2
	s_branch .LBB1_274
.LBB1_279:                              ;   in Loop: Header=BB1_202 Depth=2
	global_load_dwordx4 v[0:3], v[0:1], off
	s_and_saveexec_b64 s[10:11], s[0:1]
	s_cbranch_execz .LBB1_201
; %bb.280:                              ;   in Loop: Header=BB1_202 Depth=2
	global_load_dwordx2 v[6:7], v55, s[26:27] offset:40
	global_load_dwordx2 v[8:9], v55, s[26:27] offset:24 sc0 sc1
	global_load_dwordx2 v[10:11], v55, s[26:27]
	s_waitcnt vmcnt(0)
	v_lshl_add_u64 v[2:3], v[6:7], 0, 1
	v_lshl_add_u64 v[12:13], v[2:3], 0, s[8:9]
	v_cmp_eq_u64_e32 vcc, 0, v[12:13]
	v_mov_b32_e32 v4, v8
	s_nop 0
	v_cndmask_b32_e32 v3, v13, v3, vcc
	v_cndmask_b32_e32 v2, v12, v2, vcc
	v_and_b32_e32 v5, v3, v7
	v_and_b32_e32 v6, v2, v6
	v_mul_lo_u32 v5, v5, 24
	v_mul_hi_u32 v7, v6, 24
	v_mul_lo_u32 v6, v6, 24
	v_add_u32_e32 v7, v7, v5
	v_lshl_add_u64 v[6:7], v[10:11], 0, v[6:7]
	global_store_dwordx2 v[6:7], v[8:9], off
	v_mov_b32_e32 v5, v9
	buffer_wbl2 sc0 sc1
	s_waitcnt vmcnt(0)
	global_atomic_cmpswap_x2 v[4:5], v55, v[2:5], s[26:27] offset:24 sc0 sc1
	s_waitcnt vmcnt(0)
	v_cmp_ne_u64_e32 vcc, v[4:5], v[8:9]
	s_and_b64 exec, exec, vcc
	s_cbranch_execz .LBB1_201
; %bb.281:                              ;   in Loop: Header=BB1_202 Depth=2
	s_mov_b64 s[0:1], 0
.LBB1_282:                              ;   Parent Loop BB1_171 Depth=1
                                        ;     Parent Loop BB1_202 Depth=2
                                        ; =>    This Inner Loop Header: Depth=3
	s_sleep 1
	global_store_dwordx2 v[6:7], v[4:5], off
	buffer_wbl2 sc0 sc1
	s_waitcnt vmcnt(0)
	global_atomic_cmpswap_x2 v[8:9], v55, v[2:5], s[26:27] offset:24 sc0 sc1
	s_waitcnt vmcnt(0)
	v_cmp_eq_u64_e32 vcc, v[8:9], v[4:5]
	s_or_b64 s[0:1], vcc, s[0:1]
	v_mov_b64_e32 v[4:5], v[8:9]
	s_andn2_b64 exec, exec, s[0:1]
	s_cbranch_execnz .LBB1_282
	s_branch .LBB1_201
.LBB1_283:                              ;   in Loop: Header=BB1_171 Depth=1
	s_branch .LBB1_312
.LBB1_284:                              ;   in Loop: Header=BB1_171 Depth=1
                                        ; implicit-def: $vgpr0_vgpr1
	s_cbranch_execz .LBB1_312
; %bb.285:                              ;   in Loop: Header=BB1_171 Depth=1
	v_readfirstlane_b32 s0, v46
	v_mov_b64_e32 v[4:5], 0
	s_nop 0
	v_cmp_eq_u32_e64 s[0:1], s0, v46
	s_and_saveexec_b64 s[2:3], s[0:1]
	s_cbranch_execz .LBB1_291
; %bb.286:                              ;   in Loop: Header=BB1_171 Depth=1
	global_load_dwordx2 v[2:3], v55, s[26:27] offset:24 sc0 sc1
	s_waitcnt vmcnt(0)
	buffer_inv sc0 sc1
	global_load_dwordx2 v[0:1], v55, s[26:27] offset:40
	global_load_dwordx2 v[4:5], v55, s[26:27]
	s_waitcnt vmcnt(0)
	v_and_b32_e32 v0, v0, v2
	v_and_b32_e32 v1, v1, v3
	v_mul_lo_u32 v1, v1, 24
	v_mul_hi_u32 v6, v0, 24
	v_add_u32_e32 v1, v6, v1
	v_mul_lo_u32 v0, v0, 24
	v_lshl_add_u64 v[0:1], v[4:5], 0, v[0:1]
	global_load_dwordx2 v[0:1], v[0:1], off sc0 sc1
	s_waitcnt vmcnt(0)
	global_atomic_cmpswap_x2 v[4:5], v55, v[0:3], s[26:27] offset:24 sc0 sc1
	s_waitcnt vmcnt(0)
	buffer_inv sc0 sc1
	v_cmp_ne_u64_e32 vcc, v[4:5], v[2:3]
	s_and_saveexec_b64 s[4:5], vcc
	s_cbranch_execz .LBB1_290
; %bb.287:                              ;   in Loop: Header=BB1_171 Depth=1
	s_mov_b64 s[6:7], 0
.LBB1_288:                              ;   Parent Loop BB1_171 Depth=1
                                        ; =>  This Inner Loop Header: Depth=2
	s_sleep 1
	global_load_dwordx2 v[0:1], v55, s[26:27] offset:40
	global_load_dwordx2 v[6:7], v55, s[26:27]
	v_mov_b64_e32 v[2:3], v[4:5]
	s_waitcnt vmcnt(0)
	v_and_b32_e32 v0, v0, v2
	v_and_b32_e32 v5, v1, v3
	v_mad_u64_u32 v[0:1], s[8:9], v0, 24, v[6:7]
	v_mov_b32_e32 v4, v1
	v_mad_u64_u32 v[4:5], s[8:9], v5, 24, v[4:5]
	v_mov_b32_e32 v1, v4
	global_load_dwordx2 v[0:1], v[0:1], off sc0 sc1
	s_waitcnt vmcnt(0)
	global_atomic_cmpswap_x2 v[4:5], v55, v[0:3], s[26:27] offset:24 sc0 sc1
	s_waitcnt vmcnt(0)
	buffer_inv sc0 sc1
	v_cmp_eq_u64_e32 vcc, v[4:5], v[2:3]
	s_or_b64 s[6:7], vcc, s[6:7]
	s_andn2_b64 exec, exec, s[6:7]
	s_cbranch_execnz .LBB1_288
; %bb.289:                              ;   in Loop: Header=BB1_171 Depth=1
	s_or_b64 exec, exec, s[6:7]
.LBB1_290:                              ;   in Loop: Header=BB1_171 Depth=1
	s_or_b64 exec, exec, s[4:5]
.LBB1_291:                              ;   in Loop: Header=BB1_171 Depth=1
	s_or_b64 exec, exec, s[2:3]
	global_load_dwordx2 v[6:7], v55, s[26:27] offset:40
	global_load_dwordx4 v[0:3], v55, s[26:27]
	v_readfirstlane_b32 s2, v4
	v_readfirstlane_b32 s3, v5
	s_mov_b64 s[4:5], exec
	s_waitcnt vmcnt(0)
	v_readfirstlane_b32 s6, v6
	v_readfirstlane_b32 s7, v7
	s_and_b64 s[6:7], s[2:3], s[6:7]
	s_mul_i32 s8, s7, 24
	s_mul_hi_u32 s9, s6, 24
	s_add_i32 s9, s9, s8
	s_mul_i32 s8, s6, 24
	v_lshl_add_u64 v[4:5], v[0:1], 0, s[8:9]
	s_and_saveexec_b64 s[8:9], s[0:1]
	s_cbranch_execz .LBB1_293
; %bb.292:                              ;   in Loop: Header=BB1_171 Depth=1
	v_mov_b64_e32 v[48:49], s[4:5]
	global_store_dwordx4 v[4:5], v[48:51], off offset:8
.LBB1_293:                              ;   in Loop: Header=BB1_171 Depth=1
	s_or_b64 exec, exec, s[8:9]
	s_lshl_b64 s[4:5], s[6:7], 12
	v_lshl_add_u64 v[6:7], v[2:3], 0, s[4:5]
	v_mov_b64_e32 v[8:9], s[20:21]
	v_and_or_b32 v52, v52, s34, 32
	v_mov_b32_e32 v54, v55
	v_readfirstlane_b32 s4, v6
	v_readfirstlane_b32 s5, v7
	v_mov_b64_e32 v[10:11], s[22:23]
	s_nop 3
	global_store_dwordx4 v56, v[52:55], s[4:5]
	global_store_dwordx4 v56, v[8:11], s[4:5] offset:16
	global_store_dwordx4 v56, v[8:11], s[4:5] offset:32
	;; [unrolled: 1-line block ×3, first 2 shown]
	s_and_saveexec_b64 s[4:5], s[0:1]
	s_cbranch_execz .LBB1_301
; %bb.294:                              ;   in Loop: Header=BB1_171 Depth=1
	global_load_dwordx2 v[12:13], v55, s[26:27] offset:32 sc0 sc1
	global_load_dwordx2 v[2:3], v55, s[26:27] offset:40
	v_mov_b32_e32 v10, s2
	v_mov_b32_e32 v11, s3
	s_waitcnt vmcnt(0)
	v_readfirstlane_b32 s6, v2
	v_readfirstlane_b32 s7, v3
	s_and_b64 s[6:7], s[6:7], s[2:3]
	s_mul_i32 s7, s7, 24
	s_mul_hi_u32 s8, s6, 24
	s_mul_i32 s6, s6, 24
	s_add_i32 s7, s8, s7
	v_lshl_add_u64 v[8:9], v[0:1], 0, s[6:7]
	global_store_dwordx2 v[8:9], v[12:13], off
	buffer_wbl2 sc0 sc1
	s_waitcnt vmcnt(0)
	global_atomic_cmpswap_x2 v[2:3], v55, v[10:13], s[26:27] offset:32 sc0 sc1
	s_waitcnt vmcnt(0)
	v_cmp_ne_u64_e32 vcc, v[2:3], v[12:13]
	s_and_saveexec_b64 s[6:7], vcc
	s_cbranch_execz .LBB1_297
; %bb.295:                              ;   in Loop: Header=BB1_171 Depth=1
	s_mov_b64 s[8:9], 0
.LBB1_296:                              ;   Parent Loop BB1_171 Depth=1
                                        ; =>  This Inner Loop Header: Depth=2
	s_sleep 1
	global_store_dwordx2 v[8:9], v[2:3], off
	v_mov_b32_e32 v0, s2
	v_mov_b32_e32 v1, s3
	buffer_wbl2 sc0 sc1
	s_waitcnt vmcnt(0)
	global_atomic_cmpswap_x2 v[0:1], v55, v[0:3], s[26:27] offset:32 sc0 sc1
	s_waitcnt vmcnt(0)
	v_cmp_eq_u64_e32 vcc, v[0:1], v[2:3]
	s_or_b64 s[8:9], vcc, s[8:9]
	v_mov_b64_e32 v[2:3], v[0:1]
	s_andn2_b64 exec, exec, s[8:9]
	s_cbranch_execnz .LBB1_296
.LBB1_297:                              ;   in Loop: Header=BB1_171 Depth=1
	s_or_b64 exec, exec, s[6:7]
	global_load_dwordx2 v[0:1], v55, s[26:27] offset:16
	s_mov_b64 s[8:9], exec
	v_mbcnt_lo_u32_b32 v2, s8, 0
	v_mbcnt_hi_u32_b32 v2, s9, v2
	v_cmp_eq_u32_e32 vcc, 0, v2
	s_and_saveexec_b64 s[6:7], vcc
	s_cbranch_execz .LBB1_299
; %bb.298:                              ;   in Loop: Header=BB1_171 Depth=1
	s_bcnt1_i32_b64 s8, s[8:9]
	v_mov_b32_e32 v54, s8
	buffer_wbl2 sc0 sc1
	s_waitcnt vmcnt(0)
	global_atomic_add_x2 v[0:1], v[54:55], off offset:8 sc1
.LBB1_299:                              ;   in Loop: Header=BB1_171 Depth=1
	s_or_b64 exec, exec, s[6:7]
	s_waitcnt vmcnt(0)
	global_load_dwordx2 v[2:3], v[0:1], off offset:16
	s_waitcnt vmcnt(0)
	v_cmp_eq_u64_e32 vcc, 0, v[2:3]
	s_cbranch_vccnz .LBB1_301
; %bb.300:                              ;   in Loop: Header=BB1_171 Depth=1
	global_load_dword v54, v[0:1], off offset:24
	s_waitcnt vmcnt(0)
	v_and_b32_e32 v0, 0xffffff, v54
	s_nop 0
	v_readfirstlane_b32 m0, v0
	buffer_wbl2 sc0 sc1
	global_store_dwordx2 v[2:3], v[54:55], off sc0 sc1
	s_sendmsg sendmsg(MSG_INTERRUPT)
.LBB1_301:                              ;   in Loop: Header=BB1_171 Depth=1
	s_or_b64 exec, exec, s[4:5]
	v_mov_b32_e32 v57, v55
	v_lshl_add_u64 v[0:1], v[6:7], 0, v[56:57]
	s_branch .LBB1_305
.LBB1_302:                              ;   in Loop: Header=BB1_305 Depth=2
	s_or_b64 exec, exec, s[4:5]
	v_readfirstlane_b32 s4, v2
	s_cmp_eq_u32 s4, 0
	s_cbranch_scc1 .LBB1_304
; %bb.303:                              ;   in Loop: Header=BB1_305 Depth=2
	s_sleep 1
	s_cbranch_execnz .LBB1_305
	s_branch .LBB1_307
.LBB1_304:                              ;   in Loop: Header=BB1_171 Depth=1
	s_branch .LBB1_307
.LBB1_305:                              ;   Parent Loop BB1_171 Depth=1
                                        ; =>  This Inner Loop Header: Depth=2
	v_mov_b32_e32 v2, 1
	s_and_saveexec_b64 s[4:5], s[0:1]
	s_cbranch_execz .LBB1_302
; %bb.306:                              ;   in Loop: Header=BB1_305 Depth=2
	global_load_dword v2, v[4:5], off offset:20 sc0 sc1
	s_waitcnt vmcnt(0)
	buffer_inv sc0 sc1
	v_and_b32_e32 v2, 1, v2
	s_branch .LBB1_302
.LBB1_307:                              ;   in Loop: Header=BB1_171 Depth=1
	global_load_dwordx2 v[0:1], v[0:1], off
	s_and_saveexec_b64 s[4:5], s[0:1]
	s_cbranch_execz .LBB1_311
; %bb.308:                              ;   in Loop: Header=BB1_171 Depth=1
	global_load_dwordx2 v[6:7], v55, s[26:27] offset:40
	global_load_dwordx2 v[8:9], v55, s[26:27] offset:24 sc0 sc1
	global_load_dwordx2 v[10:11], v55, s[26:27]
	s_waitcnt vmcnt(0)
	v_lshl_add_u64 v[2:3], v[6:7], 0, 1
	v_lshl_add_u64 v[12:13], v[2:3], 0, s[2:3]
	v_cmp_eq_u64_e32 vcc, 0, v[12:13]
	v_mov_b32_e32 v4, v8
	s_nop 0
	v_cndmask_b32_e32 v3, v13, v3, vcc
	v_cndmask_b32_e32 v2, v12, v2, vcc
	v_and_b32_e32 v5, v3, v7
	v_and_b32_e32 v6, v2, v6
	v_mul_lo_u32 v5, v5, 24
	v_mul_hi_u32 v7, v6, 24
	v_mul_lo_u32 v6, v6, 24
	v_add_u32_e32 v7, v7, v5
	v_lshl_add_u64 v[6:7], v[10:11], 0, v[6:7]
	global_store_dwordx2 v[6:7], v[8:9], off
	v_mov_b32_e32 v5, v9
	buffer_wbl2 sc0 sc1
	s_waitcnt vmcnt(0)
	global_atomic_cmpswap_x2 v[4:5], v55, v[2:5], s[26:27] offset:24 sc0 sc1
	s_waitcnt vmcnt(0)
	v_cmp_ne_u64_e32 vcc, v[4:5], v[8:9]
	s_and_b64 exec, exec, vcc
	s_cbranch_execz .LBB1_311
; %bb.309:                              ;   in Loop: Header=BB1_171 Depth=1
	s_mov_b64 s[0:1], 0
.LBB1_310:                              ;   Parent Loop BB1_171 Depth=1
                                        ; =>  This Inner Loop Header: Depth=2
	s_sleep 1
	global_store_dwordx2 v[6:7], v[4:5], off
	buffer_wbl2 sc0 sc1
	s_waitcnt vmcnt(0)
	global_atomic_cmpswap_x2 v[8:9], v55, v[2:5], s[26:27] offset:24 sc0 sc1
	s_waitcnt vmcnt(0)
	v_cmp_eq_u64_e32 vcc, v[8:9], v[4:5]
	s_or_b64 s[0:1], vcc, s[0:1]
	v_mov_b64_e32 v[4:5], v[8:9]
	s_andn2_b64 exec, exec, s[0:1]
	s_cbranch_execnz .LBB1_310
.LBB1_311:                              ;   in Loop: Header=BB1_171 Depth=1
	s_or_b64 exec, exec, s[4:5]
.LBB1_312:                              ;   in Loop: Header=BB1_171 Depth=1
	v_readfirstlane_b32 s0, v46
	s_waitcnt vmcnt(0)
	v_mov_b64_e32 v[2:3], 0
	v_cmp_eq_u32_e64 s[0:1], s0, v46
	s_and_saveexec_b64 s[2:3], s[0:1]
	s_cbranch_execz .LBB1_318
; %bb.313:                              ;   in Loop: Header=BB1_171 Depth=1
	global_load_dwordx2 v[4:5], v55, s[26:27] offset:24 sc0 sc1
	s_waitcnt vmcnt(0)
	buffer_inv sc0 sc1
	global_load_dwordx2 v[2:3], v55, s[26:27] offset:40
	global_load_dwordx2 v[6:7], v55, s[26:27]
	s_waitcnt vmcnt(0)
	v_and_b32_e32 v2, v2, v4
	v_and_b32_e32 v3, v3, v5
	v_mul_lo_u32 v3, v3, 24
	v_mul_hi_u32 v8, v2, 24
	v_add_u32_e32 v3, v8, v3
	v_mul_lo_u32 v2, v2, 24
	v_lshl_add_u64 v[2:3], v[6:7], 0, v[2:3]
	global_load_dwordx2 v[2:3], v[2:3], off sc0 sc1
	s_waitcnt vmcnt(0)
	global_atomic_cmpswap_x2 v[2:3], v55, v[2:5], s[26:27] offset:24 sc0 sc1
	s_waitcnt vmcnt(0)
	buffer_inv sc0 sc1
	v_cmp_ne_u64_e32 vcc, v[2:3], v[4:5]
	s_and_saveexec_b64 s[4:5], vcc
	s_cbranch_execz .LBB1_317
; %bb.314:                              ;   in Loop: Header=BB1_171 Depth=1
	s_mov_b64 s[6:7], 0
.LBB1_315:                              ;   Parent Loop BB1_171 Depth=1
                                        ; =>  This Inner Loop Header: Depth=2
	s_sleep 1
	global_load_dwordx2 v[6:7], v55, s[26:27] offset:40
	global_load_dwordx2 v[8:9], v55, s[26:27]
	v_mov_b64_e32 v[4:5], v[2:3]
	s_waitcnt vmcnt(0)
	v_and_b32_e32 v2, v6, v4
	v_mad_u64_u32 v[2:3], s[8:9], v2, 24, v[8:9]
	v_and_b32_e32 v7, v7, v5
	v_mov_b32_e32 v6, v3
	v_mad_u64_u32 v[6:7], s[8:9], v7, 24, v[6:7]
	v_mov_b32_e32 v3, v6
	global_load_dwordx2 v[2:3], v[2:3], off sc0 sc1
	s_waitcnt vmcnt(0)
	global_atomic_cmpswap_x2 v[2:3], v55, v[2:5], s[26:27] offset:24 sc0 sc1
	s_waitcnt vmcnt(0)
	buffer_inv sc0 sc1
	v_cmp_eq_u64_e32 vcc, v[2:3], v[4:5]
	s_or_b64 s[6:7], vcc, s[6:7]
	s_andn2_b64 exec, exec, s[6:7]
	s_cbranch_execnz .LBB1_315
; %bb.316:                              ;   in Loop: Header=BB1_171 Depth=1
	s_or_b64 exec, exec, s[6:7]
.LBB1_317:                              ;   in Loop: Header=BB1_171 Depth=1
	s_or_b64 exec, exec, s[4:5]
.LBB1_318:                              ;   in Loop: Header=BB1_171 Depth=1
	s_or_b64 exec, exec, s[2:3]
	global_load_dwordx2 v[8:9], v55, s[26:27] offset:40
	global_load_dwordx4 v[4:7], v55, s[26:27]
	v_readfirstlane_b32 s2, v2
	v_readfirstlane_b32 s3, v3
	s_mov_b64 s[4:5], exec
	s_waitcnt vmcnt(0)
	v_readfirstlane_b32 s6, v8
	v_readfirstlane_b32 s7, v9
	s_and_b64 s[6:7], s[2:3], s[6:7]
	s_mul_i32 s8, s7, 24
	s_mul_hi_u32 s9, s6, 24
	s_add_i32 s9, s9, s8
	s_mul_i32 s8, s6, 24
	v_lshl_add_u64 v[8:9], v[4:5], 0, s[8:9]
	s_and_saveexec_b64 s[8:9], s[0:1]
	s_cbranch_execz .LBB1_320
; %bb.319:                              ;   in Loop: Header=BB1_171 Depth=1
	v_mov_b64_e32 v[48:49], s[4:5]
	global_store_dwordx4 v[8:9], v[48:51], off offset:8
.LBB1_320:                              ;   in Loop: Header=BB1_171 Depth=1
	s_or_b64 exec, exec, s[8:9]
	s_lshl_b64 s[4:5], s[6:7], 12
	v_lshl_add_u64 v[6:7], v[6:7], 0, s[4:5]
	v_and_or_b32 v0, v0, s35, 34
	s_waitcnt lgkmcnt(0)
	v_ashrrev_i32_e32 v3, 31, v21
	v_mov_b32_e32 v2, v21
	v_readfirstlane_b32 s4, v6
	v_readfirstlane_b32 s5, v7
	s_nop 4
	global_store_dwordx4 v56, v[0:3], s[4:5]
	s_nop 1
	v_mov_b64_e32 v[0:1], s[20:21]
	v_mov_b64_e32 v[2:3], s[22:23]
	global_store_dwordx4 v56, v[0:3], s[4:5] offset:16
	global_store_dwordx4 v56, v[0:3], s[4:5] offset:32
	;; [unrolled: 1-line block ×3, first 2 shown]
	s_and_saveexec_b64 s[4:5], s[0:1]
	s_cbranch_execz .LBB1_328
; %bb.321:                              ;   in Loop: Header=BB1_171 Depth=1
	global_load_dwordx2 v[12:13], v55, s[26:27] offset:32 sc0 sc1
	global_load_dwordx2 v[0:1], v55, s[26:27] offset:40
	v_mov_b32_e32 v10, s2
	v_mov_b32_e32 v11, s3
	s_waitcnt vmcnt(0)
	v_readfirstlane_b32 s6, v0
	v_readfirstlane_b32 s7, v1
	s_and_b64 s[6:7], s[6:7], s[2:3]
	s_mul_i32 s7, s7, 24
	s_mul_hi_u32 s8, s6, 24
	s_mul_i32 s6, s6, 24
	s_add_i32 s7, s8, s7
	v_lshl_add_u64 v[4:5], v[4:5], 0, s[6:7]
	global_store_dwordx2 v[4:5], v[12:13], off
	buffer_wbl2 sc0 sc1
	s_waitcnt vmcnt(0)
	global_atomic_cmpswap_x2 v[2:3], v55, v[10:13], s[26:27] offset:32 sc0 sc1
	s_waitcnt vmcnt(0)
	v_cmp_ne_u64_e32 vcc, v[2:3], v[12:13]
	s_and_saveexec_b64 s[6:7], vcc
	s_cbranch_execz .LBB1_324
; %bb.322:                              ;   in Loop: Header=BB1_171 Depth=1
	s_mov_b64 s[8:9], 0
.LBB1_323:                              ;   Parent Loop BB1_171 Depth=1
                                        ; =>  This Inner Loop Header: Depth=2
	s_sleep 1
	global_store_dwordx2 v[4:5], v[2:3], off
	v_mov_b32_e32 v0, s2
	v_mov_b32_e32 v1, s3
	buffer_wbl2 sc0 sc1
	s_waitcnt vmcnt(0)
	global_atomic_cmpswap_x2 v[0:1], v55, v[0:3], s[26:27] offset:32 sc0 sc1
	s_waitcnt vmcnt(0)
	v_cmp_eq_u64_e32 vcc, v[0:1], v[2:3]
	s_or_b64 s[8:9], vcc, s[8:9]
	v_mov_b64_e32 v[2:3], v[0:1]
	s_andn2_b64 exec, exec, s[8:9]
	s_cbranch_execnz .LBB1_323
.LBB1_324:                              ;   in Loop: Header=BB1_171 Depth=1
	s_or_b64 exec, exec, s[6:7]
	global_load_dwordx2 v[0:1], v55, s[26:27] offset:16
	s_mov_b64 s[8:9], exec
	v_mbcnt_lo_u32_b32 v2, s8, 0
	v_mbcnt_hi_u32_b32 v2, s9, v2
	v_cmp_eq_u32_e32 vcc, 0, v2
	s_and_saveexec_b64 s[6:7], vcc
	s_cbranch_execz .LBB1_326
; %bb.325:                              ;   in Loop: Header=BB1_171 Depth=1
	s_bcnt1_i32_b64 s8, s[8:9]
	v_mov_b32_e32 v54, s8
	buffer_wbl2 sc0 sc1
	s_waitcnt vmcnt(0)
	global_atomic_add_x2 v[0:1], v[54:55], off offset:8 sc1
.LBB1_326:                              ;   in Loop: Header=BB1_171 Depth=1
	s_or_b64 exec, exec, s[6:7]
	s_waitcnt vmcnt(0)
	global_load_dwordx2 v[2:3], v[0:1], off offset:16
	s_waitcnt vmcnt(0)
	v_cmp_eq_u64_e32 vcc, 0, v[2:3]
	s_cbranch_vccnz .LBB1_328
; %bb.327:                              ;   in Loop: Header=BB1_171 Depth=1
	global_load_dword v54, v[0:1], off offset:24
	s_waitcnt vmcnt(0)
	v_and_b32_e32 v0, 0xffffff, v54
	s_nop 0
	v_readfirstlane_b32 m0, v0
	buffer_wbl2 sc0 sc1
	global_store_dwordx2 v[2:3], v[54:55], off sc0 sc1
	s_sendmsg sendmsg(MSG_INTERRUPT)
.LBB1_328:                              ;   in Loop: Header=BB1_171 Depth=1
	s_or_b64 exec, exec, s[4:5]
	s_branch .LBB1_332
.LBB1_329:                              ;   in Loop: Header=BB1_332 Depth=2
	s_or_b64 exec, exec, s[4:5]
	v_readfirstlane_b32 s4, v0
	s_cmp_eq_u32 s4, 0
	s_cbranch_scc1 .LBB1_331
; %bb.330:                              ;   in Loop: Header=BB1_332 Depth=2
	s_sleep 1
	s_cbranch_execnz .LBB1_332
	s_branch .LBB1_334
.LBB1_331:                              ;   in Loop: Header=BB1_171 Depth=1
	s_branch .LBB1_334
.LBB1_332:                              ;   Parent Loop BB1_171 Depth=1
                                        ; =>  This Inner Loop Header: Depth=2
	v_mov_b32_e32 v0, 1
	s_and_saveexec_b64 s[4:5], s[0:1]
	s_cbranch_execz .LBB1_329
; %bb.333:                              ;   in Loop: Header=BB1_332 Depth=2
	global_load_dword v0, v[8:9], off offset:20 sc0 sc1
	s_waitcnt vmcnt(0)
	buffer_inv sc0 sc1
	v_and_b32_e32 v0, 1, v0
	s_branch .LBB1_329
.LBB1_334:                              ;   in Loop: Header=BB1_171 Depth=1
	s_and_saveexec_b64 s[4:5], s[0:1]
	s_cbranch_execz .LBB1_170
; %bb.335:                              ;   in Loop: Header=BB1_171 Depth=1
	global_load_dwordx2 v[4:5], v55, s[26:27] offset:40
	global_load_dwordx2 v[6:7], v55, s[26:27] offset:24 sc0 sc1
	global_load_dwordx2 v[8:9], v55, s[26:27]
	s_waitcnt vmcnt(2)
	v_lshl_add_u64 v[0:1], v[4:5], 0, 1
	v_lshl_add_u64 v[10:11], v[0:1], 0, s[2:3]
	v_cmp_eq_u64_e32 vcc, 0, v[10:11]
	s_waitcnt vmcnt(1)
	v_mov_b32_e32 v2, v6
	v_cndmask_b32_e32 v1, v11, v1, vcc
	v_cndmask_b32_e32 v0, v10, v0, vcc
	v_and_b32_e32 v3, v1, v5
	v_and_b32_e32 v4, v0, v4
	v_mul_lo_u32 v3, v3, 24
	v_mul_hi_u32 v5, v4, 24
	v_mul_lo_u32 v4, v4, 24
	v_add_u32_e32 v5, v5, v3
	s_waitcnt vmcnt(0)
	v_lshl_add_u64 v[4:5], v[8:9], 0, v[4:5]
	global_store_dwordx2 v[4:5], v[6:7], off
	v_mov_b32_e32 v3, v7
	buffer_wbl2 sc0 sc1
	s_waitcnt vmcnt(0)
	global_atomic_cmpswap_x2 v[2:3], v55, v[0:3], s[26:27] offset:24 sc0 sc1
	s_waitcnt vmcnt(0)
	v_cmp_ne_u64_e32 vcc, v[2:3], v[6:7]
	s_and_b64 exec, exec, vcc
	s_cbranch_execz .LBB1_170
; %bb.336:                              ;   in Loop: Header=BB1_171 Depth=1
	s_mov_b64 s[0:1], 0
.LBB1_337:                              ;   Parent Loop BB1_171 Depth=1
                                        ; =>  This Inner Loop Header: Depth=2
	s_sleep 1
	global_store_dwordx2 v[4:5], v[2:3], off
	buffer_wbl2 sc0 sc1
	s_waitcnt vmcnt(0)
	global_atomic_cmpswap_x2 v[6:7], v55, v[0:3], s[26:27] offset:24 sc0 sc1
	s_waitcnt vmcnt(0)
	v_cmp_eq_u64_e32 vcc, v[6:7], v[2:3]
	s_or_b64 s[0:1], vcc, s[0:1]
	v_mov_b64_e32 v[2:3], v[6:7]
	s_andn2_b64 exec, exec, s[0:1]
	s_cbranch_execnz .LBB1_337
	s_branch .LBB1_170
.LBB1_338:
	v_readlane_b32 s30, v37, 0
	v_readlane_b32 s31, v37, 1
	;; [unrolled: 1-line block ×3, first 2 shown]
	s_xor_saveexec_b64 s[2:3], -1
	scratch_load_dword v37, off, s33        ; 4-byte Folded Reload
	s_mov_b64 exec, s[2:3]
	s_add_i32 s32, s32, -16
	s_mov_b32 s33, s0
	s_waitcnt vmcnt(0) lgkmcnt(0)
	s_setpc_b64 s[30:31]
.Lfunc_end1:
	.size	_ZN8migraphx4testlsIKNS_13basic_printerIZNS_4coutEvEUlT_E_EEEERS3_S7_RKNS0_10expressionINS0_14lhs_expressionIRNS_5arrayIiLj6EEENS0_3nopEEESC_NS0_5equalEEE, .Lfunc_end1-_ZN8migraphx4testlsIKNS_13basic_printerIZNS_4coutEvEUlT_E_EEEERS3_S7_RKNS0_10expressionINS0_14lhs_expressionIRNS_5arrayIiLj6EEENS0_3nopEEESC_NS0_5equalEEE
                                        ; -- End function
	.section	.AMDGPU.csdata,"",@progbits
; Function info:
; codeLenInByte = 11748
; NumSgprs: 42
; NumVgprs: 62
; NumAgprs: 0
; TotalNumVgprs: 62
; ScratchSize: 16
; MemoryBound: 0
	.text
	.p2align	2                               ; -- Begin function _ZNK8migraphx13basic_printerIZNS_4coutEvEUlT_E_ElsEc
	.type	_ZNK8migraphx13basic_printerIZNS_4coutEvEUlT_E_ElsEc,@function
_ZNK8migraphx13basic_printerIZNS_4coutEvEUlT_E_ElsEc: ; @_ZNK8migraphx13basic_printerIZNS_4coutEvEUlT_E_ElsEc
; %bb.0:
	s_waitcnt vmcnt(0) expcnt(0) lgkmcnt(0)
	s_load_dwordx2 s[2:3], s[8:9], 0x50
	v_mbcnt_lo_u32_b32 v1, -1, 0
	v_mbcnt_hi_u32_b32 v1, -1, v1
	v_mov_b64_e32 v[6:7], 0
	v_readfirstlane_b32 s0, v1
	s_nop 1
	v_cmp_eq_u32_e64 s[0:1], s0, v1
	s_and_saveexec_b64 s[4:5], s[0:1]
	s_cbranch_execz .LBB2_6
; %bb.1:
	v_mov_b32_e32 v2, 0
	s_waitcnt lgkmcnt(0)
	global_load_dwordx2 v[8:9], v2, s[2:3] offset:24 sc0 sc1
	s_waitcnt vmcnt(0)
	buffer_inv sc0 sc1
	global_load_dwordx2 v[4:5], v2, s[2:3] offset:40
	global_load_dwordx2 v[6:7], v2, s[2:3]
	s_waitcnt vmcnt(1)
	v_and_b32_e32 v3, v4, v8
	v_and_b32_e32 v4, v5, v9
	v_mul_lo_u32 v4, v4, 24
	v_mul_hi_u32 v5, v3, 24
	v_add_u32_e32 v5, v5, v4
	v_mul_lo_u32 v4, v3, 24
	s_waitcnt vmcnt(0)
	v_lshl_add_u64 v[4:5], v[6:7], 0, v[4:5]
	global_load_dwordx2 v[6:7], v[4:5], off sc0 sc1
	s_waitcnt vmcnt(0)
	global_atomic_cmpswap_x2 v[6:7], v2, v[6:9], s[2:3] offset:24 sc0 sc1
	s_waitcnt vmcnt(0)
	buffer_inv sc0 sc1
	v_cmp_ne_u64_e32 vcc, v[6:7], v[8:9]
	s_and_saveexec_b64 s[6:7], vcc
	s_cbranch_execz .LBB2_5
; %bb.2:
	s_mov_b64 s[8:9], 0
.LBB2_3:                                ; =>This Inner Loop Header: Depth=1
	s_sleep 1
	global_load_dwordx2 v[4:5], v2, s[2:3] offset:40
	global_load_dwordx2 v[10:11], v2, s[2:3]
	v_mov_b64_e32 v[8:9], v[6:7]
	s_waitcnt vmcnt(1)
	v_and_b32_e32 v4, v4, v8
	v_and_b32_e32 v3, v5, v9
	s_waitcnt vmcnt(0)
	v_mad_u64_u32 v[4:5], s[10:11], v4, 24, v[10:11]
	v_mov_b32_e32 v6, v5
	v_mad_u64_u32 v[6:7], s[10:11], v3, 24, v[6:7]
	v_mov_b32_e32 v5, v6
	global_load_dwordx2 v[6:7], v[4:5], off sc0 sc1
	s_waitcnt vmcnt(0)
	global_atomic_cmpswap_x2 v[6:7], v2, v[6:9], s[2:3] offset:24 sc0 sc1
	s_waitcnt vmcnt(0)
	buffer_inv sc0 sc1
	v_cmp_eq_u64_e32 vcc, v[6:7], v[8:9]
	s_or_b64 s[8:9], vcc, s[8:9]
	s_andn2_b64 exec, exec, s[8:9]
	s_cbranch_execnz .LBB2_3
; %bb.4:
	s_or_b64 exec, exec, s[8:9]
.LBB2_5:
	s_or_b64 exec, exec, s[6:7]
.LBB2_6:
	s_or_b64 exec, exec, s[4:5]
	v_mov_b32_e32 v31, 0
	s_waitcnt lgkmcnt(0)
	global_load_dwordx2 v[8:9], v31, s[2:3] offset:40
	global_load_dwordx4 v[2:5], v31, s[2:3]
	v_readfirstlane_b32 s4, v6
	v_readfirstlane_b32 s5, v7
	s_mov_b64 s[6:7], exec
	s_waitcnt vmcnt(1)
	v_readfirstlane_b32 s8, v8
	v_readfirstlane_b32 s9, v9
	s_and_b64 s[8:9], s[4:5], s[8:9]
	s_mul_i32 s10, s9, 24
	s_mul_hi_u32 s11, s8, 24
	s_add_i32 s11, s11, s10
	s_mul_i32 s10, s8, 24
	s_waitcnt vmcnt(0)
	v_lshl_add_u64 v[6:7], v[2:3], 0, s[10:11]
	s_and_saveexec_b64 s[10:11], s[0:1]
	s_cbranch_execz .LBB2_8
; %bb.7:
	v_mov_b64_e32 v[8:9], s[6:7]
	v_mov_b32_e32 v10, 2
	v_mov_b32_e32 v11, 1
	global_store_dwordx4 v[6:7], v[8:11], off offset:8
.LBB2_8:
	s_or_b64 exec, exec, s[10:11]
	s_lshl_b64 s[6:7], s[8:9], 12
	v_lshl_add_u64 v[8:9], v[4:5], 0, s[6:7]
	s_mov_b32 s8, 0
	v_lshlrev_b32_e32 v30, 6, v1
	v_mov_b32_e32 v10, 33
	v_mov_b32_e32 v11, v31
	;; [unrolled: 1-line block ×4, first 2 shown]
	v_readfirstlane_b32 s6, v8
	v_readfirstlane_b32 s7, v9
	s_mov_b32 s10, s8
	s_mov_b32 s11, s8
	;; [unrolled: 1-line block ×3, first 2 shown]
	s_nop 1
	global_store_dwordx4 v30, v[10:13], s[6:7]
	s_nop 1
	v_mov_b64_e32 v[12:13], s[10:11]
	v_mov_b64_e32 v[10:11], s[8:9]
	global_store_dwordx4 v30, v[10:13], s[6:7] offset:16
	global_store_dwordx4 v30, v[10:13], s[6:7] offset:32
	;; [unrolled: 1-line block ×3, first 2 shown]
	s_and_saveexec_b64 s[6:7], s[0:1]
	s_cbranch_execz .LBB2_16
; %bb.9:
	v_mov_b32_e32 v12, 0
	global_load_dwordx2 v[16:17], v12, s[2:3] offset:32 sc0 sc1
	global_load_dwordx2 v[4:5], v12, s[2:3] offset:40
	v_mov_b32_e32 v14, s4
	v_mov_b32_e32 v15, s5
	s_waitcnt vmcnt(0)
	v_and_b32_e32 v4, s4, v4
	v_and_b32_e32 v5, s5, v5
	v_mul_lo_u32 v5, v5, 24
	v_mul_hi_u32 v10, v4, 24
	v_mul_lo_u32 v4, v4, 24
	v_add_u32_e32 v5, v10, v5
	v_lshl_add_u64 v[10:11], v[2:3], 0, v[4:5]
	global_store_dwordx2 v[10:11], v[16:17], off
	buffer_wbl2 sc0 sc1
	s_waitcnt vmcnt(0)
	global_atomic_cmpswap_x2 v[4:5], v12, v[14:17], s[2:3] offset:32 sc0 sc1
	s_waitcnt vmcnt(0)
	v_cmp_ne_u64_e32 vcc, v[4:5], v[16:17]
	s_and_saveexec_b64 s[8:9], vcc
	s_cbranch_execz .LBB2_12
; %bb.10:
	s_mov_b64 s[10:11], 0
.LBB2_11:                               ; =>This Inner Loop Header: Depth=1
	s_sleep 1
	global_store_dwordx2 v[10:11], v[4:5], off
	v_mov_b32_e32 v2, s4
	v_mov_b32_e32 v3, s5
	buffer_wbl2 sc0 sc1
	s_waitcnt vmcnt(0)
	global_atomic_cmpswap_x2 v[2:3], v12, v[2:5], s[2:3] offset:32 sc0 sc1
	s_waitcnt vmcnt(0)
	v_cmp_eq_u64_e32 vcc, v[2:3], v[4:5]
	s_or_b64 s[10:11], vcc, s[10:11]
	v_mov_b64_e32 v[4:5], v[2:3]
	s_andn2_b64 exec, exec, s[10:11]
	s_cbranch_execnz .LBB2_11
.LBB2_12:
	s_or_b64 exec, exec, s[8:9]
	v_mov_b32_e32 v5, 0
	global_load_dwordx2 v[2:3], v5, s[2:3] offset:16
	s_mov_b64 s[8:9], exec
	v_mbcnt_lo_u32_b32 v4, s8, 0
	v_mbcnt_hi_u32_b32 v4, s9, v4
	v_cmp_eq_u32_e32 vcc, 0, v4
	s_and_saveexec_b64 s[10:11], vcc
	s_cbranch_execz .LBB2_14
; %bb.13:
	s_bcnt1_i32_b64 s8, s[8:9]
	v_mov_b32_e32 v4, s8
	buffer_wbl2 sc0 sc1
	s_waitcnt vmcnt(0)
	global_atomic_add_x2 v[2:3], v[4:5], off offset:8 sc1
.LBB2_14:
	s_or_b64 exec, exec, s[10:11]
	s_waitcnt vmcnt(0)
	global_load_dwordx2 v[4:5], v[2:3], off offset:16
	s_waitcnt vmcnt(0)
	v_cmp_eq_u64_e32 vcc, 0, v[4:5]
	s_cbranch_vccnz .LBB2_16
; %bb.15:
	global_load_dword v2, v[2:3], off offset:24
	v_mov_b32_e32 v3, 0
	buffer_wbl2 sc0 sc1
	s_waitcnt vmcnt(0)
	global_store_dwordx2 v[4:5], v[2:3], off sc0 sc1
	v_and_b32_e32 v2, 0xffffff, v2
	s_nop 0
	v_readfirstlane_b32 m0, v2
	s_sendmsg sendmsg(MSG_INTERRUPT)
.LBB2_16:
	s_or_b64 exec, exec, s[6:7]
	v_lshl_add_u64 v[2:3], v[8:9], 0, v[30:31]
	s_branch .LBB2_20
.LBB2_17:                               ;   in Loop: Header=BB2_20 Depth=1
	s_or_b64 exec, exec, s[6:7]
	v_readfirstlane_b32 s6, v4
	s_cmp_eq_u32 s6, 0
	s_cbranch_scc1 .LBB2_19
; %bb.18:                               ;   in Loop: Header=BB2_20 Depth=1
	s_sleep 1
	s_cbranch_execnz .LBB2_20
	s_branch .LBB2_22
.LBB2_19:
	s_branch .LBB2_22
.LBB2_20:                               ; =>This Inner Loop Header: Depth=1
	v_mov_b32_e32 v4, 1
	s_and_saveexec_b64 s[6:7], s[0:1]
	s_cbranch_execz .LBB2_17
; %bb.21:                               ;   in Loop: Header=BB2_20 Depth=1
	global_load_dword v4, v[6:7], off offset:20 sc0 sc1
	s_waitcnt vmcnt(0)
	buffer_inv sc0 sc1
	v_and_b32_e32 v4, 1, v4
	s_branch .LBB2_17
.LBB2_22:
	global_load_dwordx2 v[2:3], v[2:3], off
	s_and_saveexec_b64 s[6:7], s[0:1]
	s_cbranch_execz .LBB2_25
; %bb.23:
	v_mov_b32_e32 v10, 0
	global_load_dwordx2 v[8:9], v10, s[2:3] offset:40
	global_load_dwordx2 v[12:13], v10, s[2:3] offset:24 sc0 sc1
	global_load_dwordx2 v[14:15], v10, s[2:3]
	s_mov_b64 s[0:1], 0
	s_waitcnt vmcnt(2)
	v_lshl_add_u64 v[4:5], v[8:9], 0, 1
	v_lshl_add_u64 v[16:17], v[4:5], 0, s[4:5]
	v_cmp_eq_u64_e32 vcc, 0, v[16:17]
	s_waitcnt vmcnt(1)
	v_mov_b32_e32 v6, v12
	v_cndmask_b32_e32 v5, v17, v5, vcc
	v_cndmask_b32_e32 v4, v16, v4, vcc
	v_and_b32_e32 v7, v5, v9
	v_and_b32_e32 v8, v4, v8
	v_mul_lo_u32 v7, v7, 24
	v_mul_hi_u32 v9, v8, 24
	v_mul_lo_u32 v8, v8, 24
	v_add_u32_e32 v9, v9, v7
	s_waitcnt vmcnt(0)
	v_lshl_add_u64 v[8:9], v[14:15], 0, v[8:9]
	global_store_dwordx2 v[8:9], v[12:13], off
	v_mov_b32_e32 v7, v13
	buffer_wbl2 sc0 sc1
	s_waitcnt vmcnt(0)
	global_atomic_cmpswap_x2 v[6:7], v10, v[4:7], s[2:3] offset:24 sc0 sc1
	s_waitcnt vmcnt(0)
	v_cmp_ne_u64_e32 vcc, v[6:7], v[12:13]
	s_and_b64 exec, exec, vcc
	s_cbranch_execz .LBB2_25
.LBB2_24:                               ; =>This Inner Loop Header: Depth=1
	s_sleep 1
	global_store_dwordx2 v[8:9], v[6:7], off
	buffer_wbl2 sc0 sc1
	s_waitcnt vmcnt(0)
	global_atomic_cmpswap_x2 v[12:13], v10, v[4:7], s[2:3] offset:24 sc0 sc1
	s_waitcnt vmcnt(0)
	v_cmp_eq_u64_e32 vcc, v[12:13], v[6:7]
	s_or_b64 s[0:1], vcc, s[0:1]
	v_mov_b64_e32 v[6:7], v[12:13]
	s_andn2_b64 exec, exec, s[0:1]
	s_cbranch_execnz .LBB2_24
.LBB2_25:
	s_or_b64 exec, exec, s[6:7]
	s_getpc_b64 s[4:5]
	s_add_u32 s4, s4, .str.6@rel32@lo+4
	s_addc_u32 s5, s5, .str.6@rel32@hi+12
	s_cmp_lg_u64 s[4:5], 0
	s_cbranch_scc0 .LBB2_110
; %bb.26:
	s_waitcnt vmcnt(0)
	v_and_b32_e32 v32, 2, v2
	v_mov_b32_e32 v35, 0
	v_and_b32_e32 v4, -3, v2
	v_mov_b32_e32 v5, v3
	s_mov_b64 s[6:7], 3
	v_mov_b32_e32 v8, 2
	v_mov_b32_e32 v9, 1
	s_branch .LBB2_28
.LBB2_27:                               ;   in Loop: Header=BB2_28 Depth=1
	s_or_b64 exec, exec, s[12:13]
	s_sub_u32 s6, s6, s8
	s_subb_u32 s7, s7, s9
	s_add_u32 s4, s4, s8
	s_addc_u32 s5, s5, s9
	s_cmp_lg_u64 s[6:7], 0
	s_cbranch_scc0 .LBB2_109
.LBB2_28:                               ; =>This Loop Header: Depth=1
                                        ;     Child Loop BB2_31 Depth 2
                                        ;     Child Loop BB2_38 Depth 2
	;; [unrolled: 1-line block ×11, first 2 shown]
	v_cmp_lt_u64_e64 s[0:1], s[6:7], 56
	s_and_b64 s[0:1], s[0:1], exec
	v_cmp_gt_u64_e64 s[0:1], s[6:7], 7
	s_cselect_b32 s9, s7, 0
	s_cselect_b32 s8, s6, 56
	s_and_b64 vcc, exec, s[0:1]
	s_cbranch_vccnz .LBB2_33
; %bb.29:                               ;   in Loop: Header=BB2_28 Depth=1
	s_mov_b64 s[0:1], 0
	s_cmp_eq_u64 s[6:7], 0
	v_mov_b64_e32 v[12:13], 0
	s_cbranch_scc1 .LBB2_32
; %bb.30:                               ;   in Loop: Header=BB2_28 Depth=1
	s_lshl_b64 s[10:11], s[8:9], 3
	s_mov_b64 s[12:13], 0
	v_mov_b64_e32 v[12:13], 0
	s_mov_b64 s[14:15], s[4:5]
.LBB2_31:                               ;   Parent Loop BB2_28 Depth=1
                                        ; =>  This Inner Loop Header: Depth=2
	global_load_ubyte v6, v35, s[14:15]
	s_waitcnt vmcnt(0)
	v_and_b32_e32 v34, 0xffff, v6
	v_lshlrev_b64 v[6:7], s12, v[34:35]
	s_add_u32 s12, s12, 8
	s_addc_u32 s13, s13, 0
	s_add_u32 s14, s14, 1
	s_addc_u32 s15, s15, 0
	v_or_b32_e32 v12, v6, v12
	s_cmp_lg_u32 s10, s12
	v_or_b32_e32 v13, v7, v13
	s_cbranch_scc1 .LBB2_31
.LBB2_32:                               ;   in Loop: Header=BB2_28 Depth=1
	s_mov_b32 s14, 0
	s_andn2_b64 vcc, exec, s[0:1]
	s_mov_b64 s[0:1], s[4:5]
	s_cbranch_vccz .LBB2_34
	s_branch .LBB2_35
.LBB2_33:                               ;   in Loop: Header=BB2_28 Depth=1
                                        ; implicit-def: $vgpr12_vgpr13
                                        ; implicit-def: $sgpr14
	s_mov_b64 s[0:1], s[4:5]
.LBB2_34:                               ;   in Loop: Header=BB2_28 Depth=1
	global_load_dwordx2 v[12:13], v35, s[4:5]
	s_add_i32 s14, s8, -8
	s_add_u32 s0, s4, 8
	s_addc_u32 s1, s5, 0
.LBB2_35:                               ;   in Loop: Header=BB2_28 Depth=1
	s_cmp_gt_u32 s14, 7
	s_cbranch_scc1 .LBB2_39
; %bb.36:                               ;   in Loop: Header=BB2_28 Depth=1
	s_cmp_eq_u32 s14, 0
	s_cbranch_scc1 .LBB2_40
; %bb.37:                               ;   in Loop: Header=BB2_28 Depth=1
	s_mov_b64 s[10:11], 0
	v_mov_b64_e32 v[14:15], 0
	s_mov_b64 s[12:13], 0
.LBB2_38:                               ;   Parent Loop BB2_28 Depth=1
                                        ; =>  This Inner Loop Header: Depth=2
	s_add_u32 s16, s0, s12
	s_addc_u32 s17, s1, s13
	global_load_ubyte v6, v35, s[16:17]
	s_add_u32 s12, s12, 1
	s_addc_u32 s13, s13, 0
	s_waitcnt vmcnt(0)
	v_and_b32_e32 v34, 0xffff, v6
	v_lshlrev_b64 v[6:7], s10, v[34:35]
	s_add_u32 s10, s10, 8
	s_addc_u32 s11, s11, 0
	v_or_b32_e32 v14, v6, v14
	s_cmp_lg_u32 s14, s12
	v_or_b32_e32 v15, v7, v15
	s_cbranch_scc1 .LBB2_38
	s_branch .LBB2_41
.LBB2_39:                               ;   in Loop: Header=BB2_28 Depth=1
                                        ; implicit-def: $vgpr14_vgpr15
                                        ; implicit-def: $sgpr15
	s_branch .LBB2_42
.LBB2_40:                               ;   in Loop: Header=BB2_28 Depth=1
	v_mov_b64_e32 v[14:15], 0
.LBB2_41:                               ;   in Loop: Header=BB2_28 Depth=1
	s_mov_b32 s15, 0
	s_cbranch_execnz .LBB2_43
.LBB2_42:                               ;   in Loop: Header=BB2_28 Depth=1
	global_load_dwordx2 v[14:15], v35, s[0:1]
	s_add_i32 s15, s14, -8
	s_add_u32 s0, s0, 8
	s_addc_u32 s1, s1, 0
.LBB2_43:                               ;   in Loop: Header=BB2_28 Depth=1
	s_cmp_gt_u32 s15, 7
	s_cbranch_scc1 .LBB2_47
; %bb.44:                               ;   in Loop: Header=BB2_28 Depth=1
	s_cmp_eq_u32 s15, 0
	s_cbranch_scc1 .LBB2_48
; %bb.45:                               ;   in Loop: Header=BB2_28 Depth=1
	s_mov_b64 s[10:11], 0
	v_mov_b64_e32 v[16:17], 0
	s_mov_b64 s[12:13], 0
.LBB2_46:                               ;   Parent Loop BB2_28 Depth=1
                                        ; =>  This Inner Loop Header: Depth=2
	s_add_u32 s16, s0, s12
	s_addc_u32 s17, s1, s13
	global_load_ubyte v6, v35, s[16:17]
	s_add_u32 s12, s12, 1
	s_addc_u32 s13, s13, 0
	s_waitcnt vmcnt(0)
	v_and_b32_e32 v34, 0xffff, v6
	v_lshlrev_b64 v[6:7], s10, v[34:35]
	s_add_u32 s10, s10, 8
	s_addc_u32 s11, s11, 0
	v_or_b32_e32 v16, v6, v16
	s_cmp_lg_u32 s15, s12
	v_or_b32_e32 v17, v7, v17
	s_cbranch_scc1 .LBB2_46
	s_branch .LBB2_49
.LBB2_47:                               ;   in Loop: Header=BB2_28 Depth=1
                                        ; implicit-def: $sgpr14
	s_branch .LBB2_50
.LBB2_48:                               ;   in Loop: Header=BB2_28 Depth=1
	v_mov_b64_e32 v[16:17], 0
.LBB2_49:                               ;   in Loop: Header=BB2_28 Depth=1
	s_mov_b32 s14, 0
	s_cbranch_execnz .LBB2_51
.LBB2_50:                               ;   in Loop: Header=BB2_28 Depth=1
	global_load_dwordx2 v[16:17], v35, s[0:1]
	s_add_i32 s14, s15, -8
	s_add_u32 s0, s0, 8
	s_addc_u32 s1, s1, 0
.LBB2_51:                               ;   in Loop: Header=BB2_28 Depth=1
	s_cmp_gt_u32 s14, 7
	s_cbranch_scc1 .LBB2_55
; %bb.52:                               ;   in Loop: Header=BB2_28 Depth=1
	s_cmp_eq_u32 s14, 0
	s_cbranch_scc1 .LBB2_56
; %bb.53:                               ;   in Loop: Header=BB2_28 Depth=1
	s_mov_b64 s[10:11], 0
	v_mov_b64_e32 v[18:19], 0
	s_mov_b64 s[12:13], 0
.LBB2_54:                               ;   Parent Loop BB2_28 Depth=1
                                        ; =>  This Inner Loop Header: Depth=2
	s_add_u32 s16, s0, s12
	s_addc_u32 s17, s1, s13
	global_load_ubyte v6, v35, s[16:17]
	s_add_u32 s12, s12, 1
	s_addc_u32 s13, s13, 0
	s_waitcnt vmcnt(0)
	v_and_b32_e32 v34, 0xffff, v6
	v_lshlrev_b64 v[6:7], s10, v[34:35]
	s_add_u32 s10, s10, 8
	s_addc_u32 s11, s11, 0
	v_or_b32_e32 v18, v6, v18
	s_cmp_lg_u32 s14, s12
	v_or_b32_e32 v19, v7, v19
	s_cbranch_scc1 .LBB2_54
	s_branch .LBB2_57
.LBB2_55:                               ;   in Loop: Header=BB2_28 Depth=1
                                        ; implicit-def: $vgpr18_vgpr19
                                        ; implicit-def: $sgpr15
	s_branch .LBB2_58
.LBB2_56:                               ;   in Loop: Header=BB2_28 Depth=1
	v_mov_b64_e32 v[18:19], 0
.LBB2_57:                               ;   in Loop: Header=BB2_28 Depth=1
	s_mov_b32 s15, 0
	s_cbranch_execnz .LBB2_59
.LBB2_58:                               ;   in Loop: Header=BB2_28 Depth=1
	global_load_dwordx2 v[18:19], v35, s[0:1]
	s_add_i32 s15, s14, -8
	s_add_u32 s0, s0, 8
	s_addc_u32 s1, s1, 0
.LBB2_59:                               ;   in Loop: Header=BB2_28 Depth=1
	s_cmp_gt_u32 s15, 7
	s_cbranch_scc1 .LBB2_63
; %bb.60:                               ;   in Loop: Header=BB2_28 Depth=1
	s_cmp_eq_u32 s15, 0
	s_cbranch_scc1 .LBB2_64
; %bb.61:                               ;   in Loop: Header=BB2_28 Depth=1
	s_mov_b64 s[10:11], 0
	v_mov_b64_e32 v[20:21], 0
	s_mov_b64 s[12:13], 0
.LBB2_62:                               ;   Parent Loop BB2_28 Depth=1
                                        ; =>  This Inner Loop Header: Depth=2
	s_add_u32 s16, s0, s12
	s_addc_u32 s17, s1, s13
	global_load_ubyte v6, v35, s[16:17]
	s_add_u32 s12, s12, 1
	s_addc_u32 s13, s13, 0
	s_waitcnt vmcnt(0)
	v_and_b32_e32 v34, 0xffff, v6
	v_lshlrev_b64 v[6:7], s10, v[34:35]
	s_add_u32 s10, s10, 8
	s_addc_u32 s11, s11, 0
	v_or_b32_e32 v20, v6, v20
	s_cmp_lg_u32 s15, s12
	v_or_b32_e32 v21, v7, v21
	s_cbranch_scc1 .LBB2_62
	s_branch .LBB2_65
.LBB2_63:                               ;   in Loop: Header=BB2_28 Depth=1
                                        ; implicit-def: $sgpr14
	s_branch .LBB2_66
.LBB2_64:                               ;   in Loop: Header=BB2_28 Depth=1
	v_mov_b64_e32 v[20:21], 0
.LBB2_65:                               ;   in Loop: Header=BB2_28 Depth=1
	s_mov_b32 s14, 0
	s_cbranch_execnz .LBB2_67
.LBB2_66:                               ;   in Loop: Header=BB2_28 Depth=1
	global_load_dwordx2 v[20:21], v35, s[0:1]
	s_add_i32 s14, s15, -8
	s_add_u32 s0, s0, 8
	s_addc_u32 s1, s1, 0
.LBB2_67:                               ;   in Loop: Header=BB2_28 Depth=1
	s_cmp_gt_u32 s14, 7
	s_cbranch_scc1 .LBB2_71
; %bb.68:                               ;   in Loop: Header=BB2_28 Depth=1
	s_cmp_eq_u32 s14, 0
	s_cbranch_scc1 .LBB2_72
; %bb.69:                               ;   in Loop: Header=BB2_28 Depth=1
	s_mov_b64 s[10:11], 0
	v_mov_b64_e32 v[22:23], 0
	s_mov_b64 s[12:13], 0
.LBB2_70:                               ;   Parent Loop BB2_28 Depth=1
                                        ; =>  This Inner Loop Header: Depth=2
	s_add_u32 s16, s0, s12
	s_addc_u32 s17, s1, s13
	global_load_ubyte v6, v35, s[16:17]
	s_add_u32 s12, s12, 1
	s_addc_u32 s13, s13, 0
	s_waitcnt vmcnt(0)
	v_and_b32_e32 v34, 0xffff, v6
	v_lshlrev_b64 v[6:7], s10, v[34:35]
	s_add_u32 s10, s10, 8
	s_addc_u32 s11, s11, 0
	v_or_b32_e32 v22, v6, v22
	s_cmp_lg_u32 s14, s12
	v_or_b32_e32 v23, v7, v23
	s_cbranch_scc1 .LBB2_70
	s_branch .LBB2_73
.LBB2_71:                               ;   in Loop: Header=BB2_28 Depth=1
                                        ; implicit-def: $vgpr22_vgpr23
                                        ; implicit-def: $sgpr15
	s_branch .LBB2_74
.LBB2_72:                               ;   in Loop: Header=BB2_28 Depth=1
	v_mov_b64_e32 v[22:23], 0
.LBB2_73:                               ;   in Loop: Header=BB2_28 Depth=1
	s_mov_b32 s15, 0
	s_cbranch_execnz .LBB2_75
.LBB2_74:                               ;   in Loop: Header=BB2_28 Depth=1
	global_load_dwordx2 v[22:23], v35, s[0:1]
	s_add_i32 s15, s14, -8
	s_add_u32 s0, s0, 8
	s_addc_u32 s1, s1, 0
.LBB2_75:                               ;   in Loop: Header=BB2_28 Depth=1
	s_cmp_gt_u32 s15, 7
	s_cbranch_scc1 .LBB2_79
; %bb.76:                               ;   in Loop: Header=BB2_28 Depth=1
	s_cmp_eq_u32 s15, 0
	s_cbranch_scc1 .LBB2_80
; %bb.77:                               ;   in Loop: Header=BB2_28 Depth=1
	s_mov_b64 s[10:11], 0
	v_mov_b64_e32 v[24:25], 0
	s_mov_b64 s[12:13], s[0:1]
.LBB2_78:                               ;   Parent Loop BB2_28 Depth=1
                                        ; =>  This Inner Loop Header: Depth=2
	global_load_ubyte v6, v35, s[12:13]
	s_add_i32 s15, s15, -1
	s_waitcnt vmcnt(0)
	v_and_b32_e32 v34, 0xffff, v6
	v_lshlrev_b64 v[6:7], s10, v[34:35]
	s_add_u32 s10, s10, 8
	s_addc_u32 s11, s11, 0
	s_add_u32 s12, s12, 1
	s_addc_u32 s13, s13, 0
	v_or_b32_e32 v24, v6, v24
	s_cmp_lg_u32 s15, 0
	v_or_b32_e32 v25, v7, v25
	s_cbranch_scc1 .LBB2_78
	s_branch .LBB2_81
.LBB2_79:                               ;   in Loop: Header=BB2_28 Depth=1
	s_branch .LBB2_82
.LBB2_80:                               ;   in Loop: Header=BB2_28 Depth=1
	v_mov_b64_e32 v[24:25], 0
.LBB2_81:                               ;   in Loop: Header=BB2_28 Depth=1
	s_cbranch_execnz .LBB2_83
.LBB2_82:                               ;   in Loop: Header=BB2_28 Depth=1
	global_load_dwordx2 v[24:25], v35, s[0:1]
.LBB2_83:                               ;   in Loop: Header=BB2_28 Depth=1
	v_readfirstlane_b32 s0, v1
	s_waitcnt vmcnt(0)
	v_mov_b64_e32 v[6:7], 0
	v_cmp_eq_u32_e64 s[0:1], s0, v1
	s_and_saveexec_b64 s[10:11], s[0:1]
	s_cbranch_execz .LBB2_89
; %bb.84:                               ;   in Loop: Header=BB2_28 Depth=1
	global_load_dwordx2 v[28:29], v35, s[2:3] offset:24 sc0 sc1
	s_waitcnt vmcnt(0)
	buffer_inv sc0 sc1
	global_load_dwordx2 v[6:7], v35, s[2:3] offset:40
	global_load_dwordx2 v[10:11], v35, s[2:3]
	s_waitcnt vmcnt(1)
	v_and_b32_e32 v6, v6, v28
	v_and_b32_e32 v7, v7, v29
	v_mul_lo_u32 v7, v7, 24
	v_mul_hi_u32 v26, v6, 24
	v_add_u32_e32 v7, v26, v7
	v_mul_lo_u32 v6, v6, 24
	s_waitcnt vmcnt(0)
	v_lshl_add_u64 v[6:7], v[10:11], 0, v[6:7]
	global_load_dwordx2 v[26:27], v[6:7], off sc0 sc1
	s_waitcnt vmcnt(0)
	global_atomic_cmpswap_x2 v[6:7], v35, v[26:29], s[2:3] offset:24 sc0 sc1
	s_waitcnt vmcnt(0)
	buffer_inv sc0 sc1
	v_cmp_ne_u64_e32 vcc, v[6:7], v[28:29]
	s_and_saveexec_b64 s[12:13], vcc
	s_cbranch_execz .LBB2_88
; %bb.85:                               ;   in Loop: Header=BB2_28 Depth=1
	s_mov_b64 s[14:15], 0
.LBB2_86:                               ;   Parent Loop BB2_28 Depth=1
                                        ; =>  This Inner Loop Header: Depth=2
	s_sleep 1
	global_load_dwordx2 v[10:11], v35, s[2:3] offset:40
	global_load_dwordx2 v[26:27], v35, s[2:3]
	v_mov_b64_e32 v[28:29], v[6:7]
	s_waitcnt vmcnt(1)
	v_and_b32_e32 v6, v10, v28
	s_waitcnt vmcnt(0)
	v_mad_u64_u32 v[6:7], s[16:17], v6, 24, v[26:27]
	v_and_b32_e32 v11, v11, v29
	v_mov_b32_e32 v10, v7
	v_mad_u64_u32 v[10:11], s[16:17], v11, 24, v[10:11]
	v_mov_b32_e32 v7, v10
	global_load_dwordx2 v[26:27], v[6:7], off sc0 sc1
	s_waitcnt vmcnt(0)
	global_atomic_cmpswap_x2 v[6:7], v35, v[26:29], s[2:3] offset:24 sc0 sc1
	s_waitcnt vmcnt(0)
	buffer_inv sc0 sc1
	v_cmp_eq_u64_e32 vcc, v[6:7], v[28:29]
	s_or_b64 s[14:15], vcc, s[14:15]
	s_andn2_b64 exec, exec, s[14:15]
	s_cbranch_execnz .LBB2_86
; %bb.87:                               ;   in Loop: Header=BB2_28 Depth=1
	s_or_b64 exec, exec, s[14:15]
.LBB2_88:                               ;   in Loop: Header=BB2_28 Depth=1
	s_or_b64 exec, exec, s[12:13]
.LBB2_89:                               ;   in Loop: Header=BB2_28 Depth=1
	s_or_b64 exec, exec, s[10:11]
	global_load_dwordx2 v[10:11], v35, s[2:3] offset:40
	global_load_dwordx4 v[26:29], v35, s[2:3]
	v_readfirstlane_b32 s10, v6
	v_readfirstlane_b32 s11, v7
	s_mov_b64 s[12:13], exec
	s_waitcnt vmcnt(1)
	v_readfirstlane_b32 s14, v10
	v_readfirstlane_b32 s15, v11
	s_and_b64 s[14:15], s[10:11], s[14:15]
	s_mul_i32 s16, s15, 24
	s_mul_hi_u32 s17, s14, 24
	s_add_i32 s17, s17, s16
	s_mul_i32 s16, s14, 24
	s_waitcnt vmcnt(0)
	v_lshl_add_u64 v[36:37], v[26:27], 0, s[16:17]
	s_and_saveexec_b64 s[16:17], s[0:1]
	s_cbranch_execz .LBB2_91
; %bb.90:                               ;   in Loop: Header=BB2_28 Depth=1
	v_mov_b64_e32 v[6:7], s[12:13]
	global_store_dwordx4 v[36:37], v[6:9], off offset:8
.LBB2_91:                               ;   in Loop: Header=BB2_28 Depth=1
	s_or_b64 exec, exec, s[16:17]
	s_lshl_b64 s[12:13], s[14:15], 12
	v_lshl_add_u64 v[28:29], v[28:29], 0, s[12:13]
	v_or_b32_e32 v7, v4, v32
	v_cmp_gt_u64_e64 vcc, s[6:7], 56
	s_lshl_b32 s12, s8, 2
	s_add_i32 s12, s12, 28
	v_cndmask_b32_e32 v4, v7, v4, vcc
	v_or_b32_e32 v6, 0, v5
	s_and_b32 s12, s12, 0x1e0
	v_and_b32_e32 v4, 0xffffff1f, v4
	v_cndmask_b32_e32 v11, v6, v5, vcc
	v_or_b32_e32 v10, s12, v4
	v_readfirstlane_b32 s12, v28
	v_readfirstlane_b32 s13, v29
	s_nop 4
	global_store_dwordx4 v30, v[10:13], s[12:13]
	global_store_dwordx4 v30, v[14:17], s[12:13] offset:16
	global_store_dwordx4 v30, v[18:21], s[12:13] offset:32
	;; [unrolled: 1-line block ×3, first 2 shown]
	s_and_saveexec_b64 s[12:13], s[0:1]
	s_cbranch_execz .LBB2_99
; %bb.92:                               ;   in Loop: Header=BB2_28 Depth=1
	global_load_dwordx2 v[14:15], v35, s[2:3] offset:32 sc0 sc1
	global_load_dwordx2 v[4:5], v35, s[2:3] offset:40
	v_mov_b32_e32 v12, s10
	v_mov_b32_e32 v13, s11
	s_waitcnt vmcnt(0)
	v_readfirstlane_b32 s14, v4
	v_readfirstlane_b32 s15, v5
	s_and_b64 s[14:15], s[14:15], s[10:11]
	s_mul_i32 s15, s15, 24
	s_mul_hi_u32 s16, s14, 24
	s_mul_i32 s14, s14, 24
	s_add_i32 s15, s16, s15
	v_lshl_add_u64 v[10:11], v[26:27], 0, s[14:15]
	global_store_dwordx2 v[10:11], v[14:15], off
	buffer_wbl2 sc0 sc1
	s_waitcnt vmcnt(0)
	global_atomic_cmpswap_x2 v[6:7], v35, v[12:15], s[2:3] offset:32 sc0 sc1
	s_waitcnt vmcnt(0)
	v_cmp_ne_u64_e32 vcc, v[6:7], v[14:15]
	s_and_saveexec_b64 s[14:15], vcc
	s_cbranch_execz .LBB2_95
; %bb.93:                               ;   in Loop: Header=BB2_28 Depth=1
	s_mov_b64 s[16:17], 0
.LBB2_94:                               ;   Parent Loop BB2_28 Depth=1
                                        ; =>  This Inner Loop Header: Depth=2
	s_sleep 1
	global_store_dwordx2 v[10:11], v[6:7], off
	v_mov_b32_e32 v4, s10
	v_mov_b32_e32 v5, s11
	buffer_wbl2 sc0 sc1
	s_waitcnt vmcnt(0)
	global_atomic_cmpswap_x2 v[4:5], v35, v[4:7], s[2:3] offset:32 sc0 sc1
	s_waitcnt vmcnt(0)
	v_cmp_eq_u64_e32 vcc, v[4:5], v[6:7]
	s_or_b64 s[16:17], vcc, s[16:17]
	v_mov_b64_e32 v[6:7], v[4:5]
	s_andn2_b64 exec, exec, s[16:17]
	s_cbranch_execnz .LBB2_94
.LBB2_95:                               ;   in Loop: Header=BB2_28 Depth=1
	s_or_b64 exec, exec, s[14:15]
	global_load_dwordx2 v[4:5], v35, s[2:3] offset:16
	s_mov_b64 s[16:17], exec
	v_mbcnt_lo_u32_b32 v6, s16, 0
	v_mbcnt_hi_u32_b32 v6, s17, v6
	v_cmp_eq_u32_e32 vcc, 0, v6
	s_and_saveexec_b64 s[14:15], vcc
	s_cbranch_execz .LBB2_97
; %bb.96:                               ;   in Loop: Header=BB2_28 Depth=1
	s_bcnt1_i32_b64 s16, s[16:17]
	v_mov_b32_e32 v34, s16
	buffer_wbl2 sc0 sc1
	s_waitcnt vmcnt(0)
	global_atomic_add_x2 v[4:5], v[34:35], off offset:8 sc1
.LBB2_97:                               ;   in Loop: Header=BB2_28 Depth=1
	s_or_b64 exec, exec, s[14:15]
	s_waitcnt vmcnt(0)
	global_load_dwordx2 v[6:7], v[4:5], off offset:16
	s_waitcnt vmcnt(0)
	v_cmp_eq_u64_e32 vcc, 0, v[6:7]
	s_cbranch_vccnz .LBB2_99
; %bb.98:                               ;   in Loop: Header=BB2_28 Depth=1
	global_load_dword v34, v[4:5], off offset:24
	s_waitcnt vmcnt(0)
	v_and_b32_e32 v4, 0xffffff, v34
	s_nop 0
	v_readfirstlane_b32 m0, v4
	buffer_wbl2 sc0 sc1
	global_store_dwordx2 v[6:7], v[34:35], off sc0 sc1
	s_sendmsg sendmsg(MSG_INTERRUPT)
.LBB2_99:                               ;   in Loop: Header=BB2_28 Depth=1
	s_or_b64 exec, exec, s[12:13]
	v_mov_b32_e32 v31, v35
	v_lshl_add_u64 v[4:5], v[28:29], 0, v[30:31]
	s_branch .LBB2_103
.LBB2_100:                              ;   in Loop: Header=BB2_103 Depth=2
	s_or_b64 exec, exec, s[12:13]
	v_readfirstlane_b32 s12, v6
	s_cmp_eq_u32 s12, 0
	s_cbranch_scc1 .LBB2_102
; %bb.101:                              ;   in Loop: Header=BB2_103 Depth=2
	s_sleep 1
	s_cbranch_execnz .LBB2_103
	s_branch .LBB2_105
.LBB2_102:                              ;   in Loop: Header=BB2_28 Depth=1
	s_branch .LBB2_105
.LBB2_103:                              ;   Parent Loop BB2_28 Depth=1
                                        ; =>  This Inner Loop Header: Depth=2
	v_mov_b32_e32 v6, 1
	s_and_saveexec_b64 s[12:13], s[0:1]
	s_cbranch_execz .LBB2_100
; %bb.104:                              ;   in Loop: Header=BB2_103 Depth=2
	global_load_dword v6, v[36:37], off offset:20 sc0 sc1
	s_waitcnt vmcnt(0)
	buffer_inv sc0 sc1
	v_and_b32_e32 v6, 1, v6
	s_branch .LBB2_100
.LBB2_105:                              ;   in Loop: Header=BB2_28 Depth=1
	global_load_dwordx4 v[4:7], v[4:5], off
	s_and_saveexec_b64 s[12:13], s[0:1]
	s_cbranch_execz .LBB2_27
; %bb.106:                              ;   in Loop: Header=BB2_28 Depth=1
	global_load_dwordx2 v[6:7], v35, s[2:3] offset:40
	global_load_dwordx2 v[14:15], v35, s[2:3] offset:24 sc0 sc1
	global_load_dwordx2 v[16:17], v35, s[2:3]
	s_waitcnt vmcnt(2)
	v_lshl_add_u64 v[10:11], v[6:7], 0, 1
	v_lshl_add_u64 v[18:19], v[10:11], 0, s[10:11]
	v_cmp_eq_u64_e32 vcc, 0, v[18:19]
	s_waitcnt vmcnt(1)
	v_mov_b32_e32 v12, v14
	v_cndmask_b32_e32 v11, v19, v11, vcc
	v_cndmask_b32_e32 v10, v18, v10, vcc
	v_and_b32_e32 v7, v11, v7
	v_and_b32_e32 v6, v10, v6
	v_mul_lo_u32 v7, v7, 24
	v_mul_hi_u32 v13, v6, 24
	v_mul_lo_u32 v6, v6, 24
	v_add_u32_e32 v7, v13, v7
	s_waitcnt vmcnt(0)
	v_lshl_add_u64 v[6:7], v[16:17], 0, v[6:7]
	global_store_dwordx2 v[6:7], v[14:15], off
	v_mov_b32_e32 v13, v15
	buffer_wbl2 sc0 sc1
	s_waitcnt vmcnt(0)
	global_atomic_cmpswap_x2 v[12:13], v35, v[10:13], s[2:3] offset:24 sc0 sc1
	s_waitcnt vmcnt(0)
	v_cmp_ne_u64_e32 vcc, v[12:13], v[14:15]
	s_and_b64 exec, exec, vcc
	s_cbranch_execz .LBB2_27
; %bb.107:                              ;   in Loop: Header=BB2_28 Depth=1
	s_mov_b64 s[0:1], 0
.LBB2_108:                              ;   Parent Loop BB2_28 Depth=1
                                        ; =>  This Inner Loop Header: Depth=2
	s_sleep 1
	global_store_dwordx2 v[6:7], v[12:13], off
	buffer_wbl2 sc0 sc1
	s_waitcnt vmcnt(0)
	global_atomic_cmpswap_x2 v[14:15], v35, v[10:13], s[2:3] offset:24 sc0 sc1
	s_waitcnt vmcnt(0)
	v_cmp_eq_u64_e32 vcc, v[14:15], v[12:13]
	s_or_b64 s[0:1], vcc, s[0:1]
	v_mov_b64_e32 v[12:13], v[14:15]
	s_andn2_b64 exec, exec, s[0:1]
	s_cbranch_execnz .LBB2_108
	s_branch .LBB2_27
.LBB2_109:
	s_branch .LBB2_137
.LBB2_110:
                                        ; implicit-def: $vgpr4_vgpr5
	s_cbranch_execz .LBB2_137
; %bb.111:
	v_readfirstlane_b32 s0, v1
	s_waitcnt vmcnt(0)
	v_mov_b64_e32 v[4:5], 0
	v_cmp_eq_u32_e64 s[0:1], s0, v1
	s_and_saveexec_b64 s[4:5], s[0:1]
	s_cbranch_execz .LBB2_117
; %bb.112:
	v_mov_b32_e32 v6, 0
	global_load_dwordx2 v[10:11], v6, s[2:3] offset:24 sc0 sc1
	s_waitcnt vmcnt(0)
	buffer_inv sc0 sc1
	global_load_dwordx2 v[4:5], v6, s[2:3] offset:40
	global_load_dwordx2 v[8:9], v6, s[2:3]
	s_waitcnt vmcnt(1)
	v_and_b32_e32 v4, v4, v10
	v_and_b32_e32 v5, v5, v11
	v_mul_lo_u32 v5, v5, 24
	v_mul_hi_u32 v7, v4, 24
	v_add_u32_e32 v5, v7, v5
	v_mul_lo_u32 v4, v4, 24
	s_waitcnt vmcnt(0)
	v_lshl_add_u64 v[4:5], v[8:9], 0, v[4:5]
	global_load_dwordx2 v[8:9], v[4:5], off sc0 sc1
	s_waitcnt vmcnt(0)
	global_atomic_cmpswap_x2 v[4:5], v6, v[8:11], s[2:3] offset:24 sc0 sc1
	s_waitcnt vmcnt(0)
	buffer_inv sc0 sc1
	v_cmp_ne_u64_e32 vcc, v[4:5], v[10:11]
	s_and_saveexec_b64 s[6:7], vcc
	s_cbranch_execz .LBB2_116
; %bb.113:
	s_mov_b64 s[8:9], 0
.LBB2_114:                              ; =>This Inner Loop Header: Depth=1
	s_sleep 1
	global_load_dwordx2 v[8:9], v6, s[2:3] offset:40
	global_load_dwordx2 v[12:13], v6, s[2:3]
	v_mov_b64_e32 v[10:11], v[4:5]
	s_waitcnt vmcnt(1)
	v_and_b32_e32 v4, v8, v10
	s_waitcnt vmcnt(0)
	v_mad_u64_u32 v[4:5], s[10:11], v4, 24, v[12:13]
	v_and_b32_e32 v7, v9, v11
	v_mov_b32_e32 v8, v5
	v_mad_u64_u32 v[8:9], s[10:11], v7, 24, v[8:9]
	v_mov_b32_e32 v5, v8
	global_load_dwordx2 v[8:9], v[4:5], off sc0 sc1
	s_waitcnt vmcnt(0)
	global_atomic_cmpswap_x2 v[4:5], v6, v[8:11], s[2:3] offset:24 sc0 sc1
	s_waitcnt vmcnt(0)
	buffer_inv sc0 sc1
	v_cmp_eq_u64_e32 vcc, v[4:5], v[10:11]
	s_or_b64 s[8:9], vcc, s[8:9]
	s_andn2_b64 exec, exec, s[8:9]
	s_cbranch_execnz .LBB2_114
; %bb.115:
	s_or_b64 exec, exec, s[8:9]
.LBB2_116:
	s_or_b64 exec, exec, s[6:7]
.LBB2_117:
	s_or_b64 exec, exec, s[4:5]
	v_mov_b32_e32 v31, 0
	global_load_dwordx2 v[10:11], v31, s[2:3] offset:40
	global_load_dwordx4 v[6:9], v31, s[2:3]
	v_readfirstlane_b32 s4, v4
	v_readfirstlane_b32 s5, v5
	s_mov_b64 s[6:7], exec
	s_waitcnt vmcnt(1)
	v_readfirstlane_b32 s8, v10
	v_readfirstlane_b32 s9, v11
	s_and_b64 s[8:9], s[4:5], s[8:9]
	s_mul_i32 s10, s9, 24
	s_mul_hi_u32 s11, s8, 24
	s_add_i32 s11, s11, s10
	s_mul_i32 s10, s8, 24
	s_waitcnt vmcnt(0)
	v_lshl_add_u64 v[10:11], v[6:7], 0, s[10:11]
	s_and_saveexec_b64 s[10:11], s[0:1]
	s_cbranch_execz .LBB2_119
; %bb.118:
	v_mov_b64_e32 v[12:13], s[6:7]
	v_mov_b32_e32 v14, 2
	v_mov_b32_e32 v15, 1
	global_store_dwordx4 v[10:11], v[12:15], off offset:8
.LBB2_119:
	s_or_b64 exec, exec, s[10:11]
	s_lshl_b64 s[6:7], s[8:9], 12
	v_lshl_add_u64 v[8:9], v[8:9], 0, s[6:7]
	s_movk_i32 s6, 0xff1f
	s_mov_b32 s8, 0
	v_and_or_b32 v2, v2, s6, 32
	v_mov_b32_e32 v4, v31
	v_mov_b32_e32 v5, v31
	v_readfirstlane_b32 s6, v8
	v_readfirstlane_b32 s7, v9
	s_mov_b32 s9, s8
	s_mov_b32 s10, s8
	;; [unrolled: 1-line block ×3, first 2 shown]
	s_nop 1
	global_store_dwordx4 v30, v[2:5], s[6:7]
	s_nop 1
	v_mov_b64_e32 v[2:3], s[8:9]
	v_mov_b64_e32 v[4:5], s[10:11]
	global_store_dwordx4 v30, v[2:5], s[6:7] offset:16
	global_store_dwordx4 v30, v[2:5], s[6:7] offset:32
	;; [unrolled: 1-line block ×3, first 2 shown]
	s_and_saveexec_b64 s[6:7], s[0:1]
	s_cbranch_execz .LBB2_127
; %bb.120:
	v_mov_b32_e32 v12, 0
	global_load_dwordx2 v[16:17], v12, s[2:3] offset:32 sc0 sc1
	global_load_dwordx2 v[2:3], v12, s[2:3] offset:40
	v_mov_b32_e32 v14, s4
	v_mov_b32_e32 v15, s5
	s_waitcnt vmcnt(0)
	v_readfirstlane_b32 s8, v2
	v_readfirstlane_b32 s9, v3
	s_and_b64 s[8:9], s[8:9], s[4:5]
	s_mul_i32 s9, s9, 24
	s_mul_hi_u32 s10, s8, 24
	s_mul_i32 s8, s8, 24
	s_add_i32 s9, s10, s9
	v_lshl_add_u64 v[6:7], v[6:7], 0, s[8:9]
	global_store_dwordx2 v[6:7], v[16:17], off
	buffer_wbl2 sc0 sc1
	s_waitcnt vmcnt(0)
	global_atomic_cmpswap_x2 v[4:5], v12, v[14:17], s[2:3] offset:32 sc0 sc1
	s_waitcnt vmcnt(0)
	v_cmp_ne_u64_e32 vcc, v[4:5], v[16:17]
	s_and_saveexec_b64 s[8:9], vcc
	s_cbranch_execz .LBB2_123
; %bb.121:
	s_mov_b64 s[10:11], 0
.LBB2_122:                              ; =>This Inner Loop Header: Depth=1
	s_sleep 1
	global_store_dwordx2 v[6:7], v[4:5], off
	v_mov_b32_e32 v2, s4
	v_mov_b32_e32 v3, s5
	buffer_wbl2 sc0 sc1
	s_waitcnt vmcnt(0)
	global_atomic_cmpswap_x2 v[2:3], v12, v[2:5], s[2:3] offset:32 sc0 sc1
	s_waitcnt vmcnt(0)
	v_cmp_eq_u64_e32 vcc, v[2:3], v[4:5]
	s_or_b64 s[10:11], vcc, s[10:11]
	v_mov_b64_e32 v[4:5], v[2:3]
	s_andn2_b64 exec, exec, s[10:11]
	s_cbranch_execnz .LBB2_122
.LBB2_123:
	s_or_b64 exec, exec, s[8:9]
	v_mov_b32_e32 v5, 0
	global_load_dwordx2 v[2:3], v5, s[2:3] offset:16
	s_mov_b64 s[8:9], exec
	v_mbcnt_lo_u32_b32 v4, s8, 0
	v_mbcnt_hi_u32_b32 v4, s9, v4
	v_cmp_eq_u32_e32 vcc, 0, v4
	s_and_saveexec_b64 s[10:11], vcc
	s_cbranch_execz .LBB2_125
; %bb.124:
	s_bcnt1_i32_b64 s8, s[8:9]
	v_mov_b32_e32 v4, s8
	buffer_wbl2 sc0 sc1
	s_waitcnt vmcnt(0)
	global_atomic_add_x2 v[2:3], v[4:5], off offset:8 sc1
.LBB2_125:
	s_or_b64 exec, exec, s[10:11]
	s_waitcnt vmcnt(0)
	global_load_dwordx2 v[4:5], v[2:3], off offset:16
	s_waitcnt vmcnt(0)
	v_cmp_eq_u64_e32 vcc, 0, v[4:5]
	s_cbranch_vccnz .LBB2_127
; %bb.126:
	global_load_dword v2, v[2:3], off offset:24
	v_mov_b32_e32 v3, 0
	buffer_wbl2 sc0 sc1
	s_waitcnt vmcnt(0)
	global_store_dwordx2 v[4:5], v[2:3], off sc0 sc1
	v_and_b32_e32 v2, 0xffffff, v2
	s_nop 0
	v_readfirstlane_b32 m0, v2
	s_sendmsg sendmsg(MSG_INTERRUPT)
.LBB2_127:
	s_or_b64 exec, exec, s[6:7]
	v_lshl_add_u64 v[2:3], v[8:9], 0, v[30:31]
	s_branch .LBB2_131
.LBB2_128:                              ;   in Loop: Header=BB2_131 Depth=1
	s_or_b64 exec, exec, s[6:7]
	v_readfirstlane_b32 s6, v4
	s_cmp_eq_u32 s6, 0
	s_cbranch_scc1 .LBB2_130
; %bb.129:                              ;   in Loop: Header=BB2_131 Depth=1
	s_sleep 1
	s_cbranch_execnz .LBB2_131
	s_branch .LBB2_133
.LBB2_130:
	s_branch .LBB2_133
.LBB2_131:                              ; =>This Inner Loop Header: Depth=1
	v_mov_b32_e32 v4, 1
	s_and_saveexec_b64 s[6:7], s[0:1]
	s_cbranch_execz .LBB2_128
; %bb.132:                              ;   in Loop: Header=BB2_131 Depth=1
	global_load_dword v4, v[10:11], off offset:20 sc0 sc1
	s_waitcnt vmcnt(0)
	buffer_inv sc0 sc1
	v_and_b32_e32 v4, 1, v4
	s_branch .LBB2_128
.LBB2_133:
	global_load_dwordx2 v[4:5], v[2:3], off
	s_and_saveexec_b64 s[6:7], s[0:1]
	s_cbranch_execz .LBB2_136
; %bb.134:
	v_mov_b32_e32 v10, 0
	global_load_dwordx2 v[2:3], v10, s[2:3] offset:40
	global_load_dwordx2 v[12:13], v10, s[2:3] offset:24 sc0 sc1
	global_load_dwordx2 v[14:15], v10, s[2:3]
	s_mov_b64 s[0:1], 0
	s_waitcnt vmcnt(2)
	v_lshl_add_u64 v[6:7], v[2:3], 0, 1
	v_lshl_add_u64 v[16:17], v[6:7], 0, s[4:5]
	v_cmp_eq_u64_e32 vcc, 0, v[16:17]
	s_waitcnt vmcnt(1)
	v_mov_b32_e32 v8, v12
	v_cndmask_b32_e32 v7, v17, v7, vcc
	v_cndmask_b32_e32 v6, v16, v6, vcc
	v_and_b32_e32 v3, v7, v3
	v_and_b32_e32 v2, v6, v2
	v_mul_lo_u32 v3, v3, 24
	v_mul_hi_u32 v9, v2, 24
	v_mul_lo_u32 v2, v2, 24
	v_add_u32_e32 v3, v9, v3
	s_waitcnt vmcnt(0)
	v_lshl_add_u64 v[2:3], v[14:15], 0, v[2:3]
	global_store_dwordx2 v[2:3], v[12:13], off
	v_mov_b32_e32 v9, v13
	buffer_wbl2 sc0 sc1
	s_waitcnt vmcnt(0)
	global_atomic_cmpswap_x2 v[8:9], v10, v[6:9], s[2:3] offset:24 sc0 sc1
	s_waitcnt vmcnt(0)
	v_cmp_ne_u64_e32 vcc, v[8:9], v[12:13]
	s_and_b64 exec, exec, vcc
	s_cbranch_execz .LBB2_136
.LBB2_135:                              ; =>This Inner Loop Header: Depth=1
	s_sleep 1
	global_store_dwordx2 v[2:3], v[8:9], off
	buffer_wbl2 sc0 sc1
	s_waitcnt vmcnt(0)
	global_atomic_cmpswap_x2 v[12:13], v10, v[6:9], s[2:3] offset:24 sc0 sc1
	s_waitcnt vmcnt(0)
	v_cmp_eq_u64_e32 vcc, v[12:13], v[8:9]
	s_or_b64 s[0:1], vcc, s[0:1]
	v_mov_b64_e32 v[8:9], v[12:13]
	s_andn2_b64 exec, exec, s[0:1]
	s_cbranch_execnz .LBB2_135
.LBB2_136:
	s_or_b64 exec, exec, s[6:7]
.LBB2_137:
	v_readfirstlane_b32 s0, v1
	s_waitcnt vmcnt(0)
	v_mov_b64_e32 v[2:3], 0
	v_cmp_eq_u32_e64 s[0:1], s0, v1
	s_and_saveexec_b64 s[4:5], s[0:1]
	s_cbranch_execz .LBB2_143
; %bb.138:
	v_mov_b32_e32 v1, 0
	global_load_dwordx2 v[8:9], v1, s[2:3] offset:24 sc0 sc1
	s_waitcnt vmcnt(0)
	buffer_inv sc0 sc1
	global_load_dwordx2 v[2:3], v1, s[2:3] offset:40
	global_load_dwordx2 v[6:7], v1, s[2:3]
	s_waitcnt vmcnt(1)
	v_and_b32_e32 v2, v2, v8
	v_and_b32_e32 v3, v3, v9
	v_mul_lo_u32 v3, v3, 24
	v_mul_hi_u32 v10, v2, 24
	v_add_u32_e32 v3, v10, v3
	v_mul_lo_u32 v2, v2, 24
	s_waitcnt vmcnt(0)
	v_lshl_add_u64 v[2:3], v[6:7], 0, v[2:3]
	global_load_dwordx2 v[6:7], v[2:3], off sc0 sc1
	s_waitcnt vmcnt(0)
	global_atomic_cmpswap_x2 v[2:3], v1, v[6:9], s[2:3] offset:24 sc0 sc1
	s_waitcnt vmcnt(0)
	buffer_inv sc0 sc1
	v_cmp_ne_u64_e32 vcc, v[2:3], v[8:9]
	s_and_saveexec_b64 s[6:7], vcc
	s_cbranch_execz .LBB2_142
; %bb.139:
	s_mov_b64 s[8:9], 0
.LBB2_140:                              ; =>This Inner Loop Header: Depth=1
	s_sleep 1
	global_load_dwordx2 v[6:7], v1, s[2:3] offset:40
	global_load_dwordx2 v[10:11], v1, s[2:3]
	v_mov_b64_e32 v[8:9], v[2:3]
	s_waitcnt vmcnt(1)
	v_and_b32_e32 v2, v6, v8
	s_waitcnt vmcnt(0)
	v_mad_u64_u32 v[2:3], s[10:11], v2, 24, v[10:11]
	v_and_b32_e32 v7, v7, v9
	v_mov_b32_e32 v6, v3
	v_mad_u64_u32 v[6:7], s[10:11], v7, 24, v[6:7]
	v_mov_b32_e32 v3, v6
	global_load_dwordx2 v[6:7], v[2:3], off sc0 sc1
	s_waitcnt vmcnt(0)
	global_atomic_cmpswap_x2 v[2:3], v1, v[6:9], s[2:3] offset:24 sc0 sc1
	s_waitcnt vmcnt(0)
	buffer_inv sc0 sc1
	v_cmp_eq_u64_e32 vcc, v[2:3], v[8:9]
	s_or_b64 s[8:9], vcc, s[8:9]
	s_andn2_b64 exec, exec, s[8:9]
	s_cbranch_execnz .LBB2_140
; %bb.141:
	s_or_b64 exec, exec, s[8:9]
.LBB2_142:
	s_or_b64 exec, exec, s[6:7]
.LBB2_143:
	s_or_b64 exec, exec, s[4:5]
	v_mov_b32_e32 v7, 0
	global_load_dwordx2 v[12:13], v7, s[2:3] offset:40
	global_load_dwordx4 v[8:11], v7, s[2:3]
	v_readfirstlane_b32 s4, v2
	v_readfirstlane_b32 s5, v3
	s_mov_b64 s[6:7], exec
	s_waitcnt vmcnt(1)
	v_readfirstlane_b32 s8, v12
	v_readfirstlane_b32 s9, v13
	s_and_b64 s[8:9], s[4:5], s[8:9]
	s_mul_i32 s10, s9, 24
	s_mul_hi_u32 s11, s8, 24
	s_add_i32 s11, s11, s10
	s_mul_i32 s10, s8, 24
	s_waitcnt vmcnt(0)
	v_lshl_add_u64 v[12:13], v[8:9], 0, s[10:11]
	s_and_saveexec_b64 s[10:11], s[0:1]
	s_cbranch_execz .LBB2_145
; %bb.144:
	v_mov_b64_e32 v[14:15], s[6:7]
	v_mov_b32_e32 v16, 2
	v_mov_b32_e32 v17, 1
	global_store_dwordx4 v[12:13], v[14:17], off offset:8
.LBB2_145:
	s_or_b64 exec, exec, s[10:11]
	s_lshl_b64 s[6:7], s[8:9], 12
	s_mov_b32 s8, 0
	v_lshl_add_u64 v[2:3], v[10:11], 0, s[6:7]
	s_movk_i32 s6, 0xff1d
	s_mov_b32 s9, s8
	v_bfe_i32 v6, v0, 0, 16
	v_and_or_b32 v4, v4, s6, 34
	v_readfirstlane_b32 s6, v2
	v_readfirstlane_b32 s7, v3
	s_mov_b32 s10, s8
	s_mov_b32 s11, s8
	v_mov_b64_e32 v[0:1], s[8:9]
	v_mov_b64_e32 v[2:3], s[10:11]
	s_nop 0
	global_store_dwordx4 v30, v[4:7], s[6:7]
	global_store_dwordx4 v30, v[0:3], s[6:7] offset:16
	global_store_dwordx4 v30, v[0:3], s[6:7] offset:32
	global_store_dwordx4 v30, v[0:3], s[6:7] offset:48
	s_and_saveexec_b64 s[6:7], s[0:1]
	s_cbranch_execz .LBB2_153
; %bb.146:
	v_mov_b32_e32 v6, 0
	global_load_dwordx2 v[16:17], v6, s[2:3] offset:32 sc0 sc1
	global_load_dwordx2 v[0:1], v6, s[2:3] offset:40
	v_mov_b32_e32 v14, s4
	v_mov_b32_e32 v15, s5
	s_waitcnt vmcnt(0)
	v_readfirstlane_b32 s8, v0
	v_readfirstlane_b32 s9, v1
	s_and_b64 s[8:9], s[8:9], s[4:5]
	s_mul_i32 s9, s9, 24
	s_mul_hi_u32 s10, s8, 24
	s_mul_i32 s8, s8, 24
	s_add_i32 s9, s10, s9
	v_lshl_add_u64 v[4:5], v[8:9], 0, s[8:9]
	global_store_dwordx2 v[4:5], v[16:17], off
	buffer_wbl2 sc0 sc1
	s_waitcnt vmcnt(0)
	global_atomic_cmpswap_x2 v[2:3], v6, v[14:17], s[2:3] offset:32 sc0 sc1
	s_waitcnt vmcnt(0)
	v_cmp_ne_u64_e32 vcc, v[2:3], v[16:17]
	s_and_saveexec_b64 s[8:9], vcc
	s_cbranch_execz .LBB2_149
; %bb.147:
	s_mov_b64 s[10:11], 0
.LBB2_148:                              ; =>This Inner Loop Header: Depth=1
	s_sleep 1
	global_store_dwordx2 v[4:5], v[2:3], off
	v_mov_b32_e32 v0, s4
	v_mov_b32_e32 v1, s5
	buffer_wbl2 sc0 sc1
	s_waitcnt vmcnt(0)
	global_atomic_cmpswap_x2 v[0:1], v6, v[0:3], s[2:3] offset:32 sc0 sc1
	s_waitcnt vmcnt(0)
	v_cmp_eq_u64_e32 vcc, v[0:1], v[2:3]
	s_or_b64 s[10:11], vcc, s[10:11]
	v_mov_b64_e32 v[2:3], v[0:1]
	s_andn2_b64 exec, exec, s[10:11]
	s_cbranch_execnz .LBB2_148
.LBB2_149:
	s_or_b64 exec, exec, s[8:9]
	v_mov_b32_e32 v3, 0
	global_load_dwordx2 v[0:1], v3, s[2:3] offset:16
	s_mov_b64 s[8:9], exec
	v_mbcnt_lo_u32_b32 v2, s8, 0
	v_mbcnt_hi_u32_b32 v2, s9, v2
	v_cmp_eq_u32_e32 vcc, 0, v2
	s_and_saveexec_b64 s[10:11], vcc
	s_cbranch_execz .LBB2_151
; %bb.150:
	s_bcnt1_i32_b64 s8, s[8:9]
	v_mov_b32_e32 v2, s8
	buffer_wbl2 sc0 sc1
	s_waitcnt vmcnt(0)
	global_atomic_add_x2 v[0:1], v[2:3], off offset:8 sc1
.LBB2_151:
	s_or_b64 exec, exec, s[10:11]
	s_waitcnt vmcnt(0)
	global_load_dwordx2 v[2:3], v[0:1], off offset:16
	s_waitcnt vmcnt(0)
	v_cmp_eq_u64_e32 vcc, 0, v[2:3]
	s_cbranch_vccnz .LBB2_153
; %bb.152:
	global_load_dword v0, v[0:1], off offset:24
	v_mov_b32_e32 v1, 0
	buffer_wbl2 sc0 sc1
	s_waitcnt vmcnt(0)
	global_store_dwordx2 v[2:3], v[0:1], off sc0 sc1
	v_and_b32_e32 v0, 0xffffff, v0
	s_nop 0
	v_readfirstlane_b32 m0, v0
	s_sendmsg sendmsg(MSG_INTERRUPT)
.LBB2_153:
	s_or_b64 exec, exec, s[6:7]
	s_branch .LBB2_157
.LBB2_154:                              ;   in Loop: Header=BB2_157 Depth=1
	s_or_b64 exec, exec, s[6:7]
	v_readfirstlane_b32 s6, v0
	s_cmp_eq_u32 s6, 0
	s_cbranch_scc1 .LBB2_156
; %bb.155:                              ;   in Loop: Header=BB2_157 Depth=1
	s_sleep 1
	s_cbranch_execnz .LBB2_157
	s_branch .LBB2_159
.LBB2_156:
	s_branch .LBB2_159
.LBB2_157:                              ; =>This Inner Loop Header: Depth=1
	v_mov_b32_e32 v0, 1
	s_and_saveexec_b64 s[6:7], s[0:1]
	s_cbranch_execz .LBB2_154
; %bb.158:                              ;   in Loop: Header=BB2_157 Depth=1
	global_load_dword v0, v[12:13], off offset:20 sc0 sc1
	s_waitcnt vmcnt(0)
	buffer_inv sc0 sc1
	v_and_b32_e32 v0, 1, v0
	s_branch .LBB2_154
.LBB2_159:
	s_and_saveexec_b64 s[6:7], s[0:1]
	s_cbranch_execz .LBB2_162
; %bb.160:
	v_mov_b32_e32 v6, 0
	global_load_dwordx2 v[4:5], v6, s[2:3] offset:40
	global_load_dwordx2 v[8:9], v6, s[2:3] offset:24 sc0 sc1
	global_load_dwordx2 v[10:11], v6, s[2:3]
	s_mov_b64 s[0:1], 0
	s_waitcnt vmcnt(2)
	v_lshl_add_u64 v[0:1], v[4:5], 0, 1
	v_lshl_add_u64 v[12:13], v[0:1], 0, s[4:5]
	v_cmp_eq_u64_e32 vcc, 0, v[12:13]
	s_waitcnt vmcnt(1)
	v_mov_b32_e32 v2, v8
	v_cndmask_b32_e32 v1, v13, v1, vcc
	v_cndmask_b32_e32 v0, v12, v0, vcc
	v_and_b32_e32 v3, v1, v5
	v_and_b32_e32 v4, v0, v4
	v_mul_lo_u32 v3, v3, 24
	v_mul_hi_u32 v5, v4, 24
	v_mul_lo_u32 v4, v4, 24
	v_add_u32_e32 v5, v5, v3
	s_waitcnt vmcnt(0)
	v_lshl_add_u64 v[4:5], v[10:11], 0, v[4:5]
	global_store_dwordx2 v[4:5], v[8:9], off
	v_mov_b32_e32 v3, v9
	buffer_wbl2 sc0 sc1
	s_waitcnt vmcnt(0)
	global_atomic_cmpswap_x2 v[2:3], v6, v[0:3], s[2:3] offset:24 sc0 sc1
	s_waitcnt vmcnt(0)
	v_cmp_ne_u64_e32 vcc, v[2:3], v[8:9]
	s_and_b64 exec, exec, vcc
	s_cbranch_execz .LBB2_162
.LBB2_161:                              ; =>This Inner Loop Header: Depth=1
	s_sleep 1
	global_store_dwordx2 v[4:5], v[2:3], off
	buffer_wbl2 sc0 sc1
	s_waitcnt vmcnt(0)
	global_atomic_cmpswap_x2 v[8:9], v6, v[0:3], s[2:3] offset:24 sc0 sc1
	s_waitcnt vmcnt(0)
	v_cmp_eq_u64_e32 vcc, v[8:9], v[2:3]
	s_or_b64 s[0:1], vcc, s[0:1]
	v_mov_b64_e32 v[2:3], v[8:9]
	s_andn2_b64 exec, exec, s[0:1]
	s_cbranch_execnz .LBB2_161
.LBB2_162:
	s_or_b64 exec, exec, s[6:7]
	s_waitcnt vmcnt(0) lgkmcnt(0)
	s_setpc_b64 s[30:31]
.Lfunc_end2:
	.size	_ZNK8migraphx13basic_printerIZNS_4coutEvEUlT_E_ElsEc, .Lfunc_end2-_ZNK8migraphx13basic_printerIZNS_4coutEvEUlT_E_ElsEc
                                        ; -- End function
	.section	.AMDGPU.csdata,"",@progbits
; Function info:
; codeLenInByte = 5796
; NumSgprs: 38
; NumVgprs: 38
; NumAgprs: 0
; TotalNumVgprs: 38
; ScratchSize: 0
; MemoryBound: 0
	.text
	.p2align	2                               ; -- Begin function _ZN8migraphx4test4failEv
	.type	_ZN8migraphx4test4failEv,@function
_ZN8migraphx4test4failEv:               ; @_ZN8migraphx4test4failEv
; %bb.0:
	s_waitcnt vmcnt(0) expcnt(0) lgkmcnt(0)
	v_mov_b32_e32 v0, 0
	global_load_dword v1, v0, s[8:9] offset:18
	global_load_ushort v2, v0, s[8:9] offset:22
	s_load_dwordx2 s[0:1], s[8:9], 0x0
	s_load_dword s2, s[8:9], 0x8
	s_waitcnt vmcnt(1)
	v_cmp_ne_u16_e32 vcc, 0, v1
	s_cmp_lg_u64 vcc, 0
	s_waitcnt lgkmcnt(0)
	s_addc_u32 s3, s0, 0
	s_waitcnt vmcnt(0)
	v_cmp_ne_u16_e32 vcc, 0, v2
	s_cmp_lg_u64 vcc, 0
	v_cmp_ne_u16_sdwa s[4:5], v1, v0 src0_sel:WORD_1 src1_sel:DWORD
	s_addc_u32 s6, s2, 0
	s_cmp_lg_u64 s[4:5], 0
	s_addc_u32 s4, s1, 0
	s_mul_i32 s3, s4, s3
	s_mul_i32 s3, s3, s6
	s_cmp_lg_u32 s3, 1
	s_cbranch_scc1 .LBB3_3
; %bb.1:
	s_cmp_lt_u32 s14, s2
	s_cselect_b32 s2, 16, 22
	s_add_u32 s2, s8, s2
	s_addc_u32 s3, s9, 0
	s_cmp_lt_u32 s13, s1
	s_cselect_b32 s1, 14, 20
	s_add_u32 s4, s8, s1
	s_addc_u32 s5, s9, 0
	;; [unrolled: 4-line block ×3, first 2 shown]
	global_load_ushort v1, v0, s[2:3]
	global_load_ushort v2, v0, s[4:5]
	;; [unrolled: 1-line block ×3, first 2 shown]
	s_waitcnt vmcnt(1)
	v_mul_lo_u32 v0, v2, v1
	s_waitcnt vmcnt(0)
	v_mul_lo_u32 v0, v0, v3
	v_cmp_lt_u32_e32 vcc, 64, v0
	s_cbranch_vccnz .LBB3_3
; %bb.2:
	s_endpgm
.LBB3_3:
	s_trap 2
.Lfunc_end3:
	.size	_ZN8migraphx4test4failEv, .Lfunc_end3-_ZN8migraphx4test4failEv
                                        ; -- End function
	.section	.AMDGPU.csdata,"",@progbits
; Function info:
; codeLenInByte = 220
; NumSgprs: 21
; NumVgprs: 4
; NumAgprs: 0
; TotalNumVgprs: 4
; ScratchSize: 0
; MemoryBound: 0
	.text
	.p2align	2                               ; -- Begin function _ZL22merge_first_all_largerRN8migraphx4test12test_managerE
	.type	_ZL22merge_first_all_largerRN8migraphx4test12test_managerE,@function
_ZL22merge_first_all_largerRN8migraphx4test12test_managerE: ; @_ZL22merge_first_all_largerRN8migraphx4test12test_managerE
; %bb.0:
	s_waitcnt vmcnt(0) expcnt(0) lgkmcnt(0)
	s_mov_b32 s0, s33
	s_mov_b32 s33, s32
	s_or_saveexec_b64 s[2:3], -1
	scratch_store_dword off, v47, s33 offset:88 ; 4-byte Folded Spill
	s_mov_b64 exec, s[2:3]
	v_writelane_b32 v47, s0, 2
	v_writelane_b32 v47, s30, 0
	s_addk_i32 s32, 0x60
	s_nop 0
	v_writelane_b32 v47, s31, 1
	v_mov_b32_e32 v17, v1
	v_mov_b32_e32 v16, v0
	v_mov_b32_e32 v0, 4
	v_mov_b32_e32 v1, 5
	v_mov_b32_e32 v2, 6
	scratch_store_dwordx3 off, v[0:2], s33
	s_add_i32 s0, s33, 24
                                        ; implicit-def: $sgpr2_sgpr3
                                        ; implicit-def: $sgpr6_sgpr7
                                        ; implicit-def: $sgpr4_sgpr5
	s_nop 0
	v_mov_b32_e32 v0, 1
	v_mov_b32_e32 v1, 2
	v_mov_b32_e32 v2, 3
	scratch_store_dwordx3 off, v[0:2], s33 offset:12
	s_nop 1
	v_mov_b32_e32 v0, 0
	v_mov_b32_e32 v1, v0
	;; [unrolled: 1-line block ×4, first 2 shown]
	scratch_store_dwordx4 off, v[0:3], s33 offset:24
	scratch_store_dwordx2 off, v[0:1], s33 offset:40
	v_mov_b32_e32 v6, v0
	v_mov_b32_e32 v3, s0
	s_mov_b64 s[0:1], 0
	s_branch .LBB4_2
.LBB4_1:                                ;   in Loop: Header=BB4_2 Depth=1
	s_or_b64 exec, exec, s[10:11]
	s_and_b64 s[10:11], exec, s[6:7]
	s_or_b64 s[0:1], s[10:11], s[0:1]
	s_andn2_b64 s[2:3], s[2:3], exec
	s_and_b64 s[10:11], s[4:5], exec
	s_or_b64 s[2:3], s[2:3], s[10:11]
	s_andn2_b64 exec, exec, s[0:1]
	s_cbranch_execz .LBB4_4
.LBB4_2:                                ; =>This Inner Loop Header: Depth=1
	v_mov_b32_e32 v2, v6
	v_mov_b32_e32 v1, v3
	v_cmp_ne_u32_e32 vcc, 12, v0
	s_or_b64 s[4:5], s[4:5], exec
	s_or_b64 s[6:7], s[6:7], exec
                                        ; implicit-def: $vgpr6
                                        ; implicit-def: $vgpr3
                                        ; implicit-def: $vgpr4
                                        ; implicit-def: $vgpr5
	s_and_saveexec_b64 s[10:11], vcc
	s_cbranch_execz .LBB4_1
; %bb.3:                                ;   in Loop: Header=BB4_2 Depth=1
	s_add_i32 s15, s33, 12
	v_add_u32_e32 v4, s15, v0
	v_add_u32_e32 v3, s33, v2
	scratch_load_dword v5, v4, off
	scratch_load_dword v6, v3, off
	s_andn2_b64 s[6:7], s[6:7], exec
	v_add_u32_e32 v3, 4, v1
	s_andn2_b64 s[4:5], s[4:5], exec
	s_waitcnt vmcnt(0)
	v_cmp_ge_i32_e32 vcc, v5, v6
	s_nop 1
	v_cndmask_b32_e64 v8, 0, 1, vcc
	v_min_i32_e32 v7, v5, v6
	v_cmp_lt_i32_e32 vcc, v5, v6
	v_lshl_add_u32 v6, v8, 2, v2
	scratch_store_dword v1, v7, off
	v_cndmask_b32_e64 v5, 0, 1, vcc
	v_cmp_eq_u32_e32 vcc, 12, v6
	v_lshlrev_b32_e32 v5, 2, v5
	s_and_b64 s[16:17], vcc, exec
	v_add_u32_e32 v0, v5, v0
	s_or_b64 s[6:7], s[6:7], s[16:17]
	s_branch .LBB4_1
.LBB4_4:
	s_or_b64 exec, exec, s[0:1]
	s_xor_b64 s[0:1], s[2:3], -1
	s_and_saveexec_b64 s[2:3], s[0:1]
	s_xor_b64 s[0:1], exec, s[2:3]
	s_cbranch_execz .LBB4_14
; %bb.5:
	v_cmp_ne_u32_e32 vcc, 12, v0
	s_and_saveexec_b64 s[2:3], vcc
	s_cbranch_execz .LBB4_13
; %bb.6:
	v_cmp_ne_u32_e32 vcc, 8, v0
	s_mov_b64 s[6:7], -1
	v_mov_b32_e32 v6, 8
	s_and_saveexec_b64 s[4:5], vcc
	s_cbranch_execz .LBB4_10
; %bb.7:
	v_sub_u32_e32 v6, 8, v0
	v_lshrrev_b32_e32 v6, 2, v6
	v_add_u32_e32 v7, 1, v6
	v_and_b32_e32 v8, 0x7ffffffe, v7
	v_add_u32_e32 v4, v4, v5
	s_mov_b32 s10, 0
	s_mov_b64 s[6:7], 0
	v_mov_b32_e32 v5, v8
.LBB4_8:                                ; =>This Inner Loop Header: Depth=1
	v_add_u32_e32 v6, s10, v4
	scratch_load_dwordx2 v[10:11], v6, off
	v_add_u32_e32 v5, -2, v5
	v_add_u32_e32 v6, s10, v3
	s_add_i32 s10, s10, 8
	v_cmp_eq_u32_e32 vcc, 0, v5
	s_or_b64 s[6:7], vcc, s[6:7]
	s_waitcnt vmcnt(0)
	scratch_store_dwordx2 v6, v[10:11], off
	s_andn2_b64 exec, exec, s[6:7]
	s_cbranch_execnz .LBB4_8
; %bb.9:
	s_or_b64 exec, exec, s[6:7]
	v_lshlrev_b32_e32 v4, 2, v8
	v_cmp_ne_u32_e32 vcc, v7, v8
	v_add_u32_e32 v3, v3, v4
	v_add_u32_e32 v6, v0, v4
	s_orn2_b64 s[6:7], vcc, exec
.LBB4_10:
	s_or_b64 exec, exec, s[4:5]
	s_and_b64 exec, exec, s[6:7]
	s_cbranch_execz .LBB4_13
; %bb.11:
	s_mov_b64 s[4:5], 0
.LBB4_12:                               ; =>This Inner Loop Header: Depth=1
	s_add_i32 s6, s33, 12
	v_add_u32_e32 v0, s6, v6
	scratch_load_dword v0, v0, off
	v_add_u32_e32 v6, 4, v6
	v_add_u32_e32 v4, 4, v3
	v_cmp_eq_u32_e32 vcc, 12, v6
	s_or_b64 s[4:5], vcc, s[4:5]
	s_waitcnt vmcnt(0)
	scratch_store_dword v3, v0, off
	v_mov_b32_e32 v3, v4
	s_andn2_b64 exec, exec, s[4:5]
	s_cbranch_execnz .LBB4_12
.LBB4_13:
	s_or_b64 exec, exec, s[2:3]
.LBB4_14:
	s_andn2_saveexec_b64 s[0:1], s[0:1]
	s_cbranch_execz .LBB4_23
; %bb.15:
	v_cmp_ne_u32_e32 vcc, 8, v2
	s_mov_b64 s[4:5], -1
	v_mov_b32_e32 v0, 8
	s_and_saveexec_b64 s[2:3], vcc
	s_cbranch_execz .LBB4_19
; %bb.16:
	v_sub_u32_e32 v0, 8, v2
	v_lshrrev_b32_e32 v0, 2, v0
	v_add_u32_e32 v3, 1, v0
	v_and_b32_e32 v4, 0x7ffffffe, v3
	v_add_u32_e32 v0, s33, v2
	s_mov_b32 s6, 0
	s_mov_b64 s[4:5], 0
	v_mov_b32_e32 v5, v4
.LBB4_17:                               ; =>This Inner Loop Header: Depth=1
	v_add_u32_e32 v6, s6, v0
	scratch_load_dwordx2 v[6:7], v6, off
	v_add_u32_e32 v5, -2, v5
	v_add_u32_e32 v8, s6, v1
	s_add_i32 s6, s6, 8
	v_cmp_eq_u32_e32 vcc, 0, v5
	s_or_b64 s[4:5], vcc, s[4:5]
	s_waitcnt vmcnt(0)
	scratch_store_dwordx2 v8, v[6:7], off
	s_andn2_b64 exec, exec, s[4:5]
	s_cbranch_execnz .LBB4_17
; %bb.18:
	s_or_b64 exec, exec, s[4:5]
	v_lshlrev_b32_e32 v0, 2, v4
	v_cmp_ne_u32_e32 vcc, v3, v4
	v_add_u32_e32 v1, v1, v0
	v_add_u32_e32 v0, v2, v0
	s_orn2_b64 s[4:5], vcc, exec
.LBB4_19:
	s_or_b64 exec, exec, s[2:3]
	s_and_saveexec_b64 s[2:3], s[4:5]
	s_cbranch_execz .LBB4_22
; %bb.20:
	s_mov_b64 s[4:5], 0
.LBB4_21:                               ; =>This Inner Loop Header: Depth=1
	v_add_u32_e32 v2, s33, v0
	scratch_load_dword v2, v2, off
	v_add_u32_e32 v0, 4, v0
	v_add_u32_e32 v3, 4, v1
	v_cmp_eq_u32_e32 vcc, 12, v0
	s_or_b64 s[4:5], vcc, s[4:5]
	s_waitcnt vmcnt(0)
	scratch_store_dword v1, v2, off
	v_mov_b32_e32 v1, v3
	s_andn2_b64 exec, exec, s[4:5]
	s_cbranch_execnz .LBB4_21
.LBB4_22:
	s_or_b64 exec, exec, s[2:3]
.LBB4_23:
	s_or_b64 exec, exec, s[0:1]
	scratch_load_dwordx2 v[12:13], off, s33 offset:40
	scratch_load_dwordx4 v[0:3], off, s33 offset:24
	s_mov_b64 s[0:1], src_private_base
	s_add_i32 s0, s33, 24
	v_mov_b32_e32 v8, s0
	s_add_i32 s0, s33, 48
	v_mov_b32_e32 v10, s0
	v_mov_b32_e32 v9, s1
	;; [unrolled: 1-line block ×9, first 2 shown]
	scratch_store_dwordx4 off, v[4:7], s33 offset:48
	scratch_store_dwordx2 off, v[14:15], s33 offset:64
	scratch_store_dwordx4 off, v[8:11], s33 offset:72
	s_waitcnt vmcnt(4)
	v_cmp_ne_u32_e32 vcc, 5, v12
	s_waitcnt vmcnt(3)
	v_cmp_ne_u32_e64 s[2:3], 2, v1
	v_cmp_ne_u32_e64 s[0:1], 6, v13
	s_nop 0
	v_cndmask_b32_e64 v1, 0, 1, s[2:3]
	v_cmp_ne_u32_e64 s[2:3], 1, v0
	v_lshlrev_b16_e32 v1, 1, v1
	s_nop 0
	v_cndmask_b32_e64 v0, 0, 1, s[2:3]
	v_cmp_ne_u32_e64 s[2:3], 3, v2
	v_bitop3_b16 v0, v0, 3, v1 bitop3:0xc8
	s_nop 0
	v_cndmask_b32_e64 v2, 0, 1, s[2:3]
	v_cmp_ne_u32_e64 s[2:3], 4, v3
	v_lshlrev_b16_e32 v2, 2, v2
	s_nop 0
	v_cndmask_b32_e64 v3, 0, 1, s[2:3]
	v_lshlrev_b16_e32 v3, 3, v3
	v_or_b32_e32 v1, v3, v2
	v_bitop3_b16 v0, v0, 15, v1 bitop3:0xc8
	v_cmp_ne_u16_e64 s[2:3], 0, v0
	s_or_b64 s[2:3], s[2:3], vcc
	s_or_b64 s[0:1], s[2:3], s[0:1]
	s_and_saveexec_b64 s[2:3], s[0:1]
	s_xor_b64 s[38:39], exec, s[2:3]
	s_cbranch_execz .LBB4_1585
; %bb.24:
	v_and_b32_e32 v0, 0x3ff, v31
	v_cmp_eq_u32_e32 vcc, 0, v0
	s_and_saveexec_b64 s[40:41], vcc
	s_cbranch_execz .LBB4_1584
; %bb.25:
	s_load_dwordx2 s[2:3], s[8:9], 0x50
	v_mbcnt_lo_u32_b32 v0, -1, 0
	v_mbcnt_hi_u32_b32 v36, -1, v0
	v_accvgpr_write_b32 a0, v16
	v_readfirstlane_b32 s0, v36
	v_accvgpr_write_b32 a1, v17
	v_mov_b64_e32 v[4:5], 0
	v_cmp_eq_u32_e64 s[0:1], s0, v36
	s_and_saveexec_b64 s[4:5], s[0:1]
	s_cbranch_execz .LBB4_31
; %bb.26:
	v_mov_b32_e32 v0, 0
	s_waitcnt lgkmcnt(0)
	global_load_dwordx2 v[6:7], v0, s[2:3] offset:24 sc0 sc1
	s_waitcnt vmcnt(0)
	buffer_inv sc0 sc1
	global_load_dwordx2 v[2:3], v0, s[2:3] offset:40
	global_load_dwordx2 v[4:5], v0, s[2:3]
	s_waitcnt vmcnt(1)
	v_and_b32_e32 v1, v2, v6
	v_and_b32_e32 v2, v3, v7
	v_mul_lo_u32 v2, v2, 24
	v_mul_hi_u32 v3, v1, 24
	v_add_u32_e32 v3, v3, v2
	v_mul_lo_u32 v2, v1, 24
	s_waitcnt vmcnt(0)
	v_lshl_add_u64 v[2:3], v[4:5], 0, v[2:3]
	global_load_dwordx2 v[4:5], v[2:3], off sc0 sc1
	s_waitcnt vmcnt(0)
	global_atomic_cmpswap_x2 v[4:5], v0, v[4:7], s[2:3] offset:24 sc0 sc1
	s_waitcnt vmcnt(0)
	buffer_inv sc0 sc1
	v_cmp_ne_u64_e32 vcc, v[4:5], v[6:7]
	s_and_saveexec_b64 s[6:7], vcc
	s_cbranch_execz .LBB4_30
; %bb.27:
	s_mov_b64 s[10:11], 0
.LBB4_28:                               ; =>This Inner Loop Header: Depth=1
	s_sleep 1
	global_load_dwordx2 v[2:3], v0, s[2:3] offset:40
	global_load_dwordx2 v[8:9], v0, s[2:3]
	v_mov_b64_e32 v[6:7], v[4:5]
	s_waitcnt vmcnt(1)
	v_and_b32_e32 v2, v2, v6
	v_and_b32_e32 v1, v3, v7
	s_waitcnt vmcnt(0)
	v_mad_u64_u32 v[2:3], s[16:17], v2, 24, v[8:9]
	v_mov_b32_e32 v4, v3
	v_mad_u64_u32 v[4:5], s[16:17], v1, 24, v[4:5]
	v_mov_b32_e32 v3, v4
	global_load_dwordx2 v[4:5], v[2:3], off sc0 sc1
	s_waitcnt vmcnt(0)
	global_atomic_cmpswap_x2 v[4:5], v0, v[4:7], s[2:3] offset:24 sc0 sc1
	s_waitcnt vmcnt(0)
	buffer_inv sc0 sc1
	v_cmp_eq_u64_e32 vcc, v[4:5], v[6:7]
	s_or_b64 s[10:11], vcc, s[10:11]
	s_andn2_b64 exec, exec, s[10:11]
	s_cbranch_execnz .LBB4_28
; %bb.29:
	s_or_b64 exec, exec, s[10:11]
.LBB4_30:
	s_or_b64 exec, exec, s[6:7]
.LBB4_31:
	s_or_b64 exec, exec, s[4:5]
	v_mov_b32_e32 v29, 0
	s_waitcnt lgkmcnt(0)
	global_load_dwordx2 v[6:7], v29, s[2:3] offset:40
	global_load_dwordx4 v[0:3], v29, s[2:3]
	v_readfirstlane_b32 s4, v4
	v_readfirstlane_b32 s5, v5
	s_mov_b64 s[6:7], exec
	s_waitcnt vmcnt(1)
	v_readfirstlane_b32 s10, v6
	v_readfirstlane_b32 s11, v7
	s_and_b64 s[10:11], s[4:5], s[10:11]
	s_mul_i32 s15, s11, 24
	s_mul_hi_u32 s16, s10, 24
	s_add_i32 s17, s16, s15
	s_mul_i32 s16, s10, 24
	s_waitcnt vmcnt(0)
	v_lshl_add_u64 v[4:5], v[0:1], 0, s[16:17]
	s_and_saveexec_b64 s[16:17], s[0:1]
	s_cbranch_execz .LBB4_33
; %bb.32:
	v_mov_b64_e32 v[6:7], s[6:7]
	v_mov_b32_e32 v8, 2
	v_mov_b32_e32 v9, 1
	global_store_dwordx4 v[4:5], v[6:9], off offset:8
.LBB4_33:
	s_or_b64 exec, exec, s[16:17]
	s_lshl_b64 s[6:7], s[10:11], 12
	v_lshl_add_u64 v[6:7], v[2:3], 0, s[6:7]
	s_mov_b32 s16, 0
	v_lshlrev_b32_e32 v28, 6, v36
	v_mov_b32_e32 v8, 33
	v_mov_b32_e32 v9, v29
	;; [unrolled: 1-line block ×4, first 2 shown]
	v_readfirstlane_b32 s6, v6
	v_readfirstlane_b32 s7, v7
	s_mov_b32 s17, s16
	s_mov_b32 s18, s16
	;; [unrolled: 1-line block ×3, first 2 shown]
	s_nop 1
	global_store_dwordx4 v28, v[8:11], s[6:7]
	s_nop 1
	v_mov_b64_e32 v[8:9], s[16:17]
	v_mov_b64_e32 v[10:11], s[18:19]
	global_store_dwordx4 v28, v[8:11], s[6:7] offset:16
	global_store_dwordx4 v28, v[8:11], s[6:7] offset:32
	;; [unrolled: 1-line block ×3, first 2 shown]
	s_and_saveexec_b64 s[6:7], s[0:1]
	s_cbranch_execz .LBB4_41
; %bb.34:
	v_mov_b32_e32 v10, 0
	global_load_dwordx2 v[14:15], v10, s[2:3] offset:32 sc0 sc1
	global_load_dwordx2 v[2:3], v10, s[2:3] offset:40
	v_mov_b32_e32 v12, s4
	v_mov_b32_e32 v13, s5
	s_waitcnt vmcnt(0)
	v_and_b32_e32 v2, s4, v2
	v_and_b32_e32 v3, s5, v3
	v_mul_lo_u32 v3, v3, 24
	v_mul_hi_u32 v8, v2, 24
	v_mul_lo_u32 v2, v2, 24
	v_add_u32_e32 v3, v8, v3
	v_lshl_add_u64 v[8:9], v[0:1], 0, v[2:3]
	global_store_dwordx2 v[8:9], v[14:15], off
	buffer_wbl2 sc0 sc1
	s_waitcnt vmcnt(0)
	global_atomic_cmpswap_x2 v[2:3], v10, v[12:15], s[2:3] offset:32 sc0 sc1
	s_waitcnt vmcnt(0)
	v_cmp_ne_u64_e32 vcc, v[2:3], v[14:15]
	s_and_saveexec_b64 s[10:11], vcc
	s_cbranch_execz .LBB4_37
; %bb.35:
	s_mov_b64 s[16:17], 0
.LBB4_36:                               ; =>This Inner Loop Header: Depth=1
	s_sleep 1
	global_store_dwordx2 v[8:9], v[2:3], off
	v_mov_b32_e32 v0, s4
	v_mov_b32_e32 v1, s5
	buffer_wbl2 sc0 sc1
	s_waitcnt vmcnt(0)
	global_atomic_cmpswap_x2 v[0:1], v10, v[0:3], s[2:3] offset:32 sc0 sc1
	s_waitcnt vmcnt(0)
	v_cmp_eq_u64_e32 vcc, v[0:1], v[2:3]
	s_or_b64 s[16:17], vcc, s[16:17]
	v_mov_b64_e32 v[2:3], v[0:1]
	s_andn2_b64 exec, exec, s[16:17]
	s_cbranch_execnz .LBB4_36
.LBB4_37:
	s_or_b64 exec, exec, s[10:11]
	v_mov_b32_e32 v3, 0
	global_load_dwordx2 v[0:1], v3, s[2:3] offset:16
	s_mov_b64 s[10:11], exec
	v_mbcnt_lo_u32_b32 v2, s10, 0
	v_mbcnt_hi_u32_b32 v2, s11, v2
	v_cmp_eq_u32_e32 vcc, 0, v2
	s_and_saveexec_b64 s[16:17], vcc
	s_cbranch_execz .LBB4_39
; %bb.38:
	s_bcnt1_i32_b64 s10, s[10:11]
	v_mov_b32_e32 v2, s10
	buffer_wbl2 sc0 sc1
	s_waitcnt vmcnt(0)
	global_atomic_add_x2 v[0:1], v[2:3], off offset:8 sc1
.LBB4_39:
	s_or_b64 exec, exec, s[16:17]
	s_waitcnt vmcnt(0)
	global_load_dwordx2 v[2:3], v[0:1], off offset:16
	s_waitcnt vmcnt(0)
	v_cmp_eq_u64_e32 vcc, 0, v[2:3]
	s_cbranch_vccnz .LBB4_41
; %bb.40:
	global_load_dword v0, v[0:1], off offset:24
	v_mov_b32_e32 v1, 0
	buffer_wbl2 sc0 sc1
	s_waitcnt vmcnt(0)
	global_store_dwordx2 v[2:3], v[0:1], off sc0 sc1
	v_and_b32_e32 v0, 0xffffff, v0
	s_nop 0
	v_readfirstlane_b32 m0, v0
	s_sendmsg sendmsg(MSG_INTERRUPT)
.LBB4_41:
	s_or_b64 exec, exec, s[6:7]
	v_lshl_add_u64 v[0:1], v[6:7], 0, v[28:29]
	s_branch .LBB4_45
.LBB4_42:                               ;   in Loop: Header=BB4_45 Depth=1
	s_or_b64 exec, exec, s[6:7]
	v_readfirstlane_b32 s6, v2
	s_cmp_eq_u32 s6, 0
	s_cbranch_scc1 .LBB4_44
; %bb.43:                               ;   in Loop: Header=BB4_45 Depth=1
	s_sleep 1
	s_cbranch_execnz .LBB4_45
	s_branch .LBB4_47
.LBB4_44:
	s_branch .LBB4_47
.LBB4_45:                               ; =>This Inner Loop Header: Depth=1
	v_mov_b32_e32 v2, 1
	s_and_saveexec_b64 s[6:7], s[0:1]
	s_cbranch_execz .LBB4_42
; %bb.46:                               ;   in Loop: Header=BB4_45 Depth=1
	global_load_dword v2, v[4:5], off offset:20 sc0 sc1
	s_waitcnt vmcnt(0)
	buffer_inv sc0 sc1
	v_and_b32_e32 v2, 1, v2
	s_branch .LBB4_42
.LBB4_47:
	global_load_dwordx2 v[4:5], v[0:1], off
	s_and_saveexec_b64 s[6:7], s[0:1]
	s_cbranch_execz .LBB4_50
; %bb.48:
	v_mov_b32_e32 v8, 0
	global_load_dwordx2 v[6:7], v8, s[2:3] offset:40
	global_load_dwordx2 v[10:11], v8, s[2:3] offset:24 sc0 sc1
	global_load_dwordx2 v[12:13], v8, s[2:3]
	s_mov_b64 s[0:1], 0
	s_waitcnt vmcnt(2)
	v_lshl_add_u64 v[0:1], v[6:7], 0, 1
	v_lshl_add_u64 v[14:15], v[0:1], 0, s[4:5]
	v_cmp_eq_u64_e32 vcc, 0, v[14:15]
	s_waitcnt vmcnt(1)
	v_mov_b32_e32 v2, v10
	v_cndmask_b32_e32 v1, v15, v1, vcc
	v_cndmask_b32_e32 v0, v14, v0, vcc
	v_and_b32_e32 v3, v1, v7
	v_and_b32_e32 v6, v0, v6
	v_mul_lo_u32 v3, v3, 24
	v_mul_hi_u32 v7, v6, 24
	v_mul_lo_u32 v6, v6, 24
	v_add_u32_e32 v7, v7, v3
	s_waitcnt vmcnt(0)
	v_lshl_add_u64 v[6:7], v[12:13], 0, v[6:7]
	global_store_dwordx2 v[6:7], v[10:11], off
	v_mov_b32_e32 v3, v11
	buffer_wbl2 sc0 sc1
	s_waitcnt vmcnt(0)
	global_atomic_cmpswap_x2 v[2:3], v8, v[0:3], s[2:3] offset:24 sc0 sc1
	s_waitcnt vmcnt(0)
	v_cmp_ne_u64_e32 vcc, v[2:3], v[10:11]
	s_and_b64 exec, exec, vcc
	s_cbranch_execz .LBB4_50
.LBB4_49:                               ; =>This Inner Loop Header: Depth=1
	s_sleep 1
	global_store_dwordx2 v[6:7], v[2:3], off
	buffer_wbl2 sc0 sc1
	s_waitcnt vmcnt(0)
	global_atomic_cmpswap_x2 v[10:11], v8, v[0:3], s[2:3] offset:24 sc0 sc1
	s_waitcnt vmcnt(0)
	v_cmp_eq_u64_e32 vcc, v[10:11], v[2:3]
	s_or_b64 s[0:1], vcc, s[0:1]
	v_mov_b64_e32 v[2:3], v[10:11]
	s_andn2_b64 exec, exec, s[0:1]
	s_cbranch_execnz .LBB4_49
.LBB4_50:
	s_or_b64 exec, exec, s[6:7]
	s_getpc_b64 s[6:7]
	s_add_u32 s6, s6, .str.5@rel32@lo+4
	s_addc_u32 s7, s7, .str.5@rel32@hi+12
	s_cmp_lg_u64 s[6:7], 0
	s_cselect_b64 s[4:5], -1, 0
	s_and_b64 vcc, exec, s[4:5]
	s_cbranch_vccz .LBB4_135
; %bb.51:
	s_waitcnt vmcnt(0)
	v_and_b32_e32 v26, 2, v4
	v_mov_b32_e32 v31, 0
	v_and_b32_e32 v0, -3, v4
	v_mov_b32_e32 v1, v5
	s_mov_b64 s[10:11], 3
	v_mov_b32_e32 v8, 2
	v_mov_b32_e32 v9, 1
	s_branch .LBB4_53
.LBB4_52:                               ;   in Loop: Header=BB4_53 Depth=1
	s_or_b64 exec, exec, s[20:21]
	s_sub_u32 s10, s10, s16
	s_subb_u32 s11, s11, s17
	s_add_u32 s6, s6, s16
	s_addc_u32 s7, s7, s17
	s_cmp_lg_u64 s[10:11], 0
	s_cbranch_scc0 .LBB4_134
.LBB4_53:                               ; =>This Loop Header: Depth=1
                                        ;     Child Loop BB4_56 Depth 2
                                        ;     Child Loop BB4_63 Depth 2
                                        ;     Child Loop BB4_71 Depth 2
                                        ;     Child Loop BB4_79 Depth 2
                                        ;     Child Loop BB4_87 Depth 2
                                        ;     Child Loop BB4_95 Depth 2
                                        ;     Child Loop BB4_103 Depth 2
                                        ;     Child Loop BB4_111 Depth 2
                                        ;     Child Loop BB4_119 Depth 2
                                        ;     Child Loop BB4_128 Depth 2
                                        ;     Child Loop BB4_133 Depth 2
	v_cmp_lt_u64_e64 s[0:1], s[10:11], 56
	s_and_b64 s[0:1], s[0:1], exec
	v_cmp_gt_u64_e64 s[0:1], s[10:11], 7
	s_cselect_b32 s17, s11, 0
	s_cselect_b32 s16, s10, 56
	s_and_b64 vcc, exec, s[0:1]
	s_cbranch_vccnz .LBB4_58
; %bb.54:                               ;   in Loop: Header=BB4_53 Depth=1
	s_mov_b64 s[0:1], 0
	s_cmp_eq_u64 s[10:11], 0
	s_waitcnt vmcnt(0)
	v_mov_b64_e32 v[2:3], 0
	s_cbranch_scc1 .LBB4_57
; %bb.55:                               ;   in Loop: Header=BB4_53 Depth=1
	s_lshl_b64 s[18:19], s[16:17], 3
	s_mov_b64 s[20:21], 0
	v_mov_b64_e32 v[2:3], 0
	s_mov_b64 s[22:23], s[6:7]
.LBB4_56:                               ;   Parent Loop BB4_53 Depth=1
                                        ; =>  This Inner Loop Header: Depth=2
	global_load_ubyte v6, v31, s[22:23]
	s_waitcnt vmcnt(0)
	v_and_b32_e32 v30, 0xffff, v6
	v_lshlrev_b64 v[6:7], s20, v[30:31]
	s_add_u32 s20, s20, 8
	s_addc_u32 s21, s21, 0
	s_add_u32 s22, s22, 1
	s_addc_u32 s23, s23, 0
	v_or_b32_e32 v2, v6, v2
	s_cmp_lg_u32 s18, s20
	v_or_b32_e32 v3, v7, v3
	s_cbranch_scc1 .LBB4_56
.LBB4_57:                               ;   in Loop: Header=BB4_53 Depth=1
	s_mov_b32 s15, 0
	s_andn2_b64 vcc, exec, s[0:1]
	s_mov_b64 s[0:1], s[6:7]
	s_cbranch_vccz .LBB4_59
	s_branch .LBB4_60
.LBB4_58:                               ;   in Loop: Header=BB4_53 Depth=1
                                        ; implicit-def: $vgpr2_vgpr3
                                        ; implicit-def: $sgpr15
	s_mov_b64 s[0:1], s[6:7]
.LBB4_59:                               ;   in Loop: Header=BB4_53 Depth=1
	global_load_dwordx2 v[2:3], v31, s[6:7]
	s_add_i32 s15, s16, -8
	s_add_u32 s0, s6, 8
	s_addc_u32 s1, s7, 0
.LBB4_60:                               ;   in Loop: Header=BB4_53 Depth=1
	s_cmp_gt_u32 s15, 7
	s_cbranch_scc1 .LBB4_64
; %bb.61:                               ;   in Loop: Header=BB4_53 Depth=1
	s_cmp_eq_u32 s15, 0
	s_cbranch_scc1 .LBB4_65
; %bb.62:                               ;   in Loop: Header=BB4_53 Depth=1
	s_mov_b64 s[18:19], 0
	v_mov_b64_e32 v[10:11], 0
	s_mov_b64 s[20:21], 0
.LBB4_63:                               ;   Parent Loop BB4_53 Depth=1
                                        ; =>  This Inner Loop Header: Depth=2
	s_add_u32 s22, s0, s20
	s_addc_u32 s23, s1, s21
	global_load_ubyte v6, v31, s[22:23]
	s_add_u32 s20, s20, 1
	s_addc_u32 s21, s21, 0
	s_waitcnt vmcnt(0)
	v_and_b32_e32 v30, 0xffff, v6
	v_lshlrev_b64 v[6:7], s18, v[30:31]
	s_add_u32 s18, s18, 8
	s_addc_u32 s19, s19, 0
	v_or_b32_e32 v10, v6, v10
	s_cmp_lg_u32 s15, s20
	v_or_b32_e32 v11, v7, v11
	s_cbranch_scc1 .LBB4_63
	s_branch .LBB4_66
.LBB4_64:                               ;   in Loop: Header=BB4_53 Depth=1
                                        ; implicit-def: $vgpr10_vgpr11
                                        ; implicit-def: $sgpr22
	s_branch .LBB4_67
.LBB4_65:                               ;   in Loop: Header=BB4_53 Depth=1
	v_mov_b64_e32 v[10:11], 0
.LBB4_66:                               ;   in Loop: Header=BB4_53 Depth=1
	s_mov_b32 s22, 0
	s_cbranch_execnz .LBB4_68
.LBB4_67:                               ;   in Loop: Header=BB4_53 Depth=1
	global_load_dwordx2 v[10:11], v31, s[0:1]
	s_add_i32 s22, s15, -8
	s_add_u32 s0, s0, 8
	s_addc_u32 s1, s1, 0
.LBB4_68:                               ;   in Loop: Header=BB4_53 Depth=1
	s_cmp_gt_u32 s22, 7
	s_cbranch_scc1 .LBB4_72
; %bb.69:                               ;   in Loop: Header=BB4_53 Depth=1
	s_cmp_eq_u32 s22, 0
	s_cbranch_scc1 .LBB4_73
; %bb.70:                               ;   in Loop: Header=BB4_53 Depth=1
	s_mov_b64 s[18:19], 0
	v_mov_b64_e32 v[12:13], 0
	s_mov_b64 s[20:21], 0
.LBB4_71:                               ;   Parent Loop BB4_53 Depth=1
                                        ; =>  This Inner Loop Header: Depth=2
	s_add_u32 s24, s0, s20
	s_addc_u32 s25, s1, s21
	global_load_ubyte v6, v31, s[24:25]
	s_add_u32 s20, s20, 1
	s_addc_u32 s21, s21, 0
	s_waitcnt vmcnt(0)
	v_and_b32_e32 v30, 0xffff, v6
	v_lshlrev_b64 v[6:7], s18, v[30:31]
	s_add_u32 s18, s18, 8
	s_addc_u32 s19, s19, 0
	v_or_b32_e32 v12, v6, v12
	s_cmp_lg_u32 s22, s20
	v_or_b32_e32 v13, v7, v13
	s_cbranch_scc1 .LBB4_71
	s_branch .LBB4_74
.LBB4_72:                               ;   in Loop: Header=BB4_53 Depth=1
                                        ; implicit-def: $sgpr15
	s_branch .LBB4_75
.LBB4_73:                               ;   in Loop: Header=BB4_53 Depth=1
	v_mov_b64_e32 v[12:13], 0
.LBB4_74:                               ;   in Loop: Header=BB4_53 Depth=1
	s_mov_b32 s15, 0
	s_cbranch_execnz .LBB4_76
.LBB4_75:                               ;   in Loop: Header=BB4_53 Depth=1
	global_load_dwordx2 v[12:13], v31, s[0:1]
	s_add_i32 s15, s22, -8
	s_add_u32 s0, s0, 8
	s_addc_u32 s1, s1, 0
.LBB4_76:                               ;   in Loop: Header=BB4_53 Depth=1
	s_cmp_gt_u32 s15, 7
	s_cbranch_scc1 .LBB4_80
; %bb.77:                               ;   in Loop: Header=BB4_53 Depth=1
	s_cmp_eq_u32 s15, 0
	s_cbranch_scc1 .LBB4_81
; %bb.78:                               ;   in Loop: Header=BB4_53 Depth=1
	s_mov_b64 s[18:19], 0
	v_mov_b64_e32 v[14:15], 0
	s_mov_b64 s[20:21], 0
.LBB4_79:                               ;   Parent Loop BB4_53 Depth=1
                                        ; =>  This Inner Loop Header: Depth=2
	s_add_u32 s22, s0, s20
	s_addc_u32 s23, s1, s21
	global_load_ubyte v6, v31, s[22:23]
	s_add_u32 s20, s20, 1
	s_addc_u32 s21, s21, 0
	s_waitcnt vmcnt(0)
	v_and_b32_e32 v30, 0xffff, v6
	v_lshlrev_b64 v[6:7], s18, v[30:31]
	s_add_u32 s18, s18, 8
	s_addc_u32 s19, s19, 0
	v_or_b32_e32 v14, v6, v14
	s_cmp_lg_u32 s15, s20
	v_or_b32_e32 v15, v7, v15
	s_cbranch_scc1 .LBB4_79
	s_branch .LBB4_82
.LBB4_80:                               ;   in Loop: Header=BB4_53 Depth=1
                                        ; implicit-def: $vgpr14_vgpr15
                                        ; implicit-def: $sgpr22
	s_branch .LBB4_83
.LBB4_81:                               ;   in Loop: Header=BB4_53 Depth=1
	v_mov_b64_e32 v[14:15], 0
.LBB4_82:                               ;   in Loop: Header=BB4_53 Depth=1
	s_mov_b32 s22, 0
	s_cbranch_execnz .LBB4_84
.LBB4_83:                               ;   in Loop: Header=BB4_53 Depth=1
	global_load_dwordx2 v[14:15], v31, s[0:1]
	s_add_i32 s22, s15, -8
	s_add_u32 s0, s0, 8
	s_addc_u32 s1, s1, 0
.LBB4_84:                               ;   in Loop: Header=BB4_53 Depth=1
	s_cmp_gt_u32 s22, 7
	s_cbranch_scc1 .LBB4_88
; %bb.85:                               ;   in Loop: Header=BB4_53 Depth=1
	s_cmp_eq_u32 s22, 0
	s_cbranch_scc1 .LBB4_89
; %bb.86:                               ;   in Loop: Header=BB4_53 Depth=1
	s_mov_b64 s[18:19], 0
	v_mov_b64_e32 v[16:17], 0
	s_mov_b64 s[20:21], 0
.LBB4_87:                               ;   Parent Loop BB4_53 Depth=1
                                        ; =>  This Inner Loop Header: Depth=2
	s_add_u32 s24, s0, s20
	s_addc_u32 s25, s1, s21
	global_load_ubyte v6, v31, s[24:25]
	s_add_u32 s20, s20, 1
	s_addc_u32 s21, s21, 0
	s_waitcnt vmcnt(0)
	v_and_b32_e32 v30, 0xffff, v6
	v_lshlrev_b64 v[6:7], s18, v[30:31]
	s_add_u32 s18, s18, 8
	s_addc_u32 s19, s19, 0
	v_or_b32_e32 v16, v6, v16
	s_cmp_lg_u32 s22, s20
	v_or_b32_e32 v17, v7, v17
	s_cbranch_scc1 .LBB4_87
	s_branch .LBB4_90
.LBB4_88:                               ;   in Loop: Header=BB4_53 Depth=1
                                        ; implicit-def: $sgpr15
	s_branch .LBB4_91
.LBB4_89:                               ;   in Loop: Header=BB4_53 Depth=1
	v_mov_b64_e32 v[16:17], 0
.LBB4_90:                               ;   in Loop: Header=BB4_53 Depth=1
	s_mov_b32 s15, 0
	s_cbranch_execnz .LBB4_92
.LBB4_91:                               ;   in Loop: Header=BB4_53 Depth=1
	global_load_dwordx2 v[16:17], v31, s[0:1]
	s_add_i32 s15, s22, -8
	s_add_u32 s0, s0, 8
	s_addc_u32 s1, s1, 0
.LBB4_92:                               ;   in Loop: Header=BB4_53 Depth=1
	s_cmp_gt_u32 s15, 7
	s_cbranch_scc1 .LBB4_96
; %bb.93:                               ;   in Loop: Header=BB4_53 Depth=1
	s_cmp_eq_u32 s15, 0
	s_cbranch_scc1 .LBB4_97
; %bb.94:                               ;   in Loop: Header=BB4_53 Depth=1
	s_mov_b64 s[18:19], 0
	v_mov_b64_e32 v[18:19], 0
	s_mov_b64 s[20:21], 0
.LBB4_95:                               ;   Parent Loop BB4_53 Depth=1
                                        ; =>  This Inner Loop Header: Depth=2
	s_add_u32 s22, s0, s20
	s_addc_u32 s23, s1, s21
	global_load_ubyte v6, v31, s[22:23]
	s_add_u32 s20, s20, 1
	s_addc_u32 s21, s21, 0
	s_waitcnt vmcnt(0)
	v_and_b32_e32 v30, 0xffff, v6
	v_lshlrev_b64 v[6:7], s18, v[30:31]
	s_add_u32 s18, s18, 8
	s_addc_u32 s19, s19, 0
	v_or_b32_e32 v18, v6, v18
	s_cmp_lg_u32 s15, s20
	v_or_b32_e32 v19, v7, v19
	s_cbranch_scc1 .LBB4_95
	s_branch .LBB4_98
.LBB4_96:                               ;   in Loop: Header=BB4_53 Depth=1
                                        ; implicit-def: $vgpr18_vgpr19
                                        ; implicit-def: $sgpr22
	s_branch .LBB4_99
.LBB4_97:                               ;   in Loop: Header=BB4_53 Depth=1
	v_mov_b64_e32 v[18:19], 0
.LBB4_98:                               ;   in Loop: Header=BB4_53 Depth=1
	s_mov_b32 s22, 0
	s_cbranch_execnz .LBB4_100
.LBB4_99:                               ;   in Loop: Header=BB4_53 Depth=1
	global_load_dwordx2 v[18:19], v31, s[0:1]
	s_add_i32 s22, s15, -8
	s_add_u32 s0, s0, 8
	s_addc_u32 s1, s1, 0
.LBB4_100:                              ;   in Loop: Header=BB4_53 Depth=1
	s_cmp_gt_u32 s22, 7
	s_cbranch_scc1 .LBB4_104
; %bb.101:                              ;   in Loop: Header=BB4_53 Depth=1
	s_cmp_eq_u32 s22, 0
	s_cbranch_scc1 .LBB4_105
; %bb.102:                              ;   in Loop: Header=BB4_53 Depth=1
	s_mov_b64 s[18:19], 0
	v_mov_b64_e32 v[20:21], 0
	s_mov_b64 s[20:21], s[0:1]
.LBB4_103:                              ;   Parent Loop BB4_53 Depth=1
                                        ; =>  This Inner Loop Header: Depth=2
	global_load_ubyte v6, v31, s[20:21]
	s_add_i32 s22, s22, -1
	s_waitcnt vmcnt(0)
	v_and_b32_e32 v30, 0xffff, v6
	v_lshlrev_b64 v[6:7], s18, v[30:31]
	s_add_u32 s18, s18, 8
	s_addc_u32 s19, s19, 0
	s_add_u32 s20, s20, 1
	s_addc_u32 s21, s21, 0
	v_or_b32_e32 v20, v6, v20
	s_cmp_lg_u32 s22, 0
	v_or_b32_e32 v21, v7, v21
	s_cbranch_scc1 .LBB4_103
	s_branch .LBB4_106
.LBB4_104:                              ;   in Loop: Header=BB4_53 Depth=1
	s_branch .LBB4_107
.LBB4_105:                              ;   in Loop: Header=BB4_53 Depth=1
	v_mov_b64_e32 v[20:21], 0
.LBB4_106:                              ;   in Loop: Header=BB4_53 Depth=1
	s_cbranch_execnz .LBB4_108
.LBB4_107:                              ;   in Loop: Header=BB4_53 Depth=1
	global_load_dwordx2 v[20:21], v31, s[0:1]
.LBB4_108:                              ;   in Loop: Header=BB4_53 Depth=1
	v_readfirstlane_b32 s0, v36
	v_mov_b64_e32 v[6:7], 0
	s_nop 0
	v_cmp_eq_u32_e64 s[0:1], s0, v36
	s_and_saveexec_b64 s[18:19], s[0:1]
	s_cbranch_execz .LBB4_114
; %bb.109:                              ;   in Loop: Header=BB4_53 Depth=1
	global_load_dwordx2 v[24:25], v31, s[2:3] offset:24 sc0 sc1
	s_waitcnt vmcnt(0)
	buffer_inv sc0 sc1
	global_load_dwordx2 v[6:7], v31, s[2:3] offset:40
	global_load_dwordx2 v[22:23], v31, s[2:3]
	s_waitcnt vmcnt(1)
	v_and_b32_e32 v6, v6, v24
	v_and_b32_e32 v7, v7, v25
	v_mul_lo_u32 v7, v7, 24
	v_mul_hi_u32 v27, v6, 24
	v_add_u32_e32 v7, v27, v7
	v_mul_lo_u32 v6, v6, 24
	s_waitcnt vmcnt(0)
	v_lshl_add_u64 v[6:7], v[22:23], 0, v[6:7]
	global_load_dwordx2 v[22:23], v[6:7], off sc0 sc1
	s_waitcnt vmcnt(0)
	global_atomic_cmpswap_x2 v[6:7], v31, v[22:25], s[2:3] offset:24 sc0 sc1
	s_waitcnt vmcnt(0)
	buffer_inv sc0 sc1
	v_cmp_ne_u64_e32 vcc, v[6:7], v[24:25]
	s_and_saveexec_b64 s[20:21], vcc
	s_cbranch_execz .LBB4_113
; %bb.110:                              ;   in Loop: Header=BB4_53 Depth=1
	s_mov_b64 s[22:23], 0
.LBB4_111:                              ;   Parent Loop BB4_53 Depth=1
                                        ; =>  This Inner Loop Header: Depth=2
	s_sleep 1
	global_load_dwordx2 v[22:23], v31, s[2:3] offset:40
	global_load_dwordx2 v[32:33], v31, s[2:3]
	v_mov_b64_e32 v[24:25], v[6:7]
	s_waitcnt vmcnt(1)
	v_and_b32_e32 v6, v22, v24
	s_waitcnt vmcnt(0)
	v_mad_u64_u32 v[6:7], s[24:25], v6, 24, v[32:33]
	v_and_b32_e32 v23, v23, v25
	v_mov_b32_e32 v22, v7
	v_mad_u64_u32 v[22:23], s[24:25], v23, 24, v[22:23]
	v_mov_b32_e32 v7, v22
	global_load_dwordx2 v[22:23], v[6:7], off sc0 sc1
	s_waitcnt vmcnt(0)
	global_atomic_cmpswap_x2 v[6:7], v31, v[22:25], s[2:3] offset:24 sc0 sc1
	s_waitcnt vmcnt(0)
	buffer_inv sc0 sc1
	v_cmp_eq_u64_e32 vcc, v[6:7], v[24:25]
	s_or_b64 s[22:23], vcc, s[22:23]
	s_andn2_b64 exec, exec, s[22:23]
	s_cbranch_execnz .LBB4_111
; %bb.112:                              ;   in Loop: Header=BB4_53 Depth=1
	s_or_b64 exec, exec, s[22:23]
.LBB4_113:                              ;   in Loop: Header=BB4_53 Depth=1
	s_or_b64 exec, exec, s[20:21]
.LBB4_114:                              ;   in Loop: Header=BB4_53 Depth=1
	s_or_b64 exec, exec, s[18:19]
	global_load_dwordx2 v[32:33], v31, s[2:3] offset:40
	global_load_dwordx4 v[22:25], v31, s[2:3]
	v_readfirstlane_b32 s18, v6
	v_readfirstlane_b32 s19, v7
	s_mov_b64 s[20:21], exec
	s_waitcnt vmcnt(1)
	v_readfirstlane_b32 s22, v32
	v_readfirstlane_b32 s23, v33
	s_and_b64 s[22:23], s[18:19], s[22:23]
	s_mul_i32 s15, s23, 24
	s_mul_hi_u32 s24, s22, 24
	s_add_i32 s25, s24, s15
	s_mul_i32 s24, s22, 24
	s_waitcnt vmcnt(0)
	v_lshl_add_u64 v[32:33], v[22:23], 0, s[24:25]
	s_and_saveexec_b64 s[24:25], s[0:1]
	s_cbranch_execz .LBB4_116
; %bb.115:                              ;   in Loop: Header=BB4_53 Depth=1
	v_mov_b64_e32 v[6:7], s[20:21]
	global_store_dwordx4 v[32:33], v[6:9], off offset:8
.LBB4_116:                              ;   in Loop: Header=BB4_53 Depth=1
	s_or_b64 exec, exec, s[24:25]
	s_lshl_b64 s[20:21], s[22:23], 12
	v_lshl_add_u64 v[6:7], v[24:25], 0, s[20:21]
	v_or_b32_e32 v25, v0, v26
	v_cmp_gt_u64_e64 vcc, s[10:11], 56
	s_lshl_b32 s15, s16, 2
	s_add_i32 s15, s15, 28
	v_cndmask_b32_e32 v0, v25, v0, vcc
	v_or_b32_e32 v24, 0, v1
	s_and_b32 s15, s15, 0x1e0
	v_and_b32_e32 v0, 0xffffff1f, v0
	v_cndmask_b32_e32 v1, v24, v1, vcc
	v_or_b32_e32 v0, s15, v0
	v_readfirstlane_b32 s20, v6
	v_readfirstlane_b32 s21, v7
	s_nop 4
	global_store_dwordx4 v28, v[0:3], s[20:21]
	global_store_dwordx4 v28, v[10:13], s[20:21] offset:16
	global_store_dwordx4 v28, v[14:17], s[20:21] offset:32
	;; [unrolled: 1-line block ×3, first 2 shown]
	s_and_saveexec_b64 s[20:21], s[0:1]
	s_cbranch_execz .LBB4_124
; %bb.117:                              ;   in Loop: Header=BB4_53 Depth=1
	global_load_dwordx2 v[14:15], v31, s[2:3] offset:32 sc0 sc1
	global_load_dwordx2 v[0:1], v31, s[2:3] offset:40
	v_mov_b32_e32 v12, s18
	v_mov_b32_e32 v13, s19
	s_waitcnt vmcnt(0)
	v_readfirstlane_b32 s22, v0
	v_readfirstlane_b32 s23, v1
	s_and_b64 s[22:23], s[22:23], s[18:19]
	s_mul_i32 s15, s23, 24
	s_mul_hi_u32 s23, s22, 24
	s_mul_i32 s22, s22, 24
	s_add_i32 s23, s23, s15
	v_lshl_add_u64 v[10:11], v[22:23], 0, s[22:23]
	global_store_dwordx2 v[10:11], v[14:15], off
	buffer_wbl2 sc0 sc1
	s_waitcnt vmcnt(0)
	global_atomic_cmpswap_x2 v[2:3], v31, v[12:15], s[2:3] offset:32 sc0 sc1
	s_waitcnt vmcnt(0)
	v_cmp_ne_u64_e32 vcc, v[2:3], v[14:15]
	s_and_saveexec_b64 s[22:23], vcc
	s_cbranch_execz .LBB4_120
; %bb.118:                              ;   in Loop: Header=BB4_53 Depth=1
	s_mov_b64 s[24:25], 0
.LBB4_119:                              ;   Parent Loop BB4_53 Depth=1
                                        ; =>  This Inner Loop Header: Depth=2
	s_sleep 1
	global_store_dwordx2 v[10:11], v[2:3], off
	v_mov_b32_e32 v0, s18
	v_mov_b32_e32 v1, s19
	buffer_wbl2 sc0 sc1
	s_waitcnt vmcnt(0)
	global_atomic_cmpswap_x2 v[0:1], v31, v[0:3], s[2:3] offset:32 sc0 sc1
	s_waitcnt vmcnt(0)
	v_cmp_eq_u64_e32 vcc, v[0:1], v[2:3]
	s_or_b64 s[24:25], vcc, s[24:25]
	v_mov_b64_e32 v[2:3], v[0:1]
	s_andn2_b64 exec, exec, s[24:25]
	s_cbranch_execnz .LBB4_119
.LBB4_120:                              ;   in Loop: Header=BB4_53 Depth=1
	s_or_b64 exec, exec, s[22:23]
	global_load_dwordx2 v[0:1], v31, s[2:3] offset:16
	s_mov_b64 s[24:25], exec
	v_mbcnt_lo_u32_b32 v2, s24, 0
	v_mbcnt_hi_u32_b32 v2, s25, v2
	v_cmp_eq_u32_e32 vcc, 0, v2
	s_and_saveexec_b64 s[22:23], vcc
	s_cbranch_execz .LBB4_122
; %bb.121:                              ;   in Loop: Header=BB4_53 Depth=1
	s_bcnt1_i32_b64 s15, s[24:25]
	v_mov_b32_e32 v30, s15
	buffer_wbl2 sc0 sc1
	s_waitcnt vmcnt(0)
	global_atomic_add_x2 v[0:1], v[30:31], off offset:8 sc1
.LBB4_122:                              ;   in Loop: Header=BB4_53 Depth=1
	s_or_b64 exec, exec, s[22:23]
	s_waitcnt vmcnt(0)
	global_load_dwordx2 v[2:3], v[0:1], off offset:16
	s_waitcnt vmcnt(0)
	v_cmp_eq_u64_e32 vcc, 0, v[2:3]
	s_cbranch_vccnz .LBB4_124
; %bb.123:                              ;   in Loop: Header=BB4_53 Depth=1
	global_load_dword v30, v[0:1], off offset:24
	s_waitcnt vmcnt(0)
	v_and_b32_e32 v0, 0xffffff, v30
	s_nop 0
	v_readfirstlane_b32 m0, v0
	buffer_wbl2 sc0 sc1
	global_store_dwordx2 v[2:3], v[30:31], off sc0 sc1
	s_sendmsg sendmsg(MSG_INTERRUPT)
.LBB4_124:                              ;   in Loop: Header=BB4_53 Depth=1
	s_or_b64 exec, exec, s[20:21]
	v_mov_b32_e32 v29, v31
	v_lshl_add_u64 v[0:1], v[6:7], 0, v[28:29]
	s_branch .LBB4_128
.LBB4_125:                              ;   in Loop: Header=BB4_128 Depth=2
	s_or_b64 exec, exec, s[20:21]
	v_readfirstlane_b32 s15, v2
	s_cmp_eq_u32 s15, 0
	s_cbranch_scc1 .LBB4_127
; %bb.126:                              ;   in Loop: Header=BB4_128 Depth=2
	s_sleep 1
	s_cbranch_execnz .LBB4_128
	s_branch .LBB4_130
.LBB4_127:                              ;   in Loop: Header=BB4_53 Depth=1
	s_branch .LBB4_130
.LBB4_128:                              ;   Parent Loop BB4_53 Depth=1
                                        ; =>  This Inner Loop Header: Depth=2
	v_mov_b32_e32 v2, 1
	s_and_saveexec_b64 s[20:21], s[0:1]
	s_cbranch_execz .LBB4_125
; %bb.129:                              ;   in Loop: Header=BB4_128 Depth=2
	global_load_dword v2, v[32:33], off offset:20 sc0 sc1
	s_waitcnt vmcnt(0)
	buffer_inv sc0 sc1
	v_and_b32_e32 v2, 1, v2
	s_branch .LBB4_125
.LBB4_130:                              ;   in Loop: Header=BB4_53 Depth=1
	global_load_dwordx4 v[0:3], v[0:1], off
	s_and_saveexec_b64 s[20:21], s[0:1]
	s_cbranch_execz .LBB4_52
; %bb.131:                              ;   in Loop: Header=BB4_53 Depth=1
	global_load_dwordx2 v[2:3], v31, s[2:3] offset:40
	global_load_dwordx2 v[6:7], v31, s[2:3] offset:24 sc0 sc1
	global_load_dwordx2 v[14:15], v31, s[2:3]
	s_waitcnt vmcnt(2)
	v_lshl_add_u64 v[10:11], v[2:3], 0, 1
	v_lshl_add_u64 v[16:17], v[10:11], 0, s[18:19]
	v_cmp_eq_u64_e32 vcc, 0, v[16:17]
	s_waitcnt vmcnt(1)
	v_mov_b32_e32 v12, v6
	v_cndmask_b32_e32 v11, v17, v11, vcc
	v_cndmask_b32_e32 v10, v16, v10, vcc
	v_and_b32_e32 v3, v11, v3
	v_and_b32_e32 v2, v10, v2
	v_mul_lo_u32 v3, v3, 24
	v_mul_hi_u32 v13, v2, 24
	v_mul_lo_u32 v2, v2, 24
	v_add_u32_e32 v3, v13, v3
	s_waitcnt vmcnt(0)
	v_lshl_add_u64 v[2:3], v[14:15], 0, v[2:3]
	global_store_dwordx2 v[2:3], v[6:7], off
	v_mov_b32_e32 v13, v7
	buffer_wbl2 sc0 sc1
	s_waitcnt vmcnt(0)
	global_atomic_cmpswap_x2 v[12:13], v31, v[10:13], s[2:3] offset:24 sc0 sc1
	s_waitcnt vmcnt(0)
	v_cmp_ne_u64_e32 vcc, v[12:13], v[6:7]
	s_and_b64 exec, exec, vcc
	s_cbranch_execz .LBB4_52
; %bb.132:                              ;   in Loop: Header=BB4_53 Depth=1
	s_mov_b64 s[0:1], 0
.LBB4_133:                              ;   Parent Loop BB4_53 Depth=1
                                        ; =>  This Inner Loop Header: Depth=2
	s_sleep 1
	global_store_dwordx2 v[2:3], v[12:13], off
	buffer_wbl2 sc0 sc1
	s_waitcnt vmcnt(0)
	global_atomic_cmpswap_x2 v[6:7], v31, v[10:13], s[2:3] offset:24 sc0 sc1
	s_waitcnt vmcnt(0)
	v_cmp_eq_u64_e32 vcc, v[6:7], v[12:13]
	s_or_b64 s[0:1], vcc, s[0:1]
	v_mov_b64_e32 v[12:13], v[6:7]
	s_andn2_b64 exec, exec, s[0:1]
	s_cbranch_execnz .LBB4_133
	s_branch .LBB4_52
.LBB4_134:
	s_branch .LBB4_162
.LBB4_135:
                                        ; implicit-def: $vgpr0_vgpr1
	s_cbranch_execz .LBB4_162
; %bb.136:
	v_readfirstlane_b32 s0, v36
	v_mov_b64_e32 v[6:7], 0
	s_nop 0
	v_cmp_eq_u32_e64 s[0:1], s0, v36
	s_and_saveexec_b64 s[6:7], s[0:1]
	s_cbranch_execz .LBB4_142
; %bb.137:
	s_waitcnt vmcnt(0)
	v_mov_b32_e32 v0, 0
	global_load_dwordx2 v[8:9], v0, s[2:3] offset:24 sc0 sc1
	s_waitcnt vmcnt(0)
	buffer_inv sc0 sc1
	global_load_dwordx2 v[2:3], v0, s[2:3] offset:40
	global_load_dwordx2 v[6:7], v0, s[2:3]
	s_waitcnt vmcnt(1)
	v_and_b32_e32 v1, v2, v8
	v_and_b32_e32 v2, v3, v9
	v_mul_lo_u32 v2, v2, 24
	v_mul_hi_u32 v3, v1, 24
	v_add_u32_e32 v3, v3, v2
	v_mul_lo_u32 v2, v1, 24
	s_waitcnt vmcnt(0)
	v_lshl_add_u64 v[2:3], v[6:7], 0, v[2:3]
	global_load_dwordx2 v[6:7], v[2:3], off sc0 sc1
	s_waitcnt vmcnt(0)
	global_atomic_cmpswap_x2 v[6:7], v0, v[6:9], s[2:3] offset:24 sc0 sc1
	s_waitcnt vmcnt(0)
	buffer_inv sc0 sc1
	v_cmp_ne_u64_e32 vcc, v[6:7], v[8:9]
	s_and_saveexec_b64 s[10:11], vcc
	s_cbranch_execz .LBB4_141
; %bb.138:
	s_mov_b64 s[16:17], 0
.LBB4_139:                              ; =>This Inner Loop Header: Depth=1
	s_sleep 1
	global_load_dwordx2 v[2:3], v0, s[2:3] offset:40
	global_load_dwordx2 v[10:11], v0, s[2:3]
	v_mov_b64_e32 v[8:9], v[6:7]
	s_waitcnt vmcnt(1)
	v_and_b32_e32 v2, v2, v8
	v_and_b32_e32 v1, v3, v9
	s_waitcnt vmcnt(0)
	v_mad_u64_u32 v[2:3], s[18:19], v2, 24, v[10:11]
	v_mov_b32_e32 v6, v3
	v_mad_u64_u32 v[6:7], s[18:19], v1, 24, v[6:7]
	v_mov_b32_e32 v3, v6
	global_load_dwordx2 v[6:7], v[2:3], off sc0 sc1
	s_waitcnt vmcnt(0)
	global_atomic_cmpswap_x2 v[6:7], v0, v[6:9], s[2:3] offset:24 sc0 sc1
	s_waitcnt vmcnt(0)
	buffer_inv sc0 sc1
	v_cmp_eq_u64_e32 vcc, v[6:7], v[8:9]
	s_or_b64 s[16:17], vcc, s[16:17]
	s_andn2_b64 exec, exec, s[16:17]
	s_cbranch_execnz .LBB4_139
; %bb.140:
	s_or_b64 exec, exec, s[16:17]
.LBB4_141:
	s_or_b64 exec, exec, s[10:11]
.LBB4_142:
	s_or_b64 exec, exec, s[6:7]
	v_mov_b32_e32 v29, 0
	global_load_dwordx2 v[8:9], v29, s[2:3] offset:40
	global_load_dwordx4 v[0:3], v29, s[2:3]
	v_readfirstlane_b32 s6, v6
	v_readfirstlane_b32 s7, v7
	s_mov_b64 s[10:11], exec
	s_waitcnt vmcnt(1)
	v_readfirstlane_b32 s16, v8
	v_readfirstlane_b32 s17, v9
	s_and_b64 s[16:17], s[6:7], s[16:17]
	s_mul_i32 s15, s17, 24
	s_mul_hi_u32 s18, s16, 24
	s_add_i32 s19, s18, s15
	s_mul_i32 s18, s16, 24
	s_waitcnt vmcnt(0)
	v_lshl_add_u64 v[8:9], v[0:1], 0, s[18:19]
	s_and_saveexec_b64 s[18:19], s[0:1]
	s_cbranch_execz .LBB4_144
; %bb.143:
	v_mov_b64_e32 v[10:11], s[10:11]
	v_mov_b32_e32 v12, 2
	v_mov_b32_e32 v13, 1
	global_store_dwordx4 v[8:9], v[10:13], off offset:8
.LBB4_144:
	s_or_b64 exec, exec, s[18:19]
	s_lshl_b64 s[10:11], s[16:17], 12
	v_lshl_add_u64 v[10:11], v[2:3], 0, s[10:11]
	s_movk_i32 s10, 0xff1f
	s_mov_b32 s16, 0
	v_and_or_b32 v4, v4, s10, 32
	v_mov_b32_e32 v6, v29
	v_mov_b32_e32 v7, v29
	v_readfirstlane_b32 s10, v10
	v_readfirstlane_b32 s11, v11
	s_mov_b32 s17, s16
	s_mov_b32 s18, s16
	;; [unrolled: 1-line block ×3, first 2 shown]
	s_nop 1
	global_store_dwordx4 v28, v[4:7], s[10:11]
	v_mov_b64_e32 v[2:3], s[16:17]
	s_nop 0
	v_mov_b64_e32 v[4:5], s[18:19]
	global_store_dwordx4 v28, v[2:5], s[10:11] offset:16
	global_store_dwordx4 v28, v[2:5], s[10:11] offset:32
	;; [unrolled: 1-line block ×3, first 2 shown]
	s_and_saveexec_b64 s[10:11], s[0:1]
	s_cbranch_execz .LBB4_152
; %bb.145:
	v_mov_b32_e32 v6, 0
	global_load_dwordx2 v[14:15], v6, s[2:3] offset:32 sc0 sc1
	global_load_dwordx2 v[2:3], v6, s[2:3] offset:40
	v_mov_b32_e32 v12, s6
	v_mov_b32_e32 v13, s7
	s_waitcnt vmcnt(0)
	v_readfirstlane_b32 s16, v2
	v_readfirstlane_b32 s17, v3
	s_and_b64 s[16:17], s[16:17], s[6:7]
	s_mul_i32 s15, s17, 24
	s_mul_hi_u32 s17, s16, 24
	s_mul_i32 s16, s16, 24
	s_add_i32 s17, s17, s15
	v_lshl_add_u64 v[4:5], v[0:1], 0, s[16:17]
	global_store_dwordx2 v[4:5], v[14:15], off
	buffer_wbl2 sc0 sc1
	s_waitcnt vmcnt(0)
	global_atomic_cmpswap_x2 v[2:3], v6, v[12:15], s[2:3] offset:32 sc0 sc1
	s_waitcnt vmcnt(0)
	v_cmp_ne_u64_e32 vcc, v[2:3], v[14:15]
	s_and_saveexec_b64 s[16:17], vcc
	s_cbranch_execz .LBB4_148
; %bb.146:
	s_mov_b64 s[18:19], 0
.LBB4_147:                              ; =>This Inner Loop Header: Depth=1
	s_sleep 1
	global_store_dwordx2 v[4:5], v[2:3], off
	v_mov_b32_e32 v0, s6
	v_mov_b32_e32 v1, s7
	buffer_wbl2 sc0 sc1
	s_waitcnt vmcnt(0)
	global_atomic_cmpswap_x2 v[0:1], v6, v[0:3], s[2:3] offset:32 sc0 sc1
	s_waitcnt vmcnt(0)
	v_cmp_eq_u64_e32 vcc, v[0:1], v[2:3]
	s_or_b64 s[18:19], vcc, s[18:19]
	v_mov_b64_e32 v[2:3], v[0:1]
	s_andn2_b64 exec, exec, s[18:19]
	s_cbranch_execnz .LBB4_147
.LBB4_148:
	s_or_b64 exec, exec, s[16:17]
	v_mov_b32_e32 v3, 0
	global_load_dwordx2 v[0:1], v3, s[2:3] offset:16
	s_mov_b64 s[16:17], exec
	v_mbcnt_lo_u32_b32 v2, s16, 0
	v_mbcnt_hi_u32_b32 v2, s17, v2
	v_cmp_eq_u32_e32 vcc, 0, v2
	s_and_saveexec_b64 s[18:19], vcc
	s_cbranch_execz .LBB4_150
; %bb.149:
	s_bcnt1_i32_b64 s15, s[16:17]
	v_mov_b32_e32 v2, s15
	buffer_wbl2 sc0 sc1
	s_waitcnt vmcnt(0)
	global_atomic_add_x2 v[0:1], v[2:3], off offset:8 sc1
.LBB4_150:
	s_or_b64 exec, exec, s[18:19]
	s_waitcnt vmcnt(0)
	global_load_dwordx2 v[2:3], v[0:1], off offset:16
	s_waitcnt vmcnt(0)
	v_cmp_eq_u64_e32 vcc, 0, v[2:3]
	s_cbranch_vccnz .LBB4_152
; %bb.151:
	global_load_dword v0, v[0:1], off offset:24
	v_mov_b32_e32 v1, 0
	buffer_wbl2 sc0 sc1
	s_waitcnt vmcnt(0)
	global_store_dwordx2 v[2:3], v[0:1], off sc0 sc1
	v_and_b32_e32 v0, 0xffffff, v0
	s_nop 0
	v_readfirstlane_b32 m0, v0
	s_sendmsg sendmsg(MSG_INTERRUPT)
.LBB4_152:
	s_or_b64 exec, exec, s[10:11]
	v_lshl_add_u64 v[0:1], v[10:11], 0, v[28:29]
	s_branch .LBB4_156
.LBB4_153:                              ;   in Loop: Header=BB4_156 Depth=1
	s_or_b64 exec, exec, s[10:11]
	v_readfirstlane_b32 s10, v2
	s_cmp_eq_u32 s10, 0
	s_cbranch_scc1 .LBB4_155
; %bb.154:                              ;   in Loop: Header=BB4_156 Depth=1
	s_sleep 1
	s_cbranch_execnz .LBB4_156
	s_branch .LBB4_158
.LBB4_155:
	s_branch .LBB4_158
.LBB4_156:                              ; =>This Inner Loop Header: Depth=1
	v_mov_b32_e32 v2, 1
	s_and_saveexec_b64 s[10:11], s[0:1]
	s_cbranch_execz .LBB4_153
; %bb.157:                              ;   in Loop: Header=BB4_156 Depth=1
	global_load_dword v2, v[8:9], off offset:20 sc0 sc1
	s_waitcnt vmcnt(0)
	buffer_inv sc0 sc1
	v_and_b32_e32 v2, 1, v2
	s_branch .LBB4_153
.LBB4_158:
	global_load_dwordx2 v[0:1], v[0:1], off
	s_and_saveexec_b64 s[10:11], s[0:1]
	s_cbranch_execz .LBB4_161
; %bb.159:
	v_mov_b32_e32 v8, 0
	global_load_dwordx2 v[6:7], v8, s[2:3] offset:40
	global_load_dwordx2 v[10:11], v8, s[2:3] offset:24 sc0 sc1
	global_load_dwordx2 v[12:13], v8, s[2:3]
	s_mov_b64 s[0:1], 0
	s_waitcnt vmcnt(2)
	v_lshl_add_u64 v[2:3], v[6:7], 0, 1
	v_lshl_add_u64 v[14:15], v[2:3], 0, s[6:7]
	v_cmp_eq_u64_e32 vcc, 0, v[14:15]
	s_waitcnt vmcnt(1)
	v_mov_b32_e32 v4, v10
	v_cndmask_b32_e32 v3, v15, v3, vcc
	v_cndmask_b32_e32 v2, v14, v2, vcc
	v_and_b32_e32 v5, v3, v7
	v_and_b32_e32 v6, v2, v6
	v_mul_lo_u32 v5, v5, 24
	v_mul_hi_u32 v7, v6, 24
	v_mul_lo_u32 v6, v6, 24
	v_add_u32_e32 v7, v7, v5
	s_waitcnt vmcnt(0)
	v_lshl_add_u64 v[6:7], v[12:13], 0, v[6:7]
	global_store_dwordx2 v[6:7], v[10:11], off
	v_mov_b32_e32 v5, v11
	buffer_wbl2 sc0 sc1
	s_waitcnt vmcnt(0)
	global_atomic_cmpswap_x2 v[4:5], v8, v[2:5], s[2:3] offset:24 sc0 sc1
	s_waitcnt vmcnt(0)
	v_cmp_ne_u64_e32 vcc, v[4:5], v[10:11]
	s_and_b64 exec, exec, vcc
	s_cbranch_execz .LBB4_161
.LBB4_160:                              ; =>This Inner Loop Header: Depth=1
	s_sleep 1
	global_store_dwordx2 v[6:7], v[4:5], off
	buffer_wbl2 sc0 sc1
	s_waitcnt vmcnt(0)
	global_atomic_cmpswap_x2 v[10:11], v8, v[2:5], s[2:3] offset:24 sc0 sc1
	s_waitcnt vmcnt(0)
	v_cmp_eq_u64_e32 vcc, v[10:11], v[4:5]
	s_or_b64 s[0:1], vcc, s[0:1]
	v_mov_b64_e32 v[4:5], v[10:11]
	s_andn2_b64 exec, exec, s[0:1]
	s_cbranch_execnz .LBB4_160
.LBB4_161:
	s_or_b64 exec, exec, s[10:11]
.LBB4_162:
	s_getpc_b64 s[6:7]
	s_add_u32 s6, s6, __PRETTY_FUNCTION__._ZL22merge_first_all_largerRN8migraphx4test12test_managerE@rel32@lo+4
	s_addc_u32 s7, s7, __PRETTY_FUNCTION__._ZL22merge_first_all_largerRN8migraphx4test12test_managerE@rel32@hi+12
	s_cmp_lg_u64 s[6:7], 0
	s_cbranch_scc0 .LBB4_247
; %bb.163:
	s_waitcnt vmcnt(0)
	v_and_b32_e32 v6, -3, v0
	v_mov_b32_e32 v7, v1
	s_mov_b64 s[10:11], 60
	v_mov_b32_e32 v27, 0
	v_mov_b32_e32 v4, 2
	;; [unrolled: 1-line block ×3, first 2 shown]
	s_branch .LBB4_165
.LBB4_164:                              ;   in Loop: Header=BB4_165 Depth=1
	s_or_b64 exec, exec, s[20:21]
	s_sub_u32 s10, s10, s16
	s_subb_u32 s11, s11, s17
	s_add_u32 s6, s6, s16
	s_addc_u32 s7, s7, s17
	s_cmp_lg_u64 s[10:11], 0
	s_cbranch_scc0 .LBB4_246
.LBB4_165:                              ; =>This Loop Header: Depth=1
                                        ;     Child Loop BB4_168 Depth 2
                                        ;     Child Loop BB4_175 Depth 2
	;; [unrolled: 1-line block ×11, first 2 shown]
	v_cmp_lt_u64_e64 s[0:1], s[10:11], 56
	s_and_b64 s[0:1], s[0:1], exec
	v_cmp_gt_u64_e64 s[0:1], s[10:11], 7
	s_cselect_b32 s17, s11, 0
	s_cselect_b32 s16, s10, 56
	s_and_b64 vcc, exec, s[0:1]
	s_cbranch_vccnz .LBB4_170
; %bb.166:                              ;   in Loop: Header=BB4_165 Depth=1
	s_mov_b64 s[0:1], 0
	s_cmp_eq_u64 s[10:11], 0
	s_waitcnt vmcnt(0)
	v_mov_b64_e32 v[8:9], 0
	s_cbranch_scc1 .LBB4_169
; %bb.167:                              ;   in Loop: Header=BB4_165 Depth=1
	s_lshl_b64 s[18:19], s[16:17], 3
	s_mov_b64 s[20:21], 0
	v_mov_b64_e32 v[8:9], 0
	s_mov_b64 s[22:23], s[6:7]
.LBB4_168:                              ;   Parent Loop BB4_165 Depth=1
                                        ; =>  This Inner Loop Header: Depth=2
	global_load_ubyte v2, v27, s[22:23]
	s_waitcnt vmcnt(0)
	v_and_b32_e32 v26, 0xffff, v2
	v_lshlrev_b64 v[2:3], s20, v[26:27]
	s_add_u32 s20, s20, 8
	s_addc_u32 s21, s21, 0
	s_add_u32 s22, s22, 1
	s_addc_u32 s23, s23, 0
	v_or_b32_e32 v8, v2, v8
	s_cmp_lg_u32 s18, s20
	v_or_b32_e32 v9, v3, v9
	s_cbranch_scc1 .LBB4_168
.LBB4_169:                              ;   in Loop: Header=BB4_165 Depth=1
	s_mov_b32 s15, 0
	s_andn2_b64 vcc, exec, s[0:1]
	s_mov_b64 s[0:1], s[6:7]
	s_cbranch_vccz .LBB4_171
	s_branch .LBB4_172
.LBB4_170:                              ;   in Loop: Header=BB4_165 Depth=1
                                        ; implicit-def: $sgpr15
	s_mov_b64 s[0:1], s[6:7]
.LBB4_171:                              ;   in Loop: Header=BB4_165 Depth=1
	global_load_dwordx2 v[8:9], v27, s[6:7]
	s_add_i32 s15, s16, -8
	s_add_u32 s0, s6, 8
	s_addc_u32 s1, s7, 0
.LBB4_172:                              ;   in Loop: Header=BB4_165 Depth=1
	s_cmp_gt_u32 s15, 7
	s_cbranch_scc1 .LBB4_176
; %bb.173:                              ;   in Loop: Header=BB4_165 Depth=1
	s_cmp_eq_u32 s15, 0
	s_cbranch_scc1 .LBB4_177
; %bb.174:                              ;   in Loop: Header=BB4_165 Depth=1
	s_mov_b64 s[18:19], 0
	v_mov_b64_e32 v[10:11], 0
	s_mov_b64 s[20:21], 0
.LBB4_175:                              ;   Parent Loop BB4_165 Depth=1
                                        ; =>  This Inner Loop Header: Depth=2
	s_add_u32 s22, s0, s20
	s_addc_u32 s23, s1, s21
	global_load_ubyte v2, v27, s[22:23]
	s_add_u32 s20, s20, 1
	s_addc_u32 s21, s21, 0
	s_waitcnt vmcnt(0)
	v_and_b32_e32 v26, 0xffff, v2
	v_lshlrev_b64 v[2:3], s18, v[26:27]
	s_add_u32 s18, s18, 8
	s_addc_u32 s19, s19, 0
	v_or_b32_e32 v10, v2, v10
	s_cmp_lg_u32 s15, s20
	v_or_b32_e32 v11, v3, v11
	s_cbranch_scc1 .LBB4_175
	s_branch .LBB4_178
.LBB4_176:                              ;   in Loop: Header=BB4_165 Depth=1
                                        ; implicit-def: $vgpr10_vgpr11
                                        ; implicit-def: $sgpr22
	s_branch .LBB4_179
.LBB4_177:                              ;   in Loop: Header=BB4_165 Depth=1
	v_mov_b64_e32 v[10:11], 0
.LBB4_178:                              ;   in Loop: Header=BB4_165 Depth=1
	s_mov_b32 s22, 0
	s_cbranch_execnz .LBB4_180
.LBB4_179:                              ;   in Loop: Header=BB4_165 Depth=1
	global_load_dwordx2 v[10:11], v27, s[0:1]
	s_add_i32 s22, s15, -8
	s_add_u32 s0, s0, 8
	s_addc_u32 s1, s1, 0
.LBB4_180:                              ;   in Loop: Header=BB4_165 Depth=1
	s_cmp_gt_u32 s22, 7
	s_cbranch_scc1 .LBB4_184
; %bb.181:                              ;   in Loop: Header=BB4_165 Depth=1
	s_cmp_eq_u32 s22, 0
	s_cbranch_scc1 .LBB4_185
; %bb.182:                              ;   in Loop: Header=BB4_165 Depth=1
	s_mov_b64 s[18:19], 0
	v_mov_b64_e32 v[12:13], 0
	s_mov_b64 s[20:21], 0
.LBB4_183:                              ;   Parent Loop BB4_165 Depth=1
                                        ; =>  This Inner Loop Header: Depth=2
	s_add_u32 s24, s0, s20
	s_addc_u32 s25, s1, s21
	global_load_ubyte v2, v27, s[24:25]
	s_add_u32 s20, s20, 1
	s_addc_u32 s21, s21, 0
	s_waitcnt vmcnt(0)
	v_and_b32_e32 v26, 0xffff, v2
	v_lshlrev_b64 v[2:3], s18, v[26:27]
	s_add_u32 s18, s18, 8
	s_addc_u32 s19, s19, 0
	v_or_b32_e32 v12, v2, v12
	s_cmp_lg_u32 s22, s20
	v_or_b32_e32 v13, v3, v13
	s_cbranch_scc1 .LBB4_183
	s_branch .LBB4_186
.LBB4_184:                              ;   in Loop: Header=BB4_165 Depth=1
                                        ; implicit-def: $sgpr15
	s_branch .LBB4_187
.LBB4_185:                              ;   in Loop: Header=BB4_165 Depth=1
	v_mov_b64_e32 v[12:13], 0
.LBB4_186:                              ;   in Loop: Header=BB4_165 Depth=1
	s_mov_b32 s15, 0
	s_cbranch_execnz .LBB4_188
.LBB4_187:                              ;   in Loop: Header=BB4_165 Depth=1
	global_load_dwordx2 v[12:13], v27, s[0:1]
	s_add_i32 s15, s22, -8
	s_add_u32 s0, s0, 8
	s_addc_u32 s1, s1, 0
.LBB4_188:                              ;   in Loop: Header=BB4_165 Depth=1
	s_cmp_gt_u32 s15, 7
	s_cbranch_scc1 .LBB4_192
; %bb.189:                              ;   in Loop: Header=BB4_165 Depth=1
	s_cmp_eq_u32 s15, 0
	s_cbranch_scc1 .LBB4_193
; %bb.190:                              ;   in Loop: Header=BB4_165 Depth=1
	s_mov_b64 s[18:19], 0
	v_mov_b64_e32 v[14:15], 0
	s_mov_b64 s[20:21], 0
.LBB4_191:                              ;   Parent Loop BB4_165 Depth=1
                                        ; =>  This Inner Loop Header: Depth=2
	s_add_u32 s22, s0, s20
	s_addc_u32 s23, s1, s21
	global_load_ubyte v2, v27, s[22:23]
	s_add_u32 s20, s20, 1
	s_addc_u32 s21, s21, 0
	s_waitcnt vmcnt(0)
	v_and_b32_e32 v26, 0xffff, v2
	v_lshlrev_b64 v[2:3], s18, v[26:27]
	s_add_u32 s18, s18, 8
	s_addc_u32 s19, s19, 0
	v_or_b32_e32 v14, v2, v14
	s_cmp_lg_u32 s15, s20
	v_or_b32_e32 v15, v3, v15
	s_cbranch_scc1 .LBB4_191
	s_branch .LBB4_194
.LBB4_192:                              ;   in Loop: Header=BB4_165 Depth=1
                                        ; implicit-def: $vgpr14_vgpr15
                                        ; implicit-def: $sgpr22
	s_branch .LBB4_195
.LBB4_193:                              ;   in Loop: Header=BB4_165 Depth=1
	v_mov_b64_e32 v[14:15], 0
.LBB4_194:                              ;   in Loop: Header=BB4_165 Depth=1
	s_mov_b32 s22, 0
	s_cbranch_execnz .LBB4_196
.LBB4_195:                              ;   in Loop: Header=BB4_165 Depth=1
	global_load_dwordx2 v[14:15], v27, s[0:1]
	s_add_i32 s22, s15, -8
	s_add_u32 s0, s0, 8
	s_addc_u32 s1, s1, 0
.LBB4_196:                              ;   in Loop: Header=BB4_165 Depth=1
	s_cmp_gt_u32 s22, 7
	s_cbranch_scc1 .LBB4_200
; %bb.197:                              ;   in Loop: Header=BB4_165 Depth=1
	s_cmp_eq_u32 s22, 0
	s_cbranch_scc1 .LBB4_201
; %bb.198:                              ;   in Loop: Header=BB4_165 Depth=1
	s_mov_b64 s[18:19], 0
	v_mov_b64_e32 v[16:17], 0
	s_mov_b64 s[20:21], 0
.LBB4_199:                              ;   Parent Loop BB4_165 Depth=1
                                        ; =>  This Inner Loop Header: Depth=2
	s_add_u32 s24, s0, s20
	s_addc_u32 s25, s1, s21
	global_load_ubyte v2, v27, s[24:25]
	s_add_u32 s20, s20, 1
	s_addc_u32 s21, s21, 0
	s_waitcnt vmcnt(0)
	v_and_b32_e32 v26, 0xffff, v2
	v_lshlrev_b64 v[2:3], s18, v[26:27]
	s_add_u32 s18, s18, 8
	s_addc_u32 s19, s19, 0
	v_or_b32_e32 v16, v2, v16
	s_cmp_lg_u32 s22, s20
	v_or_b32_e32 v17, v3, v17
	s_cbranch_scc1 .LBB4_199
	s_branch .LBB4_202
.LBB4_200:                              ;   in Loop: Header=BB4_165 Depth=1
                                        ; implicit-def: $sgpr15
	s_branch .LBB4_203
.LBB4_201:                              ;   in Loop: Header=BB4_165 Depth=1
	v_mov_b64_e32 v[16:17], 0
.LBB4_202:                              ;   in Loop: Header=BB4_165 Depth=1
	s_mov_b32 s15, 0
	s_cbranch_execnz .LBB4_204
.LBB4_203:                              ;   in Loop: Header=BB4_165 Depth=1
	global_load_dwordx2 v[16:17], v27, s[0:1]
	s_add_i32 s15, s22, -8
	s_add_u32 s0, s0, 8
	s_addc_u32 s1, s1, 0
.LBB4_204:                              ;   in Loop: Header=BB4_165 Depth=1
	s_cmp_gt_u32 s15, 7
	s_cbranch_scc1 .LBB4_208
; %bb.205:                              ;   in Loop: Header=BB4_165 Depth=1
	s_cmp_eq_u32 s15, 0
	s_cbranch_scc1 .LBB4_209
; %bb.206:                              ;   in Loop: Header=BB4_165 Depth=1
	s_mov_b64 s[18:19], 0
	v_mov_b64_e32 v[18:19], 0
	s_mov_b64 s[20:21], 0
.LBB4_207:                              ;   Parent Loop BB4_165 Depth=1
                                        ; =>  This Inner Loop Header: Depth=2
	s_add_u32 s22, s0, s20
	s_addc_u32 s23, s1, s21
	global_load_ubyte v2, v27, s[22:23]
	s_add_u32 s20, s20, 1
	s_addc_u32 s21, s21, 0
	s_waitcnt vmcnt(0)
	v_and_b32_e32 v26, 0xffff, v2
	v_lshlrev_b64 v[2:3], s18, v[26:27]
	s_add_u32 s18, s18, 8
	s_addc_u32 s19, s19, 0
	v_or_b32_e32 v18, v2, v18
	s_cmp_lg_u32 s15, s20
	v_or_b32_e32 v19, v3, v19
	s_cbranch_scc1 .LBB4_207
	s_branch .LBB4_210
.LBB4_208:                              ;   in Loop: Header=BB4_165 Depth=1
                                        ; implicit-def: $vgpr18_vgpr19
                                        ; implicit-def: $sgpr22
	s_branch .LBB4_211
.LBB4_209:                              ;   in Loop: Header=BB4_165 Depth=1
	v_mov_b64_e32 v[18:19], 0
.LBB4_210:                              ;   in Loop: Header=BB4_165 Depth=1
	s_mov_b32 s22, 0
	s_cbranch_execnz .LBB4_212
.LBB4_211:                              ;   in Loop: Header=BB4_165 Depth=1
	global_load_dwordx2 v[18:19], v27, s[0:1]
	s_add_i32 s22, s15, -8
	s_add_u32 s0, s0, 8
	s_addc_u32 s1, s1, 0
.LBB4_212:                              ;   in Loop: Header=BB4_165 Depth=1
	s_cmp_gt_u32 s22, 7
	s_cbranch_scc1 .LBB4_216
; %bb.213:                              ;   in Loop: Header=BB4_165 Depth=1
	s_cmp_eq_u32 s22, 0
	s_cbranch_scc1 .LBB4_217
; %bb.214:                              ;   in Loop: Header=BB4_165 Depth=1
	s_mov_b64 s[18:19], 0
	v_mov_b64_e32 v[20:21], 0
	s_mov_b64 s[20:21], s[0:1]
.LBB4_215:                              ;   Parent Loop BB4_165 Depth=1
                                        ; =>  This Inner Loop Header: Depth=2
	global_load_ubyte v2, v27, s[20:21]
	s_add_i32 s22, s22, -1
	s_waitcnt vmcnt(0)
	v_and_b32_e32 v26, 0xffff, v2
	v_lshlrev_b64 v[2:3], s18, v[26:27]
	s_add_u32 s18, s18, 8
	s_addc_u32 s19, s19, 0
	s_add_u32 s20, s20, 1
	s_addc_u32 s21, s21, 0
	v_or_b32_e32 v20, v2, v20
	s_cmp_lg_u32 s22, 0
	v_or_b32_e32 v21, v3, v21
	s_cbranch_scc1 .LBB4_215
	s_branch .LBB4_218
.LBB4_216:                              ;   in Loop: Header=BB4_165 Depth=1
	s_branch .LBB4_219
.LBB4_217:                              ;   in Loop: Header=BB4_165 Depth=1
	v_mov_b64_e32 v[20:21], 0
.LBB4_218:                              ;   in Loop: Header=BB4_165 Depth=1
	s_cbranch_execnz .LBB4_220
.LBB4_219:                              ;   in Loop: Header=BB4_165 Depth=1
	global_load_dwordx2 v[20:21], v27, s[0:1]
.LBB4_220:                              ;   in Loop: Header=BB4_165 Depth=1
	v_readfirstlane_b32 s0, v36
	v_mov_b64_e32 v[2:3], 0
	s_nop 0
	v_cmp_eq_u32_e64 s[0:1], s0, v36
	s_and_saveexec_b64 s[18:19], s[0:1]
	s_cbranch_execz .LBB4_226
; %bb.221:                              ;   in Loop: Header=BB4_165 Depth=1
	global_load_dwordx2 v[24:25], v27, s[2:3] offset:24 sc0 sc1
	s_waitcnt vmcnt(0)
	buffer_inv sc0 sc1
	global_load_dwordx2 v[2:3], v27, s[2:3] offset:40
	global_load_dwordx2 v[22:23], v27, s[2:3]
	s_waitcnt vmcnt(1)
	v_and_b32_e32 v2, v2, v24
	v_and_b32_e32 v3, v3, v25
	v_mul_lo_u32 v3, v3, 24
	v_mul_hi_u32 v26, v2, 24
	v_add_u32_e32 v3, v26, v3
	v_mul_lo_u32 v2, v2, 24
	s_waitcnt vmcnt(0)
	v_lshl_add_u64 v[2:3], v[22:23], 0, v[2:3]
	global_load_dwordx2 v[22:23], v[2:3], off sc0 sc1
	s_waitcnt vmcnt(0)
	global_atomic_cmpswap_x2 v[2:3], v27, v[22:25], s[2:3] offset:24 sc0 sc1
	s_waitcnt vmcnt(0)
	buffer_inv sc0 sc1
	v_cmp_ne_u64_e32 vcc, v[2:3], v[24:25]
	s_and_saveexec_b64 s[20:21], vcc
	s_cbranch_execz .LBB4_225
; %bb.222:                              ;   in Loop: Header=BB4_165 Depth=1
	s_mov_b64 s[22:23], 0
.LBB4_223:                              ;   Parent Loop BB4_165 Depth=1
                                        ; =>  This Inner Loop Header: Depth=2
	s_sleep 1
	global_load_dwordx2 v[22:23], v27, s[2:3] offset:40
	global_load_dwordx2 v[30:31], v27, s[2:3]
	v_mov_b64_e32 v[24:25], v[2:3]
	s_waitcnt vmcnt(1)
	v_and_b32_e32 v2, v22, v24
	s_waitcnt vmcnt(0)
	v_mad_u64_u32 v[2:3], s[24:25], v2, 24, v[30:31]
	v_and_b32_e32 v23, v23, v25
	v_mov_b32_e32 v22, v3
	v_mad_u64_u32 v[22:23], s[24:25], v23, 24, v[22:23]
	v_mov_b32_e32 v3, v22
	global_load_dwordx2 v[22:23], v[2:3], off sc0 sc1
	s_waitcnt vmcnt(0)
	global_atomic_cmpswap_x2 v[2:3], v27, v[22:25], s[2:3] offset:24 sc0 sc1
	s_waitcnt vmcnt(0)
	buffer_inv sc0 sc1
	v_cmp_eq_u64_e32 vcc, v[2:3], v[24:25]
	s_or_b64 s[22:23], vcc, s[22:23]
	s_andn2_b64 exec, exec, s[22:23]
	s_cbranch_execnz .LBB4_223
; %bb.224:                              ;   in Loop: Header=BB4_165 Depth=1
	s_or_b64 exec, exec, s[22:23]
.LBB4_225:                              ;   in Loop: Header=BB4_165 Depth=1
	s_or_b64 exec, exec, s[20:21]
.LBB4_226:                              ;   in Loop: Header=BB4_165 Depth=1
	s_or_b64 exec, exec, s[18:19]
	global_load_dwordx2 v[30:31], v27, s[2:3] offset:40
	global_load_dwordx4 v[22:25], v27, s[2:3]
	v_readfirstlane_b32 s18, v2
	v_readfirstlane_b32 s19, v3
	s_mov_b64 s[20:21], exec
	s_waitcnt vmcnt(1)
	v_readfirstlane_b32 s22, v30
	v_readfirstlane_b32 s23, v31
	s_and_b64 s[22:23], s[18:19], s[22:23]
	s_mul_i32 s15, s23, 24
	s_mul_hi_u32 s24, s22, 24
	s_add_i32 s25, s24, s15
	s_mul_i32 s24, s22, 24
	s_waitcnt vmcnt(0)
	v_lshl_add_u64 v[30:31], v[22:23], 0, s[24:25]
	s_and_saveexec_b64 s[24:25], s[0:1]
	s_cbranch_execz .LBB4_228
; %bb.227:                              ;   in Loop: Header=BB4_165 Depth=1
	v_mov_b64_e32 v[2:3], s[20:21]
	global_store_dwordx4 v[30:31], v[2:5], off offset:8
.LBB4_228:                              ;   in Loop: Header=BB4_165 Depth=1
	s_or_b64 exec, exec, s[24:25]
	s_lshl_b64 s[20:21], s[22:23], 12
	v_lshl_add_u64 v[2:3], v[24:25], 0, s[20:21]
	v_or_b32_e32 v24, 2, v6
	v_cmp_gt_u64_e64 vcc, s[10:11], 56
	s_lshl_b32 s15, s16, 2
	s_add_i32 s15, s15, 28
	v_cndmask_b32_e32 v6, v24, v6, vcc
	s_and_b32 s15, s15, 0x1e0
	v_and_b32_e32 v6, 0xffffff1f, v6
	v_or_b32_e32 v6, s15, v6
	v_readfirstlane_b32 s20, v2
	v_readfirstlane_b32 s21, v3
	s_nop 4
	global_store_dwordx4 v28, v[6:9], s[20:21]
	global_store_dwordx4 v28, v[10:13], s[20:21] offset:16
	global_store_dwordx4 v28, v[14:17], s[20:21] offset:32
	;; [unrolled: 1-line block ×3, first 2 shown]
	s_and_saveexec_b64 s[20:21], s[0:1]
	s_cbranch_execz .LBB4_236
; %bb.229:                              ;   in Loop: Header=BB4_165 Depth=1
	global_load_dwordx2 v[14:15], v27, s[2:3] offset:32 sc0 sc1
	global_load_dwordx2 v[6:7], v27, s[2:3] offset:40
	v_mov_b32_e32 v12, s18
	v_mov_b32_e32 v13, s19
	s_waitcnt vmcnt(0)
	v_readfirstlane_b32 s22, v6
	v_readfirstlane_b32 s23, v7
	s_and_b64 s[22:23], s[22:23], s[18:19]
	s_mul_i32 s15, s23, 24
	s_mul_hi_u32 s23, s22, 24
	s_mul_i32 s22, s22, 24
	s_add_i32 s23, s23, s15
	v_lshl_add_u64 v[10:11], v[22:23], 0, s[22:23]
	global_store_dwordx2 v[10:11], v[14:15], off
	buffer_wbl2 sc0 sc1
	s_waitcnt vmcnt(0)
	global_atomic_cmpswap_x2 v[8:9], v27, v[12:15], s[2:3] offset:32 sc0 sc1
	s_waitcnt vmcnt(0)
	v_cmp_ne_u64_e32 vcc, v[8:9], v[14:15]
	s_and_saveexec_b64 s[22:23], vcc
	s_cbranch_execz .LBB4_232
; %bb.230:                              ;   in Loop: Header=BB4_165 Depth=1
	s_mov_b64 s[24:25], 0
.LBB4_231:                              ;   Parent Loop BB4_165 Depth=1
                                        ; =>  This Inner Loop Header: Depth=2
	s_sleep 1
	global_store_dwordx2 v[10:11], v[8:9], off
	v_mov_b32_e32 v6, s18
	v_mov_b32_e32 v7, s19
	buffer_wbl2 sc0 sc1
	s_waitcnt vmcnt(0)
	global_atomic_cmpswap_x2 v[6:7], v27, v[6:9], s[2:3] offset:32 sc0 sc1
	s_waitcnt vmcnt(0)
	v_cmp_eq_u64_e32 vcc, v[6:7], v[8:9]
	s_or_b64 s[24:25], vcc, s[24:25]
	v_mov_b64_e32 v[8:9], v[6:7]
	s_andn2_b64 exec, exec, s[24:25]
	s_cbranch_execnz .LBB4_231
.LBB4_232:                              ;   in Loop: Header=BB4_165 Depth=1
	s_or_b64 exec, exec, s[22:23]
	global_load_dwordx2 v[6:7], v27, s[2:3] offset:16
	s_mov_b64 s[24:25], exec
	v_mbcnt_lo_u32_b32 v8, s24, 0
	v_mbcnt_hi_u32_b32 v8, s25, v8
	v_cmp_eq_u32_e32 vcc, 0, v8
	s_and_saveexec_b64 s[22:23], vcc
	s_cbranch_execz .LBB4_234
; %bb.233:                              ;   in Loop: Header=BB4_165 Depth=1
	s_bcnt1_i32_b64 s15, s[24:25]
	v_mov_b32_e32 v26, s15
	buffer_wbl2 sc0 sc1
	s_waitcnt vmcnt(0)
	global_atomic_add_x2 v[6:7], v[26:27], off offset:8 sc1
.LBB4_234:                              ;   in Loop: Header=BB4_165 Depth=1
	s_or_b64 exec, exec, s[22:23]
	s_waitcnt vmcnt(0)
	global_load_dwordx2 v[8:9], v[6:7], off offset:16
	s_waitcnt vmcnt(0)
	v_cmp_eq_u64_e32 vcc, 0, v[8:9]
	s_cbranch_vccnz .LBB4_236
; %bb.235:                              ;   in Loop: Header=BB4_165 Depth=1
	global_load_dword v26, v[6:7], off offset:24
	s_waitcnt vmcnt(0)
	v_and_b32_e32 v6, 0xffffff, v26
	s_nop 0
	v_readfirstlane_b32 m0, v6
	buffer_wbl2 sc0 sc1
	global_store_dwordx2 v[8:9], v[26:27], off sc0 sc1
	s_sendmsg sendmsg(MSG_INTERRUPT)
.LBB4_236:                              ;   in Loop: Header=BB4_165 Depth=1
	s_or_b64 exec, exec, s[20:21]
	v_mov_b32_e32 v29, v27
	v_lshl_add_u64 v[2:3], v[2:3], 0, v[28:29]
	s_branch .LBB4_240
.LBB4_237:                              ;   in Loop: Header=BB4_240 Depth=2
	s_or_b64 exec, exec, s[20:21]
	v_readfirstlane_b32 s15, v6
	s_cmp_eq_u32 s15, 0
	s_cbranch_scc1 .LBB4_239
; %bb.238:                              ;   in Loop: Header=BB4_240 Depth=2
	s_sleep 1
	s_cbranch_execnz .LBB4_240
	s_branch .LBB4_242
.LBB4_239:                              ;   in Loop: Header=BB4_165 Depth=1
	s_branch .LBB4_242
.LBB4_240:                              ;   Parent Loop BB4_165 Depth=1
                                        ; =>  This Inner Loop Header: Depth=2
	v_mov_b32_e32 v6, 1
	s_and_saveexec_b64 s[20:21], s[0:1]
	s_cbranch_execz .LBB4_237
; %bb.241:                              ;   in Loop: Header=BB4_240 Depth=2
	global_load_dword v6, v[30:31], off offset:20 sc0 sc1
	s_waitcnt vmcnt(0)
	buffer_inv sc0 sc1
	v_and_b32_e32 v6, 1, v6
	s_branch .LBB4_237
.LBB4_242:                              ;   in Loop: Header=BB4_165 Depth=1
	global_load_dwordx4 v[6:9], v[2:3], off
	s_and_saveexec_b64 s[20:21], s[0:1]
	s_cbranch_execz .LBB4_164
; %bb.243:                              ;   in Loop: Header=BB4_165 Depth=1
	global_load_dwordx2 v[2:3], v27, s[2:3] offset:40
	global_load_dwordx2 v[12:13], v27, s[2:3] offset:24 sc0 sc1
	global_load_dwordx2 v[14:15], v27, s[2:3]
	s_waitcnt vmcnt(2)
	v_lshl_add_u64 v[8:9], v[2:3], 0, 1
	v_lshl_add_u64 v[16:17], v[8:9], 0, s[18:19]
	v_cmp_eq_u64_e32 vcc, 0, v[16:17]
	s_waitcnt vmcnt(1)
	v_mov_b32_e32 v10, v12
	v_cndmask_b32_e32 v9, v17, v9, vcc
	v_cndmask_b32_e32 v8, v16, v8, vcc
	v_and_b32_e32 v3, v9, v3
	v_and_b32_e32 v2, v8, v2
	v_mul_lo_u32 v3, v3, 24
	v_mul_hi_u32 v11, v2, 24
	v_mul_lo_u32 v2, v2, 24
	v_add_u32_e32 v3, v11, v3
	s_waitcnt vmcnt(0)
	v_lshl_add_u64 v[2:3], v[14:15], 0, v[2:3]
	global_store_dwordx2 v[2:3], v[12:13], off
	v_mov_b32_e32 v11, v13
	buffer_wbl2 sc0 sc1
	s_waitcnt vmcnt(0)
	global_atomic_cmpswap_x2 v[10:11], v27, v[8:11], s[2:3] offset:24 sc0 sc1
	s_waitcnt vmcnt(0)
	v_cmp_ne_u64_e32 vcc, v[10:11], v[12:13]
	s_and_b64 exec, exec, vcc
	s_cbranch_execz .LBB4_164
; %bb.244:                              ;   in Loop: Header=BB4_165 Depth=1
	s_mov_b64 s[0:1], 0
.LBB4_245:                              ;   Parent Loop BB4_165 Depth=1
                                        ; =>  This Inner Loop Header: Depth=2
	s_sleep 1
	global_store_dwordx2 v[2:3], v[10:11], off
	buffer_wbl2 sc0 sc1
	s_waitcnt vmcnt(0)
	global_atomic_cmpswap_x2 v[12:13], v27, v[8:11], s[2:3] offset:24 sc0 sc1
	s_waitcnt vmcnt(0)
	v_cmp_eq_u64_e32 vcc, v[12:13], v[10:11]
	s_or_b64 s[0:1], vcc, s[0:1]
	v_mov_b64_e32 v[10:11], v[12:13]
	s_andn2_b64 exec, exec, s[0:1]
	s_cbranch_execnz .LBB4_245
	s_branch .LBB4_164
.LBB4_246:
	s_branch .LBB4_274
.LBB4_247:
	s_cbranch_execz .LBB4_274
; %bb.248:
	v_readfirstlane_b32 s0, v36
	s_waitcnt vmcnt(0)
	v_mov_b64_e32 v[8:9], 0
	v_cmp_eq_u32_e64 s[0:1], s0, v36
	s_and_saveexec_b64 s[6:7], s[0:1]
	s_cbranch_execz .LBB4_254
; %bb.249:
	v_mov_b32_e32 v2, 0
	global_load_dwordx2 v[6:7], v2, s[2:3] offset:24 sc0 sc1
	s_waitcnt vmcnt(0)
	buffer_inv sc0 sc1
	global_load_dwordx2 v[4:5], v2, s[2:3] offset:40
	global_load_dwordx2 v[8:9], v2, s[2:3]
	s_waitcnt vmcnt(1)
	v_and_b32_e32 v3, v4, v6
	v_and_b32_e32 v4, v5, v7
	v_mul_lo_u32 v4, v4, 24
	v_mul_hi_u32 v5, v3, 24
	v_add_u32_e32 v5, v5, v4
	v_mul_lo_u32 v4, v3, 24
	s_waitcnt vmcnt(0)
	v_lshl_add_u64 v[4:5], v[8:9], 0, v[4:5]
	global_load_dwordx2 v[4:5], v[4:5], off sc0 sc1
	s_waitcnt vmcnt(0)
	global_atomic_cmpswap_x2 v[8:9], v2, v[4:7], s[2:3] offset:24 sc0 sc1
	s_waitcnt vmcnt(0)
	buffer_inv sc0 sc1
	v_cmp_ne_u64_e32 vcc, v[8:9], v[6:7]
	s_and_saveexec_b64 s[10:11], vcc
	s_cbranch_execz .LBB4_253
; %bb.250:
	s_mov_b64 s[16:17], 0
.LBB4_251:                              ; =>This Inner Loop Header: Depth=1
	s_sleep 1
	global_load_dwordx2 v[4:5], v2, s[2:3] offset:40
	global_load_dwordx2 v[10:11], v2, s[2:3]
	v_mov_b64_e32 v[6:7], v[8:9]
	s_waitcnt vmcnt(1)
	v_and_b32_e32 v4, v4, v6
	v_and_b32_e32 v3, v5, v7
	s_waitcnt vmcnt(0)
	v_mad_u64_u32 v[4:5], s[18:19], v4, 24, v[10:11]
	v_mov_b32_e32 v8, v5
	v_mad_u64_u32 v[8:9], s[18:19], v3, 24, v[8:9]
	v_mov_b32_e32 v5, v8
	global_load_dwordx2 v[4:5], v[4:5], off sc0 sc1
	s_waitcnt vmcnt(0)
	global_atomic_cmpswap_x2 v[8:9], v2, v[4:7], s[2:3] offset:24 sc0 sc1
	s_waitcnt vmcnt(0)
	buffer_inv sc0 sc1
	v_cmp_eq_u64_e32 vcc, v[8:9], v[6:7]
	s_or_b64 s[16:17], vcc, s[16:17]
	s_andn2_b64 exec, exec, s[16:17]
	s_cbranch_execnz .LBB4_251
; %bb.252:
	s_or_b64 exec, exec, s[16:17]
.LBB4_253:
	s_or_b64 exec, exec, s[10:11]
.LBB4_254:
	s_or_b64 exec, exec, s[6:7]
	v_mov_b32_e32 v2, 0
	global_load_dwordx2 v[10:11], v2, s[2:3] offset:40
	global_load_dwordx4 v[4:7], v2, s[2:3]
	v_readfirstlane_b32 s6, v8
	v_readfirstlane_b32 s7, v9
	s_mov_b64 s[10:11], exec
	s_waitcnt vmcnt(1)
	v_readfirstlane_b32 s16, v10
	v_readfirstlane_b32 s17, v11
	s_and_b64 s[16:17], s[6:7], s[16:17]
	s_mul_i32 s15, s17, 24
	s_mul_hi_u32 s18, s16, 24
	s_add_i32 s19, s18, s15
	s_mul_i32 s18, s16, 24
	s_waitcnt vmcnt(0)
	v_lshl_add_u64 v[8:9], v[4:5], 0, s[18:19]
	s_and_saveexec_b64 s[18:19], s[0:1]
	s_cbranch_execz .LBB4_256
; %bb.255:
	v_mov_b64_e32 v[10:11], s[10:11]
	v_mov_b32_e32 v12, 2
	v_mov_b32_e32 v13, 1
	global_store_dwordx4 v[8:9], v[10:13], off offset:8
.LBB4_256:
	s_or_b64 exec, exec, s[18:19]
	s_lshl_b64 s[10:11], s[16:17], 12
	v_lshl_add_u64 v[6:7], v[6:7], 0, s[10:11]
	s_movk_i32 s10, 0xff1d
	s_mov_b32 s16, 0
	v_and_or_b32 v0, v0, s10, 34
	v_mov_b32_e32 v3, v2
	v_readfirstlane_b32 s10, v6
	v_readfirstlane_b32 s11, v7
	s_mov_b32 s17, s16
	s_mov_b32 s18, s16
	;; [unrolled: 1-line block ×3, first 2 shown]
	s_nop 1
	global_store_dwordx4 v28, v[0:3], s[10:11]
	s_nop 1
	v_mov_b64_e32 v[0:1], s[16:17]
	v_mov_b64_e32 v[2:3], s[18:19]
	global_store_dwordx4 v28, v[0:3], s[10:11] offset:16
	global_store_dwordx4 v28, v[0:3], s[10:11] offset:32
	;; [unrolled: 1-line block ×3, first 2 shown]
	s_and_saveexec_b64 s[10:11], s[0:1]
	s_cbranch_execz .LBB4_264
; %bb.257:
	v_mov_b32_e32 v6, 0
	global_load_dwordx2 v[12:13], v6, s[2:3] offset:32 sc0 sc1
	global_load_dwordx2 v[0:1], v6, s[2:3] offset:40
	v_mov_b32_e32 v10, s6
	v_mov_b32_e32 v11, s7
	s_waitcnt vmcnt(0)
	v_readfirstlane_b32 s16, v0
	v_readfirstlane_b32 s17, v1
	s_and_b64 s[16:17], s[16:17], s[6:7]
	s_mul_i32 s15, s17, 24
	s_mul_hi_u32 s17, s16, 24
	s_mul_i32 s16, s16, 24
	s_add_i32 s17, s17, s15
	v_lshl_add_u64 v[4:5], v[4:5], 0, s[16:17]
	global_store_dwordx2 v[4:5], v[12:13], off
	buffer_wbl2 sc0 sc1
	s_waitcnt vmcnt(0)
	global_atomic_cmpswap_x2 v[2:3], v6, v[10:13], s[2:3] offset:32 sc0 sc1
	s_waitcnt vmcnt(0)
	v_cmp_ne_u64_e32 vcc, v[2:3], v[12:13]
	s_and_saveexec_b64 s[16:17], vcc
	s_cbranch_execz .LBB4_260
; %bb.258:
	s_mov_b64 s[18:19], 0
.LBB4_259:                              ; =>This Inner Loop Header: Depth=1
	s_sleep 1
	global_store_dwordx2 v[4:5], v[2:3], off
	v_mov_b32_e32 v0, s6
	v_mov_b32_e32 v1, s7
	buffer_wbl2 sc0 sc1
	s_waitcnt vmcnt(0)
	global_atomic_cmpswap_x2 v[0:1], v6, v[0:3], s[2:3] offset:32 sc0 sc1
	s_waitcnt vmcnt(0)
	v_cmp_eq_u64_e32 vcc, v[0:1], v[2:3]
	s_or_b64 s[18:19], vcc, s[18:19]
	v_mov_b64_e32 v[2:3], v[0:1]
	s_andn2_b64 exec, exec, s[18:19]
	s_cbranch_execnz .LBB4_259
.LBB4_260:
	s_or_b64 exec, exec, s[16:17]
	v_mov_b32_e32 v3, 0
	global_load_dwordx2 v[0:1], v3, s[2:3] offset:16
	s_mov_b64 s[16:17], exec
	v_mbcnt_lo_u32_b32 v2, s16, 0
	v_mbcnt_hi_u32_b32 v2, s17, v2
	v_cmp_eq_u32_e32 vcc, 0, v2
	s_and_saveexec_b64 s[18:19], vcc
	s_cbranch_execz .LBB4_262
; %bb.261:
	s_bcnt1_i32_b64 s15, s[16:17]
	v_mov_b32_e32 v2, s15
	buffer_wbl2 sc0 sc1
	s_waitcnt vmcnt(0)
	global_atomic_add_x2 v[0:1], v[2:3], off offset:8 sc1
.LBB4_262:
	s_or_b64 exec, exec, s[18:19]
	s_waitcnt vmcnt(0)
	global_load_dwordx2 v[2:3], v[0:1], off offset:16
	s_waitcnt vmcnt(0)
	v_cmp_eq_u64_e32 vcc, 0, v[2:3]
	s_cbranch_vccnz .LBB4_264
; %bb.263:
	global_load_dword v0, v[0:1], off offset:24
	v_mov_b32_e32 v1, 0
	buffer_wbl2 sc0 sc1
	s_waitcnt vmcnt(0)
	global_store_dwordx2 v[2:3], v[0:1], off sc0 sc1
	v_and_b32_e32 v0, 0xffffff, v0
	s_nop 0
	v_readfirstlane_b32 m0, v0
	s_sendmsg sendmsg(MSG_INTERRUPT)
.LBB4_264:
	s_or_b64 exec, exec, s[10:11]
	s_branch .LBB4_268
.LBB4_265:                              ;   in Loop: Header=BB4_268 Depth=1
	s_or_b64 exec, exec, s[10:11]
	v_readfirstlane_b32 s10, v0
	s_cmp_eq_u32 s10, 0
	s_cbranch_scc1 .LBB4_267
; %bb.266:                              ;   in Loop: Header=BB4_268 Depth=1
	s_sleep 1
	s_cbranch_execnz .LBB4_268
	s_branch .LBB4_270
.LBB4_267:
	s_branch .LBB4_270
.LBB4_268:                              ; =>This Inner Loop Header: Depth=1
	v_mov_b32_e32 v0, 1
	s_and_saveexec_b64 s[10:11], s[0:1]
	s_cbranch_execz .LBB4_265
; %bb.269:                              ;   in Loop: Header=BB4_268 Depth=1
	global_load_dword v0, v[8:9], off offset:20 sc0 sc1
	s_waitcnt vmcnt(0)
	buffer_inv sc0 sc1
	v_and_b32_e32 v0, 1, v0
	s_branch .LBB4_265
.LBB4_270:
	s_and_saveexec_b64 s[10:11], s[0:1]
	s_cbranch_execz .LBB4_273
; %bb.271:
	v_mov_b32_e32 v6, 0
	global_load_dwordx2 v[4:5], v6, s[2:3] offset:40
	global_load_dwordx2 v[8:9], v6, s[2:3] offset:24 sc0 sc1
	global_load_dwordx2 v[10:11], v6, s[2:3]
	s_mov_b64 s[0:1], 0
	s_waitcnt vmcnt(2)
	v_lshl_add_u64 v[0:1], v[4:5], 0, 1
	v_lshl_add_u64 v[12:13], v[0:1], 0, s[6:7]
	v_cmp_eq_u64_e32 vcc, 0, v[12:13]
	s_waitcnt vmcnt(1)
	v_mov_b32_e32 v2, v8
	v_cndmask_b32_e32 v1, v13, v1, vcc
	v_cndmask_b32_e32 v0, v12, v0, vcc
	v_and_b32_e32 v3, v1, v5
	v_and_b32_e32 v4, v0, v4
	v_mul_lo_u32 v3, v3, 24
	v_mul_hi_u32 v5, v4, 24
	v_mul_lo_u32 v4, v4, 24
	v_add_u32_e32 v5, v5, v3
	s_waitcnt vmcnt(0)
	v_lshl_add_u64 v[4:5], v[10:11], 0, v[4:5]
	global_store_dwordx2 v[4:5], v[8:9], off
	v_mov_b32_e32 v3, v9
	buffer_wbl2 sc0 sc1
	s_waitcnt vmcnt(0)
	global_atomic_cmpswap_x2 v[2:3], v6, v[0:3], s[2:3] offset:24 sc0 sc1
	s_waitcnt vmcnt(0)
	v_cmp_ne_u64_e32 vcc, v[2:3], v[8:9]
	s_and_b64 exec, exec, vcc
	s_cbranch_execz .LBB4_273
.LBB4_272:                              ; =>This Inner Loop Header: Depth=1
	s_sleep 1
	global_store_dwordx2 v[4:5], v[2:3], off
	buffer_wbl2 sc0 sc1
	s_waitcnt vmcnt(0)
	global_atomic_cmpswap_x2 v[8:9], v6, v[0:3], s[2:3] offset:24 sc0 sc1
	s_waitcnt vmcnt(0)
	v_cmp_eq_u64_e32 vcc, v[8:9], v[2:3]
	s_or_b64 s[0:1], vcc, s[0:1]
	v_mov_b64_e32 v[2:3], v[8:9]
	s_andn2_b64 exec, exec, s[0:1]
	s_cbranch_execnz .LBB4_272
.LBB4_273:
	s_or_b64 exec, exec, s[10:11]
.LBB4_274:
	v_readfirstlane_b32 s0, v36
	s_waitcnt vmcnt(0)
	v_mov_b64_e32 v[4:5], 0
	v_cmp_eq_u32_e64 s[0:1], s0, v36
	s_and_saveexec_b64 s[6:7], s[0:1]
	s_cbranch_execz .LBB4_280
; %bb.275:
	v_mov_b32_e32 v0, 0
	global_load_dwordx2 v[6:7], v0, s[2:3] offset:24 sc0 sc1
	s_waitcnt vmcnt(0)
	buffer_inv sc0 sc1
	global_load_dwordx2 v[2:3], v0, s[2:3] offset:40
	global_load_dwordx2 v[4:5], v0, s[2:3]
	s_waitcnt vmcnt(1)
	v_and_b32_e32 v1, v2, v6
	v_and_b32_e32 v2, v3, v7
	v_mul_lo_u32 v2, v2, 24
	v_mul_hi_u32 v3, v1, 24
	v_add_u32_e32 v3, v3, v2
	v_mul_lo_u32 v2, v1, 24
	s_waitcnt vmcnt(0)
	v_lshl_add_u64 v[2:3], v[4:5], 0, v[2:3]
	global_load_dwordx2 v[4:5], v[2:3], off sc0 sc1
	s_waitcnt vmcnt(0)
	global_atomic_cmpswap_x2 v[4:5], v0, v[4:7], s[2:3] offset:24 sc0 sc1
	s_waitcnt vmcnt(0)
	buffer_inv sc0 sc1
	v_cmp_ne_u64_e32 vcc, v[4:5], v[6:7]
	s_and_saveexec_b64 s[10:11], vcc
	s_cbranch_execz .LBB4_279
; %bb.276:
	s_mov_b64 s[16:17], 0
.LBB4_277:                              ; =>This Inner Loop Header: Depth=1
	s_sleep 1
	global_load_dwordx2 v[2:3], v0, s[2:3] offset:40
	global_load_dwordx2 v[8:9], v0, s[2:3]
	v_mov_b64_e32 v[6:7], v[4:5]
	s_waitcnt vmcnt(1)
	v_and_b32_e32 v2, v2, v6
	v_and_b32_e32 v1, v3, v7
	s_waitcnt vmcnt(0)
	v_mad_u64_u32 v[2:3], s[18:19], v2, 24, v[8:9]
	v_mov_b32_e32 v4, v3
	v_mad_u64_u32 v[4:5], s[18:19], v1, 24, v[4:5]
	v_mov_b32_e32 v3, v4
	global_load_dwordx2 v[4:5], v[2:3], off sc0 sc1
	s_waitcnt vmcnt(0)
	global_atomic_cmpswap_x2 v[4:5], v0, v[4:7], s[2:3] offset:24 sc0 sc1
	s_waitcnt vmcnt(0)
	buffer_inv sc0 sc1
	v_cmp_eq_u64_e32 vcc, v[4:5], v[6:7]
	s_or_b64 s[16:17], vcc, s[16:17]
	s_andn2_b64 exec, exec, s[16:17]
	s_cbranch_execnz .LBB4_277
; %bb.278:
	s_or_b64 exec, exec, s[16:17]
.LBB4_279:
	s_or_b64 exec, exec, s[10:11]
.LBB4_280:
	s_or_b64 exec, exec, s[6:7]
	v_mov_b32_e32 v29, 0
	global_load_dwordx2 v[6:7], v29, s[2:3] offset:40
	global_load_dwordx4 v[0:3], v29, s[2:3]
	v_readfirstlane_b32 s6, v4
	v_readfirstlane_b32 s7, v5
	s_mov_b64 s[10:11], exec
	s_waitcnt vmcnt(1)
	v_readfirstlane_b32 s16, v6
	v_readfirstlane_b32 s17, v7
	s_and_b64 s[16:17], s[6:7], s[16:17]
	s_mul_i32 s15, s17, 24
	s_mul_hi_u32 s18, s16, 24
	s_add_i32 s19, s18, s15
	s_mul_i32 s18, s16, 24
	s_waitcnt vmcnt(0)
	v_lshl_add_u64 v[4:5], v[0:1], 0, s[18:19]
	s_and_saveexec_b64 s[18:19], s[0:1]
	s_cbranch_execz .LBB4_282
; %bb.281:
	v_mov_b64_e32 v[6:7], s[10:11]
	v_mov_b32_e32 v8, 2
	v_mov_b32_e32 v9, 1
	global_store_dwordx4 v[4:5], v[6:9], off offset:8
.LBB4_282:
	s_or_b64 exec, exec, s[18:19]
	s_lshl_b64 s[10:11], s[16:17], 12
	v_lshl_add_u64 v[6:7], v[2:3], 0, s[10:11]
	s_mov_b32 s16, 0
	v_mov_b32_e32 v8, 33
	v_mov_b32_e32 v9, v29
	;; [unrolled: 1-line block ×4, first 2 shown]
	v_readfirstlane_b32 s10, v6
	v_readfirstlane_b32 s11, v7
	s_mov_b32 s17, s16
	s_mov_b32 s18, s16
	;; [unrolled: 1-line block ×3, first 2 shown]
	s_nop 1
	global_store_dwordx4 v28, v[8:11], s[10:11]
	s_nop 1
	v_mov_b64_e32 v[8:9], s[16:17]
	v_mov_b64_e32 v[10:11], s[18:19]
	global_store_dwordx4 v28, v[8:11], s[10:11] offset:16
	global_store_dwordx4 v28, v[8:11], s[10:11] offset:32
	;; [unrolled: 1-line block ×3, first 2 shown]
	s_and_saveexec_b64 s[10:11], s[0:1]
	s_cbranch_execz .LBB4_290
; %bb.283:
	v_mov_b32_e32 v10, 0
	global_load_dwordx2 v[14:15], v10, s[2:3] offset:32 sc0 sc1
	global_load_dwordx2 v[2:3], v10, s[2:3] offset:40
	v_mov_b32_e32 v12, s6
	v_mov_b32_e32 v13, s7
	s_waitcnt vmcnt(0)
	v_readfirstlane_b32 s16, v2
	v_readfirstlane_b32 s17, v3
	s_and_b64 s[16:17], s[16:17], s[6:7]
	s_mul_i32 s15, s17, 24
	s_mul_hi_u32 s17, s16, 24
	s_mul_i32 s16, s16, 24
	s_add_i32 s17, s17, s15
	v_lshl_add_u64 v[8:9], v[0:1], 0, s[16:17]
	global_store_dwordx2 v[8:9], v[14:15], off
	buffer_wbl2 sc0 sc1
	s_waitcnt vmcnt(0)
	global_atomic_cmpswap_x2 v[2:3], v10, v[12:15], s[2:3] offset:32 sc0 sc1
	s_waitcnt vmcnt(0)
	v_cmp_ne_u64_e32 vcc, v[2:3], v[14:15]
	s_and_saveexec_b64 s[16:17], vcc
	s_cbranch_execz .LBB4_286
; %bb.284:
	s_mov_b64 s[18:19], 0
.LBB4_285:                              ; =>This Inner Loop Header: Depth=1
	s_sleep 1
	global_store_dwordx2 v[8:9], v[2:3], off
	v_mov_b32_e32 v0, s6
	v_mov_b32_e32 v1, s7
	buffer_wbl2 sc0 sc1
	s_waitcnt vmcnt(0)
	global_atomic_cmpswap_x2 v[0:1], v10, v[0:3], s[2:3] offset:32 sc0 sc1
	s_waitcnt vmcnt(0)
	v_cmp_eq_u64_e32 vcc, v[0:1], v[2:3]
	s_or_b64 s[18:19], vcc, s[18:19]
	v_mov_b64_e32 v[2:3], v[0:1]
	s_andn2_b64 exec, exec, s[18:19]
	s_cbranch_execnz .LBB4_285
.LBB4_286:
	s_or_b64 exec, exec, s[16:17]
	v_mov_b32_e32 v3, 0
	global_load_dwordx2 v[0:1], v3, s[2:3] offset:16
	s_mov_b64 s[16:17], exec
	v_mbcnt_lo_u32_b32 v2, s16, 0
	v_mbcnt_hi_u32_b32 v2, s17, v2
	v_cmp_eq_u32_e32 vcc, 0, v2
	s_and_saveexec_b64 s[18:19], vcc
	s_cbranch_execz .LBB4_288
; %bb.287:
	s_bcnt1_i32_b64 s15, s[16:17]
	v_mov_b32_e32 v2, s15
	buffer_wbl2 sc0 sc1
	s_waitcnt vmcnt(0)
	global_atomic_add_x2 v[0:1], v[2:3], off offset:8 sc1
.LBB4_288:
	s_or_b64 exec, exec, s[18:19]
	s_waitcnt vmcnt(0)
	global_load_dwordx2 v[2:3], v[0:1], off offset:16
	s_waitcnt vmcnt(0)
	v_cmp_eq_u64_e32 vcc, 0, v[2:3]
	s_cbranch_vccnz .LBB4_290
; %bb.289:
	global_load_dword v0, v[0:1], off offset:24
	v_mov_b32_e32 v1, 0
	buffer_wbl2 sc0 sc1
	s_waitcnt vmcnt(0)
	global_store_dwordx2 v[2:3], v[0:1], off sc0 sc1
	v_and_b32_e32 v0, 0xffffff, v0
	s_nop 0
	v_readfirstlane_b32 m0, v0
	s_sendmsg sendmsg(MSG_INTERRUPT)
.LBB4_290:
	s_or_b64 exec, exec, s[10:11]
	v_lshl_add_u64 v[0:1], v[6:7], 0, v[28:29]
	s_branch .LBB4_294
.LBB4_291:                              ;   in Loop: Header=BB4_294 Depth=1
	s_or_b64 exec, exec, s[10:11]
	v_readfirstlane_b32 s10, v2
	s_cmp_eq_u32 s10, 0
	s_cbranch_scc1 .LBB4_293
; %bb.292:                              ;   in Loop: Header=BB4_294 Depth=1
	s_sleep 1
	s_cbranch_execnz .LBB4_294
	s_branch .LBB4_296
.LBB4_293:
	s_branch .LBB4_296
.LBB4_294:                              ; =>This Inner Loop Header: Depth=1
	v_mov_b32_e32 v2, 1
	s_and_saveexec_b64 s[10:11], s[0:1]
	s_cbranch_execz .LBB4_291
; %bb.295:                              ;   in Loop: Header=BB4_294 Depth=1
	global_load_dword v2, v[4:5], off offset:20 sc0 sc1
	s_waitcnt vmcnt(0)
	buffer_inv sc0 sc1
	v_and_b32_e32 v2, 1, v2
	s_branch .LBB4_291
.LBB4_296:
	global_load_dwordx2 v[0:1], v[0:1], off
	s_and_saveexec_b64 s[10:11], s[0:1]
	s_cbranch_execz .LBB4_299
; %bb.297:
	v_mov_b32_e32 v8, 0
	global_load_dwordx2 v[6:7], v8, s[2:3] offset:40
	global_load_dwordx2 v[10:11], v8, s[2:3] offset:24 sc0 sc1
	global_load_dwordx2 v[12:13], v8, s[2:3]
	s_mov_b64 s[0:1], 0
	s_waitcnt vmcnt(2)
	v_lshl_add_u64 v[2:3], v[6:7], 0, 1
	v_lshl_add_u64 v[14:15], v[2:3], 0, s[6:7]
	v_cmp_eq_u64_e32 vcc, 0, v[14:15]
	s_waitcnt vmcnt(1)
	v_mov_b32_e32 v4, v10
	v_cndmask_b32_e32 v3, v15, v3, vcc
	v_cndmask_b32_e32 v2, v14, v2, vcc
	v_and_b32_e32 v5, v3, v7
	v_and_b32_e32 v6, v2, v6
	v_mul_lo_u32 v5, v5, 24
	v_mul_hi_u32 v7, v6, 24
	v_mul_lo_u32 v6, v6, 24
	v_add_u32_e32 v7, v7, v5
	s_waitcnt vmcnt(0)
	v_lshl_add_u64 v[6:7], v[12:13], 0, v[6:7]
	global_store_dwordx2 v[6:7], v[10:11], off
	v_mov_b32_e32 v5, v11
	buffer_wbl2 sc0 sc1
	s_waitcnt vmcnt(0)
	global_atomic_cmpswap_x2 v[4:5], v8, v[2:5], s[2:3] offset:24 sc0 sc1
	s_waitcnt vmcnt(0)
	v_cmp_ne_u64_e32 vcc, v[4:5], v[10:11]
	s_and_b64 exec, exec, vcc
	s_cbranch_execz .LBB4_299
.LBB4_298:                              ; =>This Inner Loop Header: Depth=1
	s_sleep 1
	global_store_dwordx2 v[6:7], v[4:5], off
	buffer_wbl2 sc0 sc1
	s_waitcnt vmcnt(0)
	global_atomic_cmpswap_x2 v[10:11], v8, v[2:5], s[2:3] offset:24 sc0 sc1
	s_waitcnt vmcnt(0)
	v_cmp_eq_u64_e32 vcc, v[10:11], v[4:5]
	s_or_b64 s[0:1], vcc, s[0:1]
	v_mov_b64_e32 v[4:5], v[10:11]
	s_andn2_b64 exec, exec, s[0:1]
	s_cbranch_execnz .LBB4_298
.LBB4_299:
	s_or_b64 exec, exec, s[10:11]
	s_getpc_b64 s[10:11]
	s_add_u32 s10, s10, .str.6@rel32@lo+4
	s_addc_u32 s11, s11, .str.6@rel32@hi+12
	s_cmp_lg_u64 s[10:11], 0
	s_cselect_b64 s[6:7], -1, 0
	s_and_b64 vcc, exec, s[6:7]
	s_cbranch_vccz .LBB4_384
; %bb.300:
	s_waitcnt vmcnt(0)
	v_and_b32_e32 v30, 2, v0
	v_mov_b32_e32 v33, 0
	v_and_b32_e32 v2, -3, v0
	v_mov_b32_e32 v3, v1
	s_mov_b64 s[16:17], 3
	v_mov_b32_e32 v6, 2
	v_mov_b32_e32 v7, 1
	s_branch .LBB4_302
.LBB4_301:                              ;   in Loop: Header=BB4_302 Depth=1
	s_or_b64 exec, exec, s[22:23]
	s_sub_u32 s16, s16, s18
	s_subb_u32 s17, s17, s19
	s_add_u32 s10, s10, s18
	s_addc_u32 s11, s11, s19
	s_cmp_lg_u64 s[16:17], 0
	s_cbranch_scc0 .LBB4_383
.LBB4_302:                              ; =>This Loop Header: Depth=1
                                        ;     Child Loop BB4_305 Depth 2
                                        ;     Child Loop BB4_312 Depth 2
                                        ;     Child Loop BB4_320 Depth 2
                                        ;     Child Loop BB4_328 Depth 2
                                        ;     Child Loop BB4_336 Depth 2
                                        ;     Child Loop BB4_344 Depth 2
                                        ;     Child Loop BB4_352 Depth 2
                                        ;     Child Loop BB4_360 Depth 2
                                        ;     Child Loop BB4_368 Depth 2
                                        ;     Child Loop BB4_377 Depth 2
                                        ;     Child Loop BB4_382 Depth 2
	v_cmp_lt_u64_e64 s[0:1], s[16:17], 56
	s_and_b64 s[0:1], s[0:1], exec
	v_cmp_gt_u64_e64 s[0:1], s[16:17], 7
	s_cselect_b32 s19, s17, 0
	s_cselect_b32 s18, s16, 56
	s_and_b64 vcc, exec, s[0:1]
	s_cbranch_vccnz .LBB4_307
; %bb.303:                              ;   in Loop: Header=BB4_302 Depth=1
	s_mov_b64 s[0:1], 0
	s_cmp_eq_u64 s[16:17], 0
	v_mov_b64_e32 v[10:11], 0
	s_cbranch_scc1 .LBB4_306
; %bb.304:                              ;   in Loop: Header=BB4_302 Depth=1
	s_lshl_b64 s[20:21], s[18:19], 3
	s_mov_b64 s[22:23], 0
	v_mov_b64_e32 v[10:11], 0
	s_mov_b64 s[24:25], s[10:11]
.LBB4_305:                              ;   Parent Loop BB4_302 Depth=1
                                        ; =>  This Inner Loop Header: Depth=2
	global_load_ubyte v4, v33, s[24:25]
	s_waitcnt vmcnt(0)
	v_and_b32_e32 v32, 0xffff, v4
	v_lshlrev_b64 v[4:5], s22, v[32:33]
	s_add_u32 s22, s22, 8
	s_addc_u32 s23, s23, 0
	s_add_u32 s24, s24, 1
	s_addc_u32 s25, s25, 0
	v_or_b32_e32 v10, v4, v10
	s_cmp_lg_u32 s20, s22
	v_or_b32_e32 v11, v5, v11
	s_cbranch_scc1 .LBB4_305
.LBB4_306:                              ;   in Loop: Header=BB4_302 Depth=1
	s_mov_b32 s15, 0
	s_andn2_b64 vcc, exec, s[0:1]
	s_mov_b64 s[0:1], s[10:11]
	s_cbranch_vccz .LBB4_308
	s_branch .LBB4_309
.LBB4_307:                              ;   in Loop: Header=BB4_302 Depth=1
                                        ; implicit-def: $vgpr10_vgpr11
                                        ; implicit-def: $sgpr15
	s_mov_b64 s[0:1], s[10:11]
.LBB4_308:                              ;   in Loop: Header=BB4_302 Depth=1
	global_load_dwordx2 v[10:11], v33, s[10:11]
	s_add_i32 s15, s18, -8
	s_add_u32 s0, s10, 8
	s_addc_u32 s1, s11, 0
.LBB4_309:                              ;   in Loop: Header=BB4_302 Depth=1
	s_cmp_gt_u32 s15, 7
	s_cbranch_scc1 .LBB4_313
; %bb.310:                              ;   in Loop: Header=BB4_302 Depth=1
	s_cmp_eq_u32 s15, 0
	s_cbranch_scc1 .LBB4_314
; %bb.311:                              ;   in Loop: Header=BB4_302 Depth=1
	s_mov_b64 s[20:21], 0
	v_mov_b64_e32 v[12:13], 0
	s_mov_b64 s[22:23], 0
.LBB4_312:                              ;   Parent Loop BB4_302 Depth=1
                                        ; =>  This Inner Loop Header: Depth=2
	s_add_u32 s24, s0, s22
	s_addc_u32 s25, s1, s23
	global_load_ubyte v4, v33, s[24:25]
	s_add_u32 s22, s22, 1
	s_addc_u32 s23, s23, 0
	s_waitcnt vmcnt(0)
	v_and_b32_e32 v32, 0xffff, v4
	v_lshlrev_b64 v[4:5], s20, v[32:33]
	s_add_u32 s20, s20, 8
	s_addc_u32 s21, s21, 0
	v_or_b32_e32 v12, v4, v12
	s_cmp_lg_u32 s15, s22
	v_or_b32_e32 v13, v5, v13
	s_cbranch_scc1 .LBB4_312
	s_branch .LBB4_315
.LBB4_313:                              ;   in Loop: Header=BB4_302 Depth=1
                                        ; implicit-def: $vgpr12_vgpr13
                                        ; implicit-def: $sgpr24
	s_branch .LBB4_316
.LBB4_314:                              ;   in Loop: Header=BB4_302 Depth=1
	v_mov_b64_e32 v[12:13], 0
.LBB4_315:                              ;   in Loop: Header=BB4_302 Depth=1
	s_mov_b32 s24, 0
	s_cbranch_execnz .LBB4_317
.LBB4_316:                              ;   in Loop: Header=BB4_302 Depth=1
	global_load_dwordx2 v[12:13], v33, s[0:1]
	s_add_i32 s24, s15, -8
	s_add_u32 s0, s0, 8
	s_addc_u32 s1, s1, 0
.LBB4_317:                              ;   in Loop: Header=BB4_302 Depth=1
	s_cmp_gt_u32 s24, 7
	s_cbranch_scc1 .LBB4_321
; %bb.318:                              ;   in Loop: Header=BB4_302 Depth=1
	s_cmp_eq_u32 s24, 0
	s_cbranch_scc1 .LBB4_322
; %bb.319:                              ;   in Loop: Header=BB4_302 Depth=1
	s_mov_b64 s[20:21], 0
	v_mov_b64_e32 v[14:15], 0
	s_mov_b64 s[22:23], 0
.LBB4_320:                              ;   Parent Loop BB4_302 Depth=1
                                        ; =>  This Inner Loop Header: Depth=2
	s_add_u32 s26, s0, s22
	s_addc_u32 s27, s1, s23
	global_load_ubyte v4, v33, s[26:27]
	s_add_u32 s22, s22, 1
	s_addc_u32 s23, s23, 0
	s_waitcnt vmcnt(0)
	v_and_b32_e32 v32, 0xffff, v4
	v_lshlrev_b64 v[4:5], s20, v[32:33]
	s_add_u32 s20, s20, 8
	s_addc_u32 s21, s21, 0
	v_or_b32_e32 v14, v4, v14
	s_cmp_lg_u32 s24, s22
	v_or_b32_e32 v15, v5, v15
	s_cbranch_scc1 .LBB4_320
	s_branch .LBB4_323
.LBB4_321:                              ;   in Loop: Header=BB4_302 Depth=1
                                        ; implicit-def: $sgpr15
	s_branch .LBB4_324
.LBB4_322:                              ;   in Loop: Header=BB4_302 Depth=1
	v_mov_b64_e32 v[14:15], 0
.LBB4_323:                              ;   in Loop: Header=BB4_302 Depth=1
	s_mov_b32 s15, 0
	s_cbranch_execnz .LBB4_325
.LBB4_324:                              ;   in Loop: Header=BB4_302 Depth=1
	global_load_dwordx2 v[14:15], v33, s[0:1]
	s_add_i32 s15, s24, -8
	s_add_u32 s0, s0, 8
	s_addc_u32 s1, s1, 0
.LBB4_325:                              ;   in Loop: Header=BB4_302 Depth=1
	s_cmp_gt_u32 s15, 7
	s_cbranch_scc1 .LBB4_329
; %bb.326:                              ;   in Loop: Header=BB4_302 Depth=1
	s_cmp_eq_u32 s15, 0
	s_cbranch_scc1 .LBB4_330
; %bb.327:                              ;   in Loop: Header=BB4_302 Depth=1
	s_mov_b64 s[20:21], 0
	v_mov_b64_e32 v[16:17], 0
	s_mov_b64 s[22:23], 0
.LBB4_328:                              ;   Parent Loop BB4_302 Depth=1
                                        ; =>  This Inner Loop Header: Depth=2
	s_add_u32 s24, s0, s22
	s_addc_u32 s25, s1, s23
	global_load_ubyte v4, v33, s[24:25]
	s_add_u32 s22, s22, 1
	s_addc_u32 s23, s23, 0
	s_waitcnt vmcnt(0)
	v_and_b32_e32 v32, 0xffff, v4
	v_lshlrev_b64 v[4:5], s20, v[32:33]
	s_add_u32 s20, s20, 8
	s_addc_u32 s21, s21, 0
	v_or_b32_e32 v16, v4, v16
	s_cmp_lg_u32 s15, s22
	v_or_b32_e32 v17, v5, v17
	s_cbranch_scc1 .LBB4_328
	s_branch .LBB4_331
.LBB4_329:                              ;   in Loop: Header=BB4_302 Depth=1
                                        ; implicit-def: $vgpr16_vgpr17
                                        ; implicit-def: $sgpr24
	s_branch .LBB4_332
.LBB4_330:                              ;   in Loop: Header=BB4_302 Depth=1
	v_mov_b64_e32 v[16:17], 0
.LBB4_331:                              ;   in Loop: Header=BB4_302 Depth=1
	s_mov_b32 s24, 0
	s_cbranch_execnz .LBB4_333
.LBB4_332:                              ;   in Loop: Header=BB4_302 Depth=1
	global_load_dwordx2 v[16:17], v33, s[0:1]
	s_add_i32 s24, s15, -8
	s_add_u32 s0, s0, 8
	s_addc_u32 s1, s1, 0
.LBB4_333:                              ;   in Loop: Header=BB4_302 Depth=1
	s_cmp_gt_u32 s24, 7
	s_cbranch_scc1 .LBB4_337
; %bb.334:                              ;   in Loop: Header=BB4_302 Depth=1
	s_cmp_eq_u32 s24, 0
	s_cbranch_scc1 .LBB4_338
; %bb.335:                              ;   in Loop: Header=BB4_302 Depth=1
	s_mov_b64 s[20:21], 0
	v_mov_b64_e32 v[18:19], 0
	s_mov_b64 s[22:23], 0
.LBB4_336:                              ;   Parent Loop BB4_302 Depth=1
                                        ; =>  This Inner Loop Header: Depth=2
	s_add_u32 s26, s0, s22
	s_addc_u32 s27, s1, s23
	global_load_ubyte v4, v33, s[26:27]
	s_add_u32 s22, s22, 1
	s_addc_u32 s23, s23, 0
	s_waitcnt vmcnt(0)
	v_and_b32_e32 v32, 0xffff, v4
	v_lshlrev_b64 v[4:5], s20, v[32:33]
	s_add_u32 s20, s20, 8
	s_addc_u32 s21, s21, 0
	v_or_b32_e32 v18, v4, v18
	s_cmp_lg_u32 s24, s22
	v_or_b32_e32 v19, v5, v19
	s_cbranch_scc1 .LBB4_336
	s_branch .LBB4_339
.LBB4_337:                              ;   in Loop: Header=BB4_302 Depth=1
                                        ; implicit-def: $sgpr15
	s_branch .LBB4_340
.LBB4_338:                              ;   in Loop: Header=BB4_302 Depth=1
	v_mov_b64_e32 v[18:19], 0
.LBB4_339:                              ;   in Loop: Header=BB4_302 Depth=1
	s_mov_b32 s15, 0
	s_cbranch_execnz .LBB4_341
.LBB4_340:                              ;   in Loop: Header=BB4_302 Depth=1
	global_load_dwordx2 v[18:19], v33, s[0:1]
	s_add_i32 s15, s24, -8
	s_add_u32 s0, s0, 8
	s_addc_u32 s1, s1, 0
.LBB4_341:                              ;   in Loop: Header=BB4_302 Depth=1
	s_cmp_gt_u32 s15, 7
	s_cbranch_scc1 .LBB4_345
; %bb.342:                              ;   in Loop: Header=BB4_302 Depth=1
	s_cmp_eq_u32 s15, 0
	s_cbranch_scc1 .LBB4_346
; %bb.343:                              ;   in Loop: Header=BB4_302 Depth=1
	s_mov_b64 s[20:21], 0
	v_mov_b64_e32 v[20:21], 0
	s_mov_b64 s[22:23], 0
.LBB4_344:                              ;   Parent Loop BB4_302 Depth=1
                                        ; =>  This Inner Loop Header: Depth=2
	s_add_u32 s24, s0, s22
	s_addc_u32 s25, s1, s23
	global_load_ubyte v4, v33, s[24:25]
	s_add_u32 s22, s22, 1
	s_addc_u32 s23, s23, 0
	s_waitcnt vmcnt(0)
	v_and_b32_e32 v32, 0xffff, v4
	v_lshlrev_b64 v[4:5], s20, v[32:33]
	s_add_u32 s20, s20, 8
	s_addc_u32 s21, s21, 0
	v_or_b32_e32 v20, v4, v20
	s_cmp_lg_u32 s15, s22
	v_or_b32_e32 v21, v5, v21
	s_cbranch_scc1 .LBB4_344
	s_branch .LBB4_347
.LBB4_345:                              ;   in Loop: Header=BB4_302 Depth=1
                                        ; implicit-def: $vgpr20_vgpr21
                                        ; implicit-def: $sgpr24
	s_branch .LBB4_348
.LBB4_346:                              ;   in Loop: Header=BB4_302 Depth=1
	v_mov_b64_e32 v[20:21], 0
.LBB4_347:                              ;   in Loop: Header=BB4_302 Depth=1
	s_mov_b32 s24, 0
	s_cbranch_execnz .LBB4_349
.LBB4_348:                              ;   in Loop: Header=BB4_302 Depth=1
	global_load_dwordx2 v[20:21], v33, s[0:1]
	s_add_i32 s24, s15, -8
	s_add_u32 s0, s0, 8
	s_addc_u32 s1, s1, 0
.LBB4_349:                              ;   in Loop: Header=BB4_302 Depth=1
	s_cmp_gt_u32 s24, 7
	s_cbranch_scc1 .LBB4_353
; %bb.350:                              ;   in Loop: Header=BB4_302 Depth=1
	s_cmp_eq_u32 s24, 0
	s_cbranch_scc1 .LBB4_354
; %bb.351:                              ;   in Loop: Header=BB4_302 Depth=1
	s_mov_b64 s[20:21], 0
	v_mov_b64_e32 v[22:23], 0
	s_mov_b64 s[22:23], s[0:1]
.LBB4_352:                              ;   Parent Loop BB4_302 Depth=1
                                        ; =>  This Inner Loop Header: Depth=2
	global_load_ubyte v4, v33, s[22:23]
	s_add_i32 s24, s24, -1
	s_waitcnt vmcnt(0)
	v_and_b32_e32 v32, 0xffff, v4
	v_lshlrev_b64 v[4:5], s20, v[32:33]
	s_add_u32 s20, s20, 8
	s_addc_u32 s21, s21, 0
	s_add_u32 s22, s22, 1
	s_addc_u32 s23, s23, 0
	v_or_b32_e32 v22, v4, v22
	s_cmp_lg_u32 s24, 0
	v_or_b32_e32 v23, v5, v23
	s_cbranch_scc1 .LBB4_352
	s_branch .LBB4_355
.LBB4_353:                              ;   in Loop: Header=BB4_302 Depth=1
	s_branch .LBB4_356
.LBB4_354:                              ;   in Loop: Header=BB4_302 Depth=1
	v_mov_b64_e32 v[22:23], 0
.LBB4_355:                              ;   in Loop: Header=BB4_302 Depth=1
	s_cbranch_execnz .LBB4_357
.LBB4_356:                              ;   in Loop: Header=BB4_302 Depth=1
	global_load_dwordx2 v[22:23], v33, s[0:1]
.LBB4_357:                              ;   in Loop: Header=BB4_302 Depth=1
	v_readfirstlane_b32 s0, v36
	s_waitcnt vmcnt(0)
	v_mov_b64_e32 v[4:5], 0
	v_cmp_eq_u32_e64 s[0:1], s0, v36
	s_and_saveexec_b64 s[20:21], s[0:1]
	s_cbranch_execz .LBB4_363
; %bb.358:                              ;   in Loop: Header=BB4_302 Depth=1
	global_load_dwordx2 v[26:27], v33, s[2:3] offset:24 sc0 sc1
	s_waitcnt vmcnt(0)
	buffer_inv sc0 sc1
	global_load_dwordx2 v[4:5], v33, s[2:3] offset:40
	global_load_dwordx2 v[8:9], v33, s[2:3]
	s_waitcnt vmcnt(1)
	v_and_b32_e32 v4, v4, v26
	v_and_b32_e32 v5, v5, v27
	v_mul_lo_u32 v5, v5, 24
	v_mul_hi_u32 v24, v4, 24
	v_add_u32_e32 v5, v24, v5
	v_mul_lo_u32 v4, v4, 24
	s_waitcnt vmcnt(0)
	v_lshl_add_u64 v[4:5], v[8:9], 0, v[4:5]
	global_load_dwordx2 v[24:25], v[4:5], off sc0 sc1
	s_waitcnt vmcnt(0)
	global_atomic_cmpswap_x2 v[4:5], v33, v[24:27], s[2:3] offset:24 sc0 sc1
	s_waitcnt vmcnt(0)
	buffer_inv sc0 sc1
	v_cmp_ne_u64_e32 vcc, v[4:5], v[26:27]
	s_and_saveexec_b64 s[22:23], vcc
	s_cbranch_execz .LBB4_362
; %bb.359:                              ;   in Loop: Header=BB4_302 Depth=1
	s_mov_b64 s[24:25], 0
.LBB4_360:                              ;   Parent Loop BB4_302 Depth=1
                                        ; =>  This Inner Loop Header: Depth=2
	s_sleep 1
	global_load_dwordx2 v[8:9], v33, s[2:3] offset:40
	global_load_dwordx2 v[24:25], v33, s[2:3]
	v_mov_b64_e32 v[26:27], v[4:5]
	s_waitcnt vmcnt(1)
	v_and_b32_e32 v4, v8, v26
	s_waitcnt vmcnt(0)
	v_mad_u64_u32 v[4:5], s[26:27], v4, 24, v[24:25]
	v_and_b32_e32 v9, v9, v27
	v_mov_b32_e32 v8, v5
	v_mad_u64_u32 v[8:9], s[26:27], v9, 24, v[8:9]
	v_mov_b32_e32 v5, v8
	global_load_dwordx2 v[24:25], v[4:5], off sc0 sc1
	s_waitcnt vmcnt(0)
	global_atomic_cmpswap_x2 v[4:5], v33, v[24:27], s[2:3] offset:24 sc0 sc1
	s_waitcnt vmcnt(0)
	buffer_inv sc0 sc1
	v_cmp_eq_u64_e32 vcc, v[4:5], v[26:27]
	s_or_b64 s[24:25], vcc, s[24:25]
	s_andn2_b64 exec, exec, s[24:25]
	s_cbranch_execnz .LBB4_360
; %bb.361:                              ;   in Loop: Header=BB4_302 Depth=1
	s_or_b64 exec, exec, s[24:25]
.LBB4_362:                              ;   in Loop: Header=BB4_302 Depth=1
	s_or_b64 exec, exec, s[22:23]
.LBB4_363:                              ;   in Loop: Header=BB4_302 Depth=1
	s_or_b64 exec, exec, s[20:21]
	global_load_dwordx2 v[8:9], v33, s[2:3] offset:40
	global_load_dwordx4 v[24:27], v33, s[2:3]
	v_readfirstlane_b32 s20, v4
	v_readfirstlane_b32 s21, v5
	s_mov_b64 s[22:23], exec
	s_waitcnt vmcnt(1)
	v_readfirstlane_b32 s24, v8
	v_readfirstlane_b32 s25, v9
	s_and_b64 s[24:25], s[20:21], s[24:25]
	s_mul_i32 s15, s25, 24
	s_mul_hi_u32 s26, s24, 24
	s_add_i32 s27, s26, s15
	s_mul_i32 s26, s24, 24
	s_waitcnt vmcnt(0)
	v_lshl_add_u64 v[34:35], v[24:25], 0, s[26:27]
	s_and_saveexec_b64 s[26:27], s[0:1]
	s_cbranch_execz .LBB4_365
; %bb.364:                              ;   in Loop: Header=BB4_302 Depth=1
	v_mov_b64_e32 v[4:5], s[22:23]
	global_store_dwordx4 v[34:35], v[4:7], off offset:8
.LBB4_365:                              ;   in Loop: Header=BB4_302 Depth=1
	s_or_b64 exec, exec, s[26:27]
	s_nop 0
	v_or_b32_e32 v5, v2, v30
	v_cmp_gt_u64_e64 vcc, s[16:17], 56
	s_lshl_b32 s15, s18, 2
	s_lshl_b64 s[22:23], s[24:25], 12
	v_cndmask_b32_e32 v2, v5, v2, vcc
	s_add_i32 s15, s15, 28
	v_lshl_add_u64 v[26:27], v[26:27], 0, s[22:23]
	v_or_b32_e32 v4, 0, v3
	s_and_b32 s15, s15, 0x1e0
	v_and_b32_e32 v2, 0xffffff1f, v2
	v_cndmask_b32_e32 v9, v4, v3, vcc
	v_or_b32_e32 v8, s15, v2
	v_readfirstlane_b32 s22, v26
	v_readfirstlane_b32 s23, v27
	s_nop 4
	global_store_dwordx4 v28, v[8:11], s[22:23]
	global_store_dwordx4 v28, v[12:15], s[22:23] offset:16
	global_store_dwordx4 v28, v[16:19], s[22:23] offset:32
	global_store_dwordx4 v28, v[20:23], s[22:23] offset:48
	s_and_saveexec_b64 s[22:23], s[0:1]
	s_cbranch_execz .LBB4_373
; %bb.366:                              ;   in Loop: Header=BB4_302 Depth=1
	global_load_dwordx2 v[12:13], v33, s[2:3] offset:32 sc0 sc1
	global_load_dwordx2 v[2:3], v33, s[2:3] offset:40
	v_mov_b32_e32 v10, s20
	v_mov_b32_e32 v11, s21
	s_waitcnt vmcnt(0)
	v_readfirstlane_b32 s24, v2
	v_readfirstlane_b32 s25, v3
	s_and_b64 s[24:25], s[24:25], s[20:21]
	s_mul_i32 s15, s25, 24
	s_mul_hi_u32 s25, s24, 24
	s_mul_i32 s24, s24, 24
	s_add_i32 s25, s25, s15
	v_lshl_add_u64 v[8:9], v[24:25], 0, s[24:25]
	global_store_dwordx2 v[8:9], v[12:13], off
	buffer_wbl2 sc0 sc1
	s_waitcnt vmcnt(0)
	global_atomic_cmpswap_x2 v[4:5], v33, v[10:13], s[2:3] offset:32 sc0 sc1
	s_waitcnt vmcnt(0)
	v_cmp_ne_u64_e32 vcc, v[4:5], v[12:13]
	s_and_saveexec_b64 s[24:25], vcc
	s_cbranch_execz .LBB4_369
; %bb.367:                              ;   in Loop: Header=BB4_302 Depth=1
	s_mov_b64 s[26:27], 0
.LBB4_368:                              ;   Parent Loop BB4_302 Depth=1
                                        ; =>  This Inner Loop Header: Depth=2
	s_sleep 1
	global_store_dwordx2 v[8:9], v[4:5], off
	v_mov_b32_e32 v2, s20
	v_mov_b32_e32 v3, s21
	buffer_wbl2 sc0 sc1
	s_waitcnt vmcnt(0)
	global_atomic_cmpswap_x2 v[2:3], v33, v[2:5], s[2:3] offset:32 sc0 sc1
	s_waitcnt vmcnt(0)
	v_cmp_eq_u64_e32 vcc, v[2:3], v[4:5]
	s_or_b64 s[26:27], vcc, s[26:27]
	v_mov_b64_e32 v[4:5], v[2:3]
	s_andn2_b64 exec, exec, s[26:27]
	s_cbranch_execnz .LBB4_368
.LBB4_369:                              ;   in Loop: Header=BB4_302 Depth=1
	s_or_b64 exec, exec, s[24:25]
	global_load_dwordx2 v[2:3], v33, s[2:3] offset:16
	s_mov_b64 s[26:27], exec
	v_mbcnt_lo_u32_b32 v4, s26, 0
	v_mbcnt_hi_u32_b32 v4, s27, v4
	v_cmp_eq_u32_e32 vcc, 0, v4
	s_and_saveexec_b64 s[24:25], vcc
	s_cbranch_execz .LBB4_371
; %bb.370:                              ;   in Loop: Header=BB4_302 Depth=1
	s_bcnt1_i32_b64 s15, s[26:27]
	v_mov_b32_e32 v32, s15
	buffer_wbl2 sc0 sc1
	s_waitcnt vmcnt(0)
	global_atomic_add_x2 v[2:3], v[32:33], off offset:8 sc1
.LBB4_371:                              ;   in Loop: Header=BB4_302 Depth=1
	s_or_b64 exec, exec, s[24:25]
	s_waitcnt vmcnt(0)
	global_load_dwordx2 v[4:5], v[2:3], off offset:16
	s_waitcnt vmcnt(0)
	v_cmp_eq_u64_e32 vcc, 0, v[4:5]
	s_cbranch_vccnz .LBB4_373
; %bb.372:                              ;   in Loop: Header=BB4_302 Depth=1
	global_load_dword v32, v[2:3], off offset:24
	s_waitcnt vmcnt(0)
	v_and_b32_e32 v2, 0xffffff, v32
	s_nop 0
	v_readfirstlane_b32 m0, v2
	buffer_wbl2 sc0 sc1
	global_store_dwordx2 v[4:5], v[32:33], off sc0 sc1
	s_sendmsg sendmsg(MSG_INTERRUPT)
.LBB4_373:                              ;   in Loop: Header=BB4_302 Depth=1
	s_or_b64 exec, exec, s[22:23]
	v_mov_b32_e32 v29, v33
	v_lshl_add_u64 v[2:3], v[26:27], 0, v[28:29]
	s_branch .LBB4_377
.LBB4_374:                              ;   in Loop: Header=BB4_377 Depth=2
	s_or_b64 exec, exec, s[22:23]
	v_readfirstlane_b32 s15, v4
	s_cmp_eq_u32 s15, 0
	s_cbranch_scc1 .LBB4_376
; %bb.375:                              ;   in Loop: Header=BB4_377 Depth=2
	s_sleep 1
	s_cbranch_execnz .LBB4_377
	s_branch .LBB4_379
.LBB4_376:                              ;   in Loop: Header=BB4_302 Depth=1
	s_branch .LBB4_379
.LBB4_377:                              ;   Parent Loop BB4_302 Depth=1
                                        ; =>  This Inner Loop Header: Depth=2
	v_mov_b32_e32 v4, 1
	s_and_saveexec_b64 s[22:23], s[0:1]
	s_cbranch_execz .LBB4_374
; %bb.378:                              ;   in Loop: Header=BB4_377 Depth=2
	global_load_dword v4, v[34:35], off offset:20 sc0 sc1
	s_waitcnt vmcnt(0)
	buffer_inv sc0 sc1
	v_and_b32_e32 v4, 1, v4
	s_branch .LBB4_374
.LBB4_379:                              ;   in Loop: Header=BB4_302 Depth=1
	global_load_dwordx4 v[2:5], v[2:3], off
	s_and_saveexec_b64 s[22:23], s[0:1]
	s_cbranch_execz .LBB4_301
; %bb.380:                              ;   in Loop: Header=BB4_302 Depth=1
	global_load_dwordx2 v[4:5], v33, s[2:3] offset:40
	global_load_dwordx2 v[12:13], v33, s[2:3] offset:24 sc0 sc1
	global_load_dwordx2 v[14:15], v33, s[2:3]
	s_waitcnt vmcnt(2)
	v_lshl_add_u64 v[8:9], v[4:5], 0, 1
	v_lshl_add_u64 v[16:17], v[8:9], 0, s[20:21]
	v_cmp_eq_u64_e32 vcc, 0, v[16:17]
	s_waitcnt vmcnt(1)
	v_mov_b32_e32 v10, v12
	v_cndmask_b32_e32 v9, v17, v9, vcc
	v_cndmask_b32_e32 v8, v16, v8, vcc
	v_and_b32_e32 v5, v9, v5
	v_and_b32_e32 v4, v8, v4
	v_mul_lo_u32 v5, v5, 24
	v_mul_hi_u32 v11, v4, 24
	v_mul_lo_u32 v4, v4, 24
	v_add_u32_e32 v5, v11, v5
	s_waitcnt vmcnt(0)
	v_lshl_add_u64 v[4:5], v[14:15], 0, v[4:5]
	global_store_dwordx2 v[4:5], v[12:13], off
	v_mov_b32_e32 v11, v13
	buffer_wbl2 sc0 sc1
	s_waitcnt vmcnt(0)
	global_atomic_cmpswap_x2 v[10:11], v33, v[8:11], s[2:3] offset:24 sc0 sc1
	s_waitcnt vmcnt(0)
	v_cmp_ne_u64_e32 vcc, v[10:11], v[12:13]
	s_and_b64 exec, exec, vcc
	s_cbranch_execz .LBB4_301
; %bb.381:                              ;   in Loop: Header=BB4_302 Depth=1
	s_mov_b64 s[0:1], 0
.LBB4_382:                              ;   Parent Loop BB4_302 Depth=1
                                        ; =>  This Inner Loop Header: Depth=2
	s_sleep 1
	global_store_dwordx2 v[4:5], v[10:11], off
	buffer_wbl2 sc0 sc1
	s_waitcnt vmcnt(0)
	global_atomic_cmpswap_x2 v[12:13], v33, v[8:11], s[2:3] offset:24 sc0 sc1
	s_waitcnt vmcnt(0)
	v_cmp_eq_u64_e32 vcc, v[12:13], v[10:11]
	s_or_b64 s[0:1], vcc, s[0:1]
	v_mov_b64_e32 v[10:11], v[12:13]
	s_andn2_b64 exec, exec, s[0:1]
	s_cbranch_execnz .LBB4_382
	s_branch .LBB4_301
.LBB4_383:
	s_branch .LBB4_411
.LBB4_384:
                                        ; implicit-def: $vgpr2_vgpr3
	s_cbranch_execz .LBB4_411
; %bb.385:
	v_readfirstlane_b32 s0, v36
	s_waitcnt vmcnt(0)
	v_mov_b64_e32 v[2:3], 0
	v_cmp_eq_u32_e64 s[0:1], s0, v36
	s_and_saveexec_b64 s[10:11], s[0:1]
	s_cbranch_execz .LBB4_391
; %bb.386:
	v_mov_b32_e32 v4, 0
	global_load_dwordx2 v[8:9], v4, s[2:3] offset:24 sc0 sc1
	s_waitcnt vmcnt(0)
	buffer_inv sc0 sc1
	global_load_dwordx2 v[2:3], v4, s[2:3] offset:40
	global_load_dwordx2 v[6:7], v4, s[2:3]
	s_waitcnt vmcnt(1)
	v_and_b32_e32 v2, v2, v8
	v_and_b32_e32 v3, v3, v9
	v_mul_lo_u32 v3, v3, 24
	v_mul_hi_u32 v5, v2, 24
	v_add_u32_e32 v3, v5, v3
	v_mul_lo_u32 v2, v2, 24
	s_waitcnt vmcnt(0)
	v_lshl_add_u64 v[2:3], v[6:7], 0, v[2:3]
	global_load_dwordx2 v[6:7], v[2:3], off sc0 sc1
	s_waitcnt vmcnt(0)
	global_atomic_cmpswap_x2 v[2:3], v4, v[6:9], s[2:3] offset:24 sc0 sc1
	s_waitcnt vmcnt(0)
	buffer_inv sc0 sc1
	v_cmp_ne_u64_e32 vcc, v[2:3], v[8:9]
	s_and_saveexec_b64 s[16:17], vcc
	s_cbranch_execz .LBB4_390
; %bb.387:
	s_mov_b64 s[18:19], 0
.LBB4_388:                              ; =>This Inner Loop Header: Depth=1
	s_sleep 1
	global_load_dwordx2 v[6:7], v4, s[2:3] offset:40
	global_load_dwordx2 v[10:11], v4, s[2:3]
	v_mov_b64_e32 v[8:9], v[2:3]
	s_waitcnt vmcnt(1)
	v_and_b32_e32 v2, v6, v8
	s_waitcnt vmcnt(0)
	v_mad_u64_u32 v[2:3], s[20:21], v2, 24, v[10:11]
	v_and_b32_e32 v5, v7, v9
	v_mov_b32_e32 v6, v3
	v_mad_u64_u32 v[6:7], s[20:21], v5, 24, v[6:7]
	v_mov_b32_e32 v3, v6
	global_load_dwordx2 v[6:7], v[2:3], off sc0 sc1
	s_waitcnt vmcnt(0)
	global_atomic_cmpswap_x2 v[2:3], v4, v[6:9], s[2:3] offset:24 sc0 sc1
	s_waitcnt vmcnt(0)
	buffer_inv sc0 sc1
	v_cmp_eq_u64_e32 vcc, v[2:3], v[8:9]
	s_or_b64 s[18:19], vcc, s[18:19]
	s_andn2_b64 exec, exec, s[18:19]
	s_cbranch_execnz .LBB4_388
; %bb.389:
	s_or_b64 exec, exec, s[18:19]
.LBB4_390:
	s_or_b64 exec, exec, s[16:17]
.LBB4_391:
	s_or_b64 exec, exec, s[10:11]
	v_mov_b32_e32 v29, 0
	global_load_dwordx2 v[8:9], v29, s[2:3] offset:40
	global_load_dwordx4 v[4:7], v29, s[2:3]
	v_readfirstlane_b32 s10, v2
	v_readfirstlane_b32 s11, v3
	s_mov_b64 s[16:17], exec
	s_waitcnt vmcnt(1)
	v_readfirstlane_b32 s18, v8
	v_readfirstlane_b32 s19, v9
	s_and_b64 s[18:19], s[10:11], s[18:19]
	s_mul_i32 s15, s19, 24
	s_mul_hi_u32 s20, s18, 24
	s_add_i32 s21, s20, s15
	s_mul_i32 s20, s18, 24
	s_waitcnt vmcnt(0)
	v_lshl_add_u64 v[8:9], v[4:5], 0, s[20:21]
	s_and_saveexec_b64 s[20:21], s[0:1]
	s_cbranch_execz .LBB4_393
; %bb.392:
	v_mov_b64_e32 v[10:11], s[16:17]
	v_mov_b32_e32 v12, 2
	v_mov_b32_e32 v13, 1
	global_store_dwordx4 v[8:9], v[10:13], off offset:8
.LBB4_393:
	s_or_b64 exec, exec, s[20:21]
	s_lshl_b64 s[16:17], s[18:19], 12
	v_lshl_add_u64 v[6:7], v[6:7], 0, s[16:17]
	s_movk_i32 s15, 0xff1f
	s_mov_b32 s16, 0
	v_and_or_b32 v0, v0, s15, 32
	v_mov_b32_e32 v2, v29
	v_mov_b32_e32 v3, v29
	v_readfirstlane_b32 s20, v6
	v_readfirstlane_b32 s21, v7
	s_mov_b32 s17, s16
	s_mov_b32 s18, s16
	;; [unrolled: 1-line block ×3, first 2 shown]
	s_nop 1
	global_store_dwordx4 v28, v[0:3], s[20:21]
	s_nop 1
	v_mov_b64_e32 v[0:1], s[16:17]
	v_mov_b64_e32 v[2:3], s[18:19]
	global_store_dwordx4 v28, v[0:3], s[20:21] offset:16
	global_store_dwordx4 v28, v[0:3], s[20:21] offset:32
	;; [unrolled: 1-line block ×3, first 2 shown]
	s_and_saveexec_b64 s[16:17], s[0:1]
	s_cbranch_execz .LBB4_401
; %bb.394:
	v_mov_b32_e32 v10, 0
	global_load_dwordx2 v[14:15], v10, s[2:3] offset:32 sc0 sc1
	global_load_dwordx2 v[0:1], v10, s[2:3] offset:40
	v_mov_b32_e32 v12, s10
	v_mov_b32_e32 v13, s11
	s_waitcnt vmcnt(0)
	v_readfirstlane_b32 s18, v0
	v_readfirstlane_b32 s19, v1
	s_and_b64 s[18:19], s[18:19], s[10:11]
	s_mul_i32 s15, s19, 24
	s_mul_hi_u32 s19, s18, 24
	s_mul_i32 s18, s18, 24
	s_add_i32 s19, s19, s15
	v_lshl_add_u64 v[4:5], v[4:5], 0, s[18:19]
	global_store_dwordx2 v[4:5], v[14:15], off
	buffer_wbl2 sc0 sc1
	s_waitcnt vmcnt(0)
	global_atomic_cmpswap_x2 v[2:3], v10, v[12:15], s[2:3] offset:32 sc0 sc1
	s_waitcnt vmcnt(0)
	v_cmp_ne_u64_e32 vcc, v[2:3], v[14:15]
	s_and_saveexec_b64 s[18:19], vcc
	s_cbranch_execz .LBB4_397
; %bb.395:
	s_mov_b64 s[20:21], 0
.LBB4_396:                              ; =>This Inner Loop Header: Depth=1
	s_sleep 1
	global_store_dwordx2 v[4:5], v[2:3], off
	v_mov_b32_e32 v0, s10
	v_mov_b32_e32 v1, s11
	buffer_wbl2 sc0 sc1
	s_waitcnt vmcnt(0)
	global_atomic_cmpswap_x2 v[0:1], v10, v[0:3], s[2:3] offset:32 sc0 sc1
	s_waitcnt vmcnt(0)
	v_cmp_eq_u64_e32 vcc, v[0:1], v[2:3]
	s_or_b64 s[20:21], vcc, s[20:21]
	v_mov_b64_e32 v[2:3], v[0:1]
	s_andn2_b64 exec, exec, s[20:21]
	s_cbranch_execnz .LBB4_396
.LBB4_397:
	s_or_b64 exec, exec, s[18:19]
	v_mov_b32_e32 v3, 0
	global_load_dwordx2 v[0:1], v3, s[2:3] offset:16
	s_mov_b64 s[18:19], exec
	v_mbcnt_lo_u32_b32 v2, s18, 0
	v_mbcnt_hi_u32_b32 v2, s19, v2
	v_cmp_eq_u32_e32 vcc, 0, v2
	s_and_saveexec_b64 s[20:21], vcc
	s_cbranch_execz .LBB4_399
; %bb.398:
	s_bcnt1_i32_b64 s15, s[18:19]
	v_mov_b32_e32 v2, s15
	buffer_wbl2 sc0 sc1
	s_waitcnt vmcnt(0)
	global_atomic_add_x2 v[0:1], v[2:3], off offset:8 sc1
.LBB4_399:
	s_or_b64 exec, exec, s[20:21]
	s_waitcnt vmcnt(0)
	global_load_dwordx2 v[2:3], v[0:1], off offset:16
	s_waitcnt vmcnt(0)
	v_cmp_eq_u64_e32 vcc, 0, v[2:3]
	s_cbranch_vccnz .LBB4_401
; %bb.400:
	global_load_dword v0, v[0:1], off offset:24
	v_mov_b32_e32 v1, 0
	buffer_wbl2 sc0 sc1
	s_waitcnt vmcnt(0)
	global_store_dwordx2 v[2:3], v[0:1], off sc0 sc1
	v_and_b32_e32 v0, 0xffffff, v0
	s_nop 0
	v_readfirstlane_b32 m0, v0
	s_sendmsg sendmsg(MSG_INTERRUPT)
.LBB4_401:
	s_or_b64 exec, exec, s[16:17]
	v_lshl_add_u64 v[0:1], v[6:7], 0, v[28:29]
	s_branch .LBB4_405
.LBB4_402:                              ;   in Loop: Header=BB4_405 Depth=1
	s_or_b64 exec, exec, s[16:17]
	v_readfirstlane_b32 s15, v2
	s_cmp_eq_u32 s15, 0
	s_cbranch_scc1 .LBB4_404
; %bb.403:                              ;   in Loop: Header=BB4_405 Depth=1
	s_sleep 1
	s_cbranch_execnz .LBB4_405
	s_branch .LBB4_407
.LBB4_404:
	s_branch .LBB4_407
.LBB4_405:                              ; =>This Inner Loop Header: Depth=1
	v_mov_b32_e32 v2, 1
	s_and_saveexec_b64 s[16:17], s[0:1]
	s_cbranch_execz .LBB4_402
; %bb.406:                              ;   in Loop: Header=BB4_405 Depth=1
	global_load_dword v2, v[8:9], off offset:20 sc0 sc1
	s_waitcnt vmcnt(0)
	buffer_inv sc0 sc1
	v_and_b32_e32 v2, 1, v2
	s_branch .LBB4_402
.LBB4_407:
	global_load_dwordx2 v[2:3], v[0:1], off
	s_and_saveexec_b64 s[16:17], s[0:1]
	s_cbranch_execz .LBB4_410
; %bb.408:
	v_mov_b32_e32 v8, 0
	global_load_dwordx2 v[0:1], v8, s[2:3] offset:40
	global_load_dwordx2 v[10:11], v8, s[2:3] offset:24 sc0 sc1
	global_load_dwordx2 v[12:13], v8, s[2:3]
	s_mov_b64 s[0:1], 0
	s_waitcnt vmcnt(2)
	v_lshl_add_u64 v[4:5], v[0:1], 0, 1
	v_lshl_add_u64 v[14:15], v[4:5], 0, s[10:11]
	v_cmp_eq_u64_e32 vcc, 0, v[14:15]
	s_waitcnt vmcnt(1)
	v_mov_b32_e32 v6, v10
	v_cndmask_b32_e32 v5, v15, v5, vcc
	v_cndmask_b32_e32 v4, v14, v4, vcc
	v_and_b32_e32 v1, v5, v1
	v_and_b32_e32 v0, v4, v0
	v_mul_lo_u32 v1, v1, 24
	v_mul_hi_u32 v7, v0, 24
	v_mul_lo_u32 v0, v0, 24
	v_add_u32_e32 v1, v7, v1
	s_waitcnt vmcnt(0)
	v_lshl_add_u64 v[0:1], v[12:13], 0, v[0:1]
	global_store_dwordx2 v[0:1], v[10:11], off
	v_mov_b32_e32 v7, v11
	buffer_wbl2 sc0 sc1
	s_waitcnt vmcnt(0)
	global_atomic_cmpswap_x2 v[6:7], v8, v[4:7], s[2:3] offset:24 sc0 sc1
	s_waitcnt vmcnt(0)
	v_cmp_ne_u64_e32 vcc, v[6:7], v[10:11]
	s_and_b64 exec, exec, vcc
	s_cbranch_execz .LBB4_410
.LBB4_409:                              ; =>This Inner Loop Header: Depth=1
	s_sleep 1
	global_store_dwordx2 v[0:1], v[6:7], off
	buffer_wbl2 sc0 sc1
	s_waitcnt vmcnt(0)
	global_atomic_cmpswap_x2 v[10:11], v8, v[4:7], s[2:3] offset:24 sc0 sc1
	s_waitcnt vmcnt(0)
	v_cmp_eq_u64_e32 vcc, v[10:11], v[6:7]
	s_or_b64 s[0:1], vcc, s[0:1]
	v_mov_b64_e32 v[6:7], v[10:11]
	s_andn2_b64 exec, exec, s[0:1]
	s_cbranch_execnz .LBB4_409
.LBB4_410:
	s_or_b64 exec, exec, s[16:17]
.LBB4_411:
	v_readfirstlane_b32 s0, v36
	s_waitcnt vmcnt(0)
	v_mov_b64_e32 v[0:1], 0
	v_cmp_eq_u32_e64 s[0:1], s0, v36
	s_and_saveexec_b64 s[10:11], s[0:1]
	s_cbranch_execz .LBB4_417
; %bb.412:
	v_mov_b32_e32 v4, 0
	global_load_dwordx2 v[8:9], v4, s[2:3] offset:24 sc0 sc1
	s_waitcnt vmcnt(0)
	buffer_inv sc0 sc1
	global_load_dwordx2 v[0:1], v4, s[2:3] offset:40
	global_load_dwordx2 v[6:7], v4, s[2:3]
	s_waitcnt vmcnt(1)
	v_and_b32_e32 v0, v0, v8
	v_and_b32_e32 v1, v1, v9
	v_mul_lo_u32 v1, v1, 24
	v_mul_hi_u32 v5, v0, 24
	v_add_u32_e32 v1, v5, v1
	v_mul_lo_u32 v0, v0, 24
	s_waitcnt vmcnt(0)
	v_lshl_add_u64 v[0:1], v[6:7], 0, v[0:1]
	global_load_dwordx2 v[6:7], v[0:1], off sc0 sc1
	s_waitcnt vmcnt(0)
	global_atomic_cmpswap_x2 v[0:1], v4, v[6:9], s[2:3] offset:24 sc0 sc1
	s_waitcnt vmcnt(0)
	buffer_inv sc0 sc1
	v_cmp_ne_u64_e32 vcc, v[0:1], v[8:9]
	s_and_saveexec_b64 s[16:17], vcc
	s_cbranch_execz .LBB4_416
; %bb.413:
	s_mov_b64 s[18:19], 0
.LBB4_414:                              ; =>This Inner Loop Header: Depth=1
	s_sleep 1
	global_load_dwordx2 v[6:7], v4, s[2:3] offset:40
	global_load_dwordx2 v[10:11], v4, s[2:3]
	v_mov_b64_e32 v[8:9], v[0:1]
	s_waitcnt vmcnt(1)
	v_and_b32_e32 v0, v6, v8
	s_waitcnt vmcnt(0)
	v_mad_u64_u32 v[0:1], s[20:21], v0, 24, v[10:11]
	v_and_b32_e32 v5, v7, v9
	v_mov_b32_e32 v6, v1
	v_mad_u64_u32 v[6:7], s[20:21], v5, 24, v[6:7]
	v_mov_b32_e32 v1, v6
	global_load_dwordx2 v[6:7], v[0:1], off sc0 sc1
	s_waitcnt vmcnt(0)
	global_atomic_cmpswap_x2 v[0:1], v4, v[6:9], s[2:3] offset:24 sc0 sc1
	s_waitcnt vmcnt(0)
	buffer_inv sc0 sc1
	v_cmp_eq_u64_e32 vcc, v[0:1], v[8:9]
	s_or_b64 s[18:19], vcc, s[18:19]
	s_andn2_b64 exec, exec, s[18:19]
	s_cbranch_execnz .LBB4_414
; %bb.415:
	s_or_b64 exec, exec, s[18:19]
.LBB4_416:
	s_or_b64 exec, exec, s[16:17]
.LBB4_417:
	s_or_b64 exec, exec, s[10:11]
	v_mov_b32_e32 v5, 0
	global_load_dwordx2 v[10:11], v5, s[2:3] offset:40
	global_load_dwordx4 v[6:9], v5, s[2:3]
	v_readfirstlane_b32 s10, v0
	v_readfirstlane_b32 s11, v1
	s_mov_b64 s[16:17], exec
	s_waitcnt vmcnt(1)
	v_readfirstlane_b32 s18, v10
	v_readfirstlane_b32 s19, v11
	s_and_b64 s[18:19], s[10:11], s[18:19]
	s_mul_i32 s15, s19, 24
	s_mul_hi_u32 s20, s18, 24
	s_add_i32 s21, s20, s15
	s_mul_i32 s20, s18, 24
	s_waitcnt vmcnt(0)
	v_lshl_add_u64 v[10:11], v[6:7], 0, s[20:21]
	s_and_saveexec_b64 s[20:21], s[0:1]
	s_cbranch_execz .LBB4_419
; %bb.418:
	v_mov_b64_e32 v[12:13], s[16:17]
	v_mov_b32_e32 v14, 2
	v_mov_b32_e32 v15, 1
	global_store_dwordx4 v[10:11], v[12:15], off offset:8
.LBB4_419:
	s_or_b64 exec, exec, s[20:21]
	s_lshl_b64 s[16:17], s[18:19], 12
	v_lshl_add_u64 v[0:1], v[8:9], 0, s[16:17]
	s_movk_i32 s15, 0xff1d
	s_mov_b32 s16, 0
	v_and_or_b32 v2, v2, s15, 34
	v_mov_b32_e32 v4, 10
	v_readfirstlane_b32 s20, v0
	v_readfirstlane_b32 s21, v1
	s_mov_b32 s17, s16
	s_mov_b32 s18, s16
	;; [unrolled: 1-line block ×3, first 2 shown]
	s_nop 1
	global_store_dwordx4 v28, v[2:5], s[20:21]
	v_mov_b64_e32 v[0:1], s[16:17]
	s_nop 0
	v_mov_b64_e32 v[2:3], s[18:19]
	global_store_dwordx4 v28, v[0:3], s[20:21] offset:16
	global_store_dwordx4 v28, v[0:3], s[20:21] offset:32
	;; [unrolled: 1-line block ×3, first 2 shown]
	s_and_saveexec_b64 s[16:17], s[0:1]
	s_cbranch_execz .LBB4_427
; %bb.420:
	v_mov_b32_e32 v8, 0
	global_load_dwordx2 v[14:15], v8, s[2:3] offset:32 sc0 sc1
	global_load_dwordx2 v[0:1], v8, s[2:3] offset:40
	v_mov_b32_e32 v12, s10
	v_mov_b32_e32 v13, s11
	s_waitcnt vmcnt(0)
	v_readfirstlane_b32 s18, v0
	v_readfirstlane_b32 s19, v1
	s_and_b64 s[18:19], s[18:19], s[10:11]
	s_mul_i32 s15, s19, 24
	s_mul_hi_u32 s19, s18, 24
	s_mul_i32 s18, s18, 24
	s_add_i32 s19, s19, s15
	v_lshl_add_u64 v[4:5], v[6:7], 0, s[18:19]
	global_store_dwordx2 v[4:5], v[14:15], off
	buffer_wbl2 sc0 sc1
	s_waitcnt vmcnt(0)
	global_atomic_cmpswap_x2 v[2:3], v8, v[12:15], s[2:3] offset:32 sc0 sc1
	s_waitcnt vmcnt(0)
	v_cmp_ne_u64_e32 vcc, v[2:3], v[14:15]
	s_and_saveexec_b64 s[18:19], vcc
	s_cbranch_execz .LBB4_423
; %bb.421:
	s_mov_b64 s[20:21], 0
.LBB4_422:                              ; =>This Inner Loop Header: Depth=1
	s_sleep 1
	global_store_dwordx2 v[4:5], v[2:3], off
	v_mov_b32_e32 v0, s10
	v_mov_b32_e32 v1, s11
	buffer_wbl2 sc0 sc1
	s_waitcnt vmcnt(0)
	global_atomic_cmpswap_x2 v[0:1], v8, v[0:3], s[2:3] offset:32 sc0 sc1
	s_waitcnt vmcnt(0)
	v_cmp_eq_u64_e32 vcc, v[0:1], v[2:3]
	s_or_b64 s[20:21], vcc, s[20:21]
	v_mov_b64_e32 v[2:3], v[0:1]
	s_andn2_b64 exec, exec, s[20:21]
	s_cbranch_execnz .LBB4_422
.LBB4_423:
	s_or_b64 exec, exec, s[18:19]
	v_mov_b32_e32 v3, 0
	global_load_dwordx2 v[0:1], v3, s[2:3] offset:16
	s_mov_b64 s[18:19], exec
	v_mbcnt_lo_u32_b32 v2, s18, 0
	v_mbcnt_hi_u32_b32 v2, s19, v2
	v_cmp_eq_u32_e32 vcc, 0, v2
	s_and_saveexec_b64 s[20:21], vcc
	s_cbranch_execz .LBB4_425
; %bb.424:
	s_bcnt1_i32_b64 s15, s[18:19]
	v_mov_b32_e32 v2, s15
	buffer_wbl2 sc0 sc1
	s_waitcnt vmcnt(0)
	global_atomic_add_x2 v[0:1], v[2:3], off offset:8 sc1
.LBB4_425:
	s_or_b64 exec, exec, s[20:21]
	s_waitcnt vmcnt(0)
	global_load_dwordx2 v[2:3], v[0:1], off offset:16
	s_waitcnt vmcnt(0)
	v_cmp_eq_u64_e32 vcc, 0, v[2:3]
	s_cbranch_vccnz .LBB4_427
; %bb.426:
	global_load_dword v0, v[0:1], off offset:24
	v_mov_b32_e32 v1, 0
	buffer_wbl2 sc0 sc1
	s_waitcnt vmcnt(0)
	global_store_dwordx2 v[2:3], v[0:1], off sc0 sc1
	v_and_b32_e32 v0, 0xffffff, v0
	s_nop 0
	v_readfirstlane_b32 m0, v0
	s_sendmsg sendmsg(MSG_INTERRUPT)
.LBB4_427:
	s_or_b64 exec, exec, s[16:17]
	s_branch .LBB4_431
.LBB4_428:                              ;   in Loop: Header=BB4_431 Depth=1
	s_or_b64 exec, exec, s[16:17]
	v_readfirstlane_b32 s15, v0
	s_cmp_eq_u32 s15, 0
	s_cbranch_scc1 .LBB4_430
; %bb.429:                              ;   in Loop: Header=BB4_431 Depth=1
	s_sleep 1
	s_cbranch_execnz .LBB4_431
	s_branch .LBB4_433
.LBB4_430:
	s_branch .LBB4_433
.LBB4_431:                              ; =>This Inner Loop Header: Depth=1
	v_mov_b32_e32 v0, 1
	s_and_saveexec_b64 s[16:17], s[0:1]
	s_cbranch_execz .LBB4_428
; %bb.432:                              ;   in Loop: Header=BB4_431 Depth=1
	global_load_dword v0, v[10:11], off offset:20 sc0 sc1
	s_waitcnt vmcnt(0)
	buffer_inv sc0 sc1
	v_and_b32_e32 v0, 1, v0
	s_branch .LBB4_428
.LBB4_433:
	s_and_saveexec_b64 s[16:17], s[0:1]
	s_cbranch_execz .LBB4_436
; %bb.434:
	v_mov_b32_e32 v6, 0
	global_load_dwordx2 v[4:5], v6, s[2:3] offset:40
	global_load_dwordx2 v[8:9], v6, s[2:3] offset:24 sc0 sc1
	global_load_dwordx2 v[10:11], v6, s[2:3]
	s_mov_b64 s[0:1], 0
	s_waitcnt vmcnt(2)
	v_lshl_add_u64 v[0:1], v[4:5], 0, 1
	v_lshl_add_u64 v[12:13], v[0:1], 0, s[10:11]
	v_cmp_eq_u64_e32 vcc, 0, v[12:13]
	s_waitcnt vmcnt(1)
	v_mov_b32_e32 v2, v8
	v_cndmask_b32_e32 v1, v13, v1, vcc
	v_cndmask_b32_e32 v0, v12, v0, vcc
	v_and_b32_e32 v3, v1, v5
	v_and_b32_e32 v4, v0, v4
	v_mul_lo_u32 v3, v3, 24
	v_mul_hi_u32 v5, v4, 24
	v_mul_lo_u32 v4, v4, 24
	v_add_u32_e32 v5, v5, v3
	s_waitcnt vmcnt(0)
	v_lshl_add_u64 v[4:5], v[10:11], 0, v[4:5]
	global_store_dwordx2 v[4:5], v[8:9], off
	v_mov_b32_e32 v3, v9
	buffer_wbl2 sc0 sc1
	s_waitcnt vmcnt(0)
	global_atomic_cmpswap_x2 v[2:3], v6, v[0:3], s[2:3] offset:24 sc0 sc1
	s_waitcnt vmcnt(0)
	v_cmp_ne_u64_e32 vcc, v[2:3], v[8:9]
	s_and_b64 exec, exec, vcc
	s_cbranch_execz .LBB4_436
.LBB4_435:                              ; =>This Inner Loop Header: Depth=1
	s_sleep 1
	global_store_dwordx2 v[4:5], v[2:3], off
	buffer_wbl2 sc0 sc1
	s_waitcnt vmcnt(0)
	global_atomic_cmpswap_x2 v[8:9], v6, v[0:3], s[2:3] offset:24 sc0 sc1
	s_waitcnt vmcnt(0)
	v_cmp_eq_u64_e32 vcc, v[8:9], v[2:3]
	s_or_b64 s[0:1], vcc, s[0:1]
	v_mov_b64_e32 v[2:3], v[8:9]
	s_andn2_b64 exec, exec, s[0:1]
	s_cbranch_execnz .LBB4_435
.LBB4_436:
	s_or_b64 exec, exec, s[16:17]
	v_readfirstlane_b32 s0, v36
	v_mov_b64_e32 v[4:5], 0
	s_nop 0
	v_cmp_eq_u32_e64 s[0:1], s0, v36
	s_and_saveexec_b64 s[10:11], s[0:1]
	s_cbranch_execz .LBB4_442
; %bb.437:
	v_mov_b32_e32 v0, 0
	global_load_dwordx2 v[6:7], v0, s[2:3] offset:24 sc0 sc1
	s_waitcnt vmcnt(0)
	buffer_inv sc0 sc1
	global_load_dwordx2 v[2:3], v0, s[2:3] offset:40
	global_load_dwordx2 v[4:5], v0, s[2:3]
	s_waitcnt vmcnt(1)
	v_and_b32_e32 v1, v2, v6
	v_and_b32_e32 v2, v3, v7
	v_mul_lo_u32 v2, v2, 24
	v_mul_hi_u32 v3, v1, 24
	v_add_u32_e32 v3, v3, v2
	v_mul_lo_u32 v2, v1, 24
	s_waitcnt vmcnt(0)
	v_lshl_add_u64 v[2:3], v[4:5], 0, v[2:3]
	global_load_dwordx2 v[4:5], v[2:3], off sc0 sc1
	s_waitcnt vmcnt(0)
	global_atomic_cmpswap_x2 v[4:5], v0, v[4:7], s[2:3] offset:24 sc0 sc1
	s_waitcnt vmcnt(0)
	buffer_inv sc0 sc1
	v_cmp_ne_u64_e32 vcc, v[4:5], v[6:7]
	s_and_saveexec_b64 s[16:17], vcc
	s_cbranch_execz .LBB4_441
; %bb.438:
	s_mov_b64 s[18:19], 0
.LBB4_439:                              ; =>This Inner Loop Header: Depth=1
	s_sleep 1
	global_load_dwordx2 v[2:3], v0, s[2:3] offset:40
	global_load_dwordx2 v[8:9], v0, s[2:3]
	v_mov_b64_e32 v[6:7], v[4:5]
	s_waitcnt vmcnt(1)
	v_and_b32_e32 v2, v2, v6
	v_and_b32_e32 v1, v3, v7
	s_waitcnt vmcnt(0)
	v_mad_u64_u32 v[2:3], s[20:21], v2, 24, v[8:9]
	v_mov_b32_e32 v4, v3
	v_mad_u64_u32 v[4:5], s[20:21], v1, 24, v[4:5]
	v_mov_b32_e32 v3, v4
	global_load_dwordx2 v[4:5], v[2:3], off sc0 sc1
	s_waitcnt vmcnt(0)
	global_atomic_cmpswap_x2 v[4:5], v0, v[4:7], s[2:3] offset:24 sc0 sc1
	s_waitcnt vmcnt(0)
	buffer_inv sc0 sc1
	v_cmp_eq_u64_e32 vcc, v[4:5], v[6:7]
	s_or_b64 s[18:19], vcc, s[18:19]
	s_andn2_b64 exec, exec, s[18:19]
	s_cbranch_execnz .LBB4_439
; %bb.440:
	s_or_b64 exec, exec, s[18:19]
.LBB4_441:
	s_or_b64 exec, exec, s[16:17]
.LBB4_442:
	s_or_b64 exec, exec, s[10:11]
	v_mov_b32_e32 v29, 0
	global_load_dwordx2 v[6:7], v29, s[2:3] offset:40
	global_load_dwordx4 v[0:3], v29, s[2:3]
	v_readfirstlane_b32 s10, v4
	v_readfirstlane_b32 s11, v5
	s_mov_b64 s[16:17], exec
	s_waitcnt vmcnt(1)
	v_readfirstlane_b32 s18, v6
	v_readfirstlane_b32 s19, v7
	s_and_b64 s[18:19], s[10:11], s[18:19]
	s_mul_i32 s15, s19, 24
	s_mul_hi_u32 s20, s18, 24
	s_add_i32 s21, s20, s15
	s_mul_i32 s20, s18, 24
	s_waitcnt vmcnt(0)
	v_lshl_add_u64 v[4:5], v[0:1], 0, s[20:21]
	s_and_saveexec_b64 s[20:21], s[0:1]
	s_cbranch_execz .LBB4_444
; %bb.443:
	v_mov_b64_e32 v[6:7], s[16:17]
	v_mov_b32_e32 v8, 2
	v_mov_b32_e32 v9, 1
	global_store_dwordx4 v[4:5], v[6:9], off offset:8
.LBB4_444:
	s_or_b64 exec, exec, s[20:21]
	s_lshl_b64 s[16:17], s[18:19], 12
	v_lshl_add_u64 v[6:7], v[2:3], 0, s[16:17]
	s_mov_b32 s16, 0
	v_mov_b32_e32 v8, 33
	v_mov_b32_e32 v9, v29
	;; [unrolled: 1-line block ×4, first 2 shown]
	v_readfirstlane_b32 s20, v6
	v_readfirstlane_b32 s21, v7
	s_mov_b32 s17, s16
	s_mov_b32 s18, s16
	;; [unrolled: 1-line block ×3, first 2 shown]
	s_nop 1
	global_store_dwordx4 v28, v[8:11], s[20:21]
	s_nop 1
	v_mov_b64_e32 v[8:9], s[16:17]
	v_mov_b64_e32 v[10:11], s[18:19]
	global_store_dwordx4 v28, v[8:11], s[20:21] offset:16
	global_store_dwordx4 v28, v[8:11], s[20:21] offset:32
	;; [unrolled: 1-line block ×3, first 2 shown]
	s_and_saveexec_b64 s[16:17], s[0:1]
	s_cbranch_execz .LBB4_452
; %bb.445:
	v_mov_b32_e32 v10, 0
	global_load_dwordx2 v[14:15], v10, s[2:3] offset:32 sc0 sc1
	global_load_dwordx2 v[2:3], v10, s[2:3] offset:40
	v_mov_b32_e32 v12, s10
	v_mov_b32_e32 v13, s11
	s_waitcnt vmcnt(0)
	v_readfirstlane_b32 s18, v2
	v_readfirstlane_b32 s19, v3
	s_and_b64 s[18:19], s[18:19], s[10:11]
	s_mul_i32 s15, s19, 24
	s_mul_hi_u32 s19, s18, 24
	s_mul_i32 s18, s18, 24
	s_add_i32 s19, s19, s15
	v_lshl_add_u64 v[8:9], v[0:1], 0, s[18:19]
	global_store_dwordx2 v[8:9], v[14:15], off
	buffer_wbl2 sc0 sc1
	s_waitcnt vmcnt(0)
	global_atomic_cmpswap_x2 v[2:3], v10, v[12:15], s[2:3] offset:32 sc0 sc1
	s_waitcnt vmcnt(0)
	v_cmp_ne_u64_e32 vcc, v[2:3], v[14:15]
	s_and_saveexec_b64 s[18:19], vcc
	s_cbranch_execz .LBB4_448
; %bb.446:
	s_mov_b64 s[20:21], 0
.LBB4_447:                              ; =>This Inner Loop Header: Depth=1
	s_sleep 1
	global_store_dwordx2 v[8:9], v[2:3], off
	v_mov_b32_e32 v0, s10
	v_mov_b32_e32 v1, s11
	buffer_wbl2 sc0 sc1
	s_waitcnt vmcnt(0)
	global_atomic_cmpswap_x2 v[0:1], v10, v[0:3], s[2:3] offset:32 sc0 sc1
	s_waitcnt vmcnt(0)
	v_cmp_eq_u64_e32 vcc, v[0:1], v[2:3]
	s_or_b64 s[20:21], vcc, s[20:21]
	v_mov_b64_e32 v[2:3], v[0:1]
	s_andn2_b64 exec, exec, s[20:21]
	s_cbranch_execnz .LBB4_447
.LBB4_448:
	s_or_b64 exec, exec, s[18:19]
	v_mov_b32_e32 v3, 0
	global_load_dwordx2 v[0:1], v3, s[2:3] offset:16
	s_mov_b64 s[18:19], exec
	v_mbcnt_lo_u32_b32 v2, s18, 0
	v_mbcnt_hi_u32_b32 v2, s19, v2
	v_cmp_eq_u32_e32 vcc, 0, v2
	s_and_saveexec_b64 s[20:21], vcc
	s_cbranch_execz .LBB4_450
; %bb.449:
	s_bcnt1_i32_b64 s15, s[18:19]
	v_mov_b32_e32 v2, s15
	buffer_wbl2 sc0 sc1
	s_waitcnt vmcnt(0)
	global_atomic_add_x2 v[0:1], v[2:3], off offset:8 sc1
.LBB4_450:
	s_or_b64 exec, exec, s[20:21]
	s_waitcnt vmcnt(0)
	global_load_dwordx2 v[2:3], v[0:1], off offset:16
	s_waitcnt vmcnt(0)
	v_cmp_eq_u64_e32 vcc, 0, v[2:3]
	s_cbranch_vccnz .LBB4_452
; %bb.451:
	global_load_dword v0, v[0:1], off offset:24
	v_mov_b32_e32 v1, 0
	buffer_wbl2 sc0 sc1
	s_waitcnt vmcnt(0)
	global_store_dwordx2 v[2:3], v[0:1], off sc0 sc1
	v_and_b32_e32 v0, 0xffffff, v0
	s_nop 0
	v_readfirstlane_b32 m0, v0
	s_sendmsg sendmsg(MSG_INTERRUPT)
.LBB4_452:
	s_or_b64 exec, exec, s[16:17]
	v_lshl_add_u64 v[0:1], v[6:7], 0, v[28:29]
	s_branch .LBB4_456
.LBB4_453:                              ;   in Loop: Header=BB4_456 Depth=1
	s_or_b64 exec, exec, s[16:17]
	v_readfirstlane_b32 s15, v2
	s_cmp_eq_u32 s15, 0
	s_cbranch_scc1 .LBB4_455
; %bb.454:                              ;   in Loop: Header=BB4_456 Depth=1
	s_sleep 1
	s_cbranch_execnz .LBB4_456
	s_branch .LBB4_458
.LBB4_455:
	s_branch .LBB4_458
.LBB4_456:                              ; =>This Inner Loop Header: Depth=1
	v_mov_b32_e32 v2, 1
	s_and_saveexec_b64 s[16:17], s[0:1]
	s_cbranch_execz .LBB4_453
; %bb.457:                              ;   in Loop: Header=BB4_456 Depth=1
	global_load_dword v2, v[4:5], off offset:20 sc0 sc1
	s_waitcnt vmcnt(0)
	buffer_inv sc0 sc1
	v_and_b32_e32 v2, 1, v2
	s_branch .LBB4_453
.LBB4_458:
	global_load_dwordx2 v[4:5], v[0:1], off
	s_and_saveexec_b64 s[16:17], s[0:1]
	s_cbranch_execz .LBB4_461
; %bb.459:
	v_mov_b32_e32 v8, 0
	global_load_dwordx2 v[6:7], v8, s[2:3] offset:40
	global_load_dwordx2 v[10:11], v8, s[2:3] offset:24 sc0 sc1
	global_load_dwordx2 v[12:13], v8, s[2:3]
	s_mov_b64 s[0:1], 0
	s_waitcnt vmcnt(2)
	v_lshl_add_u64 v[0:1], v[6:7], 0, 1
	v_lshl_add_u64 v[14:15], v[0:1], 0, s[10:11]
	v_cmp_eq_u64_e32 vcc, 0, v[14:15]
	s_waitcnt vmcnt(1)
	v_mov_b32_e32 v2, v10
	v_cndmask_b32_e32 v1, v15, v1, vcc
	v_cndmask_b32_e32 v0, v14, v0, vcc
	v_and_b32_e32 v3, v1, v7
	v_and_b32_e32 v6, v0, v6
	v_mul_lo_u32 v3, v3, 24
	v_mul_hi_u32 v7, v6, 24
	v_mul_lo_u32 v6, v6, 24
	v_add_u32_e32 v7, v7, v3
	s_waitcnt vmcnt(0)
	v_lshl_add_u64 v[6:7], v[12:13], 0, v[6:7]
	global_store_dwordx2 v[6:7], v[10:11], off
	v_mov_b32_e32 v3, v11
	buffer_wbl2 sc0 sc1
	s_waitcnt vmcnt(0)
	global_atomic_cmpswap_x2 v[2:3], v8, v[0:3], s[2:3] offset:24 sc0 sc1
	s_waitcnt vmcnt(0)
	v_cmp_ne_u64_e32 vcc, v[2:3], v[10:11]
	s_and_b64 exec, exec, vcc
	s_cbranch_execz .LBB4_461
.LBB4_460:                              ; =>This Inner Loop Header: Depth=1
	s_sleep 1
	global_store_dwordx2 v[6:7], v[2:3], off
	buffer_wbl2 sc0 sc1
	s_waitcnt vmcnt(0)
	global_atomic_cmpswap_x2 v[10:11], v8, v[0:3], s[2:3] offset:24 sc0 sc1
	s_waitcnt vmcnt(0)
	v_cmp_eq_u64_e32 vcc, v[10:11], v[2:3]
	s_or_b64 s[0:1], vcc, s[0:1]
	v_mov_b64_e32 v[2:3], v[10:11]
	s_andn2_b64 exec, exec, s[0:1]
	s_cbranch_execnz .LBB4_460
.LBB4_461:
	s_or_b64 exec, exec, s[16:17]
	s_and_b64 vcc, exec, s[4:5]
	s_cbranch_vccz .LBB4_546
; %bb.462:
	s_waitcnt vmcnt(0)
	v_and_b32_e32 v26, 2, v4
	v_mov_b32_e32 v31, 0
	v_and_b32_e32 v0, -3, v4
	v_mov_b32_e32 v1, v5
	s_mov_b64 s[16:17], 3
	v_mov_b32_e32 v8, 2
	v_mov_b32_e32 v9, 1
	s_getpc_b64 s[10:11]
	s_add_u32 s10, s10, .str.5@rel32@lo+4
	s_addc_u32 s11, s11, .str.5@rel32@hi+12
	s_branch .LBB4_464
.LBB4_463:                              ;   in Loop: Header=BB4_464 Depth=1
	s_or_b64 exec, exec, s[22:23]
	s_sub_u32 s16, s16, s18
	s_subb_u32 s17, s17, s19
	s_add_u32 s10, s10, s18
	s_addc_u32 s11, s11, s19
	s_cmp_lg_u64 s[16:17], 0
	s_cbranch_scc0 .LBB4_545
.LBB4_464:                              ; =>This Loop Header: Depth=1
                                        ;     Child Loop BB4_467 Depth 2
                                        ;     Child Loop BB4_474 Depth 2
	;; [unrolled: 1-line block ×11, first 2 shown]
	v_cmp_lt_u64_e64 s[0:1], s[16:17], 56
	s_and_b64 s[0:1], s[0:1], exec
	v_cmp_gt_u64_e64 s[0:1], s[16:17], 7
	s_cselect_b32 s19, s17, 0
	s_cselect_b32 s18, s16, 56
	s_and_b64 vcc, exec, s[0:1]
	s_cbranch_vccnz .LBB4_469
; %bb.465:                              ;   in Loop: Header=BB4_464 Depth=1
	s_mov_b64 s[0:1], 0
	s_cmp_eq_u64 s[16:17], 0
	s_waitcnt vmcnt(0)
	v_mov_b64_e32 v[2:3], 0
	s_cbranch_scc1 .LBB4_468
; %bb.466:                              ;   in Loop: Header=BB4_464 Depth=1
	s_lshl_b64 s[20:21], s[18:19], 3
	s_mov_b64 s[22:23], 0
	v_mov_b64_e32 v[2:3], 0
	s_mov_b64 s[24:25], s[10:11]
.LBB4_467:                              ;   Parent Loop BB4_464 Depth=1
                                        ; =>  This Inner Loop Header: Depth=2
	global_load_ubyte v6, v31, s[24:25]
	s_waitcnt vmcnt(0)
	v_and_b32_e32 v30, 0xffff, v6
	v_lshlrev_b64 v[6:7], s22, v[30:31]
	s_add_u32 s22, s22, 8
	s_addc_u32 s23, s23, 0
	s_add_u32 s24, s24, 1
	s_addc_u32 s25, s25, 0
	v_or_b32_e32 v2, v6, v2
	s_cmp_lg_u32 s20, s22
	v_or_b32_e32 v3, v7, v3
	s_cbranch_scc1 .LBB4_467
.LBB4_468:                              ;   in Loop: Header=BB4_464 Depth=1
	s_mov_b32 s15, 0
	s_andn2_b64 vcc, exec, s[0:1]
	s_mov_b64 s[0:1], s[10:11]
	s_cbranch_vccz .LBB4_470
	s_branch .LBB4_471
.LBB4_469:                              ;   in Loop: Header=BB4_464 Depth=1
                                        ; implicit-def: $vgpr2_vgpr3
                                        ; implicit-def: $sgpr15
	s_mov_b64 s[0:1], s[10:11]
.LBB4_470:                              ;   in Loop: Header=BB4_464 Depth=1
	global_load_dwordx2 v[2:3], v31, s[10:11]
	s_add_i32 s15, s18, -8
	s_add_u32 s0, s10, 8
	s_addc_u32 s1, s11, 0
.LBB4_471:                              ;   in Loop: Header=BB4_464 Depth=1
	s_cmp_gt_u32 s15, 7
	s_cbranch_scc1 .LBB4_475
; %bb.472:                              ;   in Loop: Header=BB4_464 Depth=1
	s_cmp_eq_u32 s15, 0
	s_cbranch_scc1 .LBB4_476
; %bb.473:                              ;   in Loop: Header=BB4_464 Depth=1
	s_mov_b64 s[20:21], 0
	v_mov_b64_e32 v[10:11], 0
	s_mov_b64 s[22:23], 0
.LBB4_474:                              ;   Parent Loop BB4_464 Depth=1
                                        ; =>  This Inner Loop Header: Depth=2
	s_add_u32 s24, s0, s22
	s_addc_u32 s25, s1, s23
	global_load_ubyte v6, v31, s[24:25]
	s_add_u32 s22, s22, 1
	s_addc_u32 s23, s23, 0
	s_waitcnt vmcnt(0)
	v_and_b32_e32 v30, 0xffff, v6
	v_lshlrev_b64 v[6:7], s20, v[30:31]
	s_add_u32 s20, s20, 8
	s_addc_u32 s21, s21, 0
	v_or_b32_e32 v10, v6, v10
	s_cmp_lg_u32 s15, s22
	v_or_b32_e32 v11, v7, v11
	s_cbranch_scc1 .LBB4_474
	s_branch .LBB4_477
.LBB4_475:                              ;   in Loop: Header=BB4_464 Depth=1
                                        ; implicit-def: $vgpr10_vgpr11
                                        ; implicit-def: $sgpr24
	s_branch .LBB4_478
.LBB4_476:                              ;   in Loop: Header=BB4_464 Depth=1
	v_mov_b64_e32 v[10:11], 0
.LBB4_477:                              ;   in Loop: Header=BB4_464 Depth=1
	s_mov_b32 s24, 0
	s_cbranch_execnz .LBB4_479
.LBB4_478:                              ;   in Loop: Header=BB4_464 Depth=1
	global_load_dwordx2 v[10:11], v31, s[0:1]
	s_add_i32 s24, s15, -8
	s_add_u32 s0, s0, 8
	s_addc_u32 s1, s1, 0
.LBB4_479:                              ;   in Loop: Header=BB4_464 Depth=1
	s_cmp_gt_u32 s24, 7
	s_cbranch_scc1 .LBB4_483
; %bb.480:                              ;   in Loop: Header=BB4_464 Depth=1
	s_cmp_eq_u32 s24, 0
	s_cbranch_scc1 .LBB4_484
; %bb.481:                              ;   in Loop: Header=BB4_464 Depth=1
	s_mov_b64 s[20:21], 0
	v_mov_b64_e32 v[12:13], 0
	s_mov_b64 s[22:23], 0
.LBB4_482:                              ;   Parent Loop BB4_464 Depth=1
                                        ; =>  This Inner Loop Header: Depth=2
	s_add_u32 s26, s0, s22
	s_addc_u32 s27, s1, s23
	global_load_ubyte v6, v31, s[26:27]
	s_add_u32 s22, s22, 1
	s_addc_u32 s23, s23, 0
	s_waitcnt vmcnt(0)
	v_and_b32_e32 v30, 0xffff, v6
	v_lshlrev_b64 v[6:7], s20, v[30:31]
	s_add_u32 s20, s20, 8
	s_addc_u32 s21, s21, 0
	v_or_b32_e32 v12, v6, v12
	s_cmp_lg_u32 s24, s22
	v_or_b32_e32 v13, v7, v13
	s_cbranch_scc1 .LBB4_482
	s_branch .LBB4_485
.LBB4_483:                              ;   in Loop: Header=BB4_464 Depth=1
                                        ; implicit-def: $sgpr15
	s_branch .LBB4_486
.LBB4_484:                              ;   in Loop: Header=BB4_464 Depth=1
	v_mov_b64_e32 v[12:13], 0
.LBB4_485:                              ;   in Loop: Header=BB4_464 Depth=1
	s_mov_b32 s15, 0
	s_cbranch_execnz .LBB4_487
.LBB4_486:                              ;   in Loop: Header=BB4_464 Depth=1
	global_load_dwordx2 v[12:13], v31, s[0:1]
	s_add_i32 s15, s24, -8
	s_add_u32 s0, s0, 8
	s_addc_u32 s1, s1, 0
.LBB4_487:                              ;   in Loop: Header=BB4_464 Depth=1
	s_cmp_gt_u32 s15, 7
	s_cbranch_scc1 .LBB4_491
; %bb.488:                              ;   in Loop: Header=BB4_464 Depth=1
	s_cmp_eq_u32 s15, 0
	s_cbranch_scc1 .LBB4_492
; %bb.489:                              ;   in Loop: Header=BB4_464 Depth=1
	s_mov_b64 s[20:21], 0
	v_mov_b64_e32 v[14:15], 0
	s_mov_b64 s[22:23], 0
.LBB4_490:                              ;   Parent Loop BB4_464 Depth=1
                                        ; =>  This Inner Loop Header: Depth=2
	s_add_u32 s24, s0, s22
	s_addc_u32 s25, s1, s23
	global_load_ubyte v6, v31, s[24:25]
	s_add_u32 s22, s22, 1
	s_addc_u32 s23, s23, 0
	s_waitcnt vmcnt(0)
	v_and_b32_e32 v30, 0xffff, v6
	v_lshlrev_b64 v[6:7], s20, v[30:31]
	s_add_u32 s20, s20, 8
	s_addc_u32 s21, s21, 0
	v_or_b32_e32 v14, v6, v14
	s_cmp_lg_u32 s15, s22
	v_or_b32_e32 v15, v7, v15
	s_cbranch_scc1 .LBB4_490
	s_branch .LBB4_493
.LBB4_491:                              ;   in Loop: Header=BB4_464 Depth=1
                                        ; implicit-def: $vgpr14_vgpr15
                                        ; implicit-def: $sgpr24
	s_branch .LBB4_494
.LBB4_492:                              ;   in Loop: Header=BB4_464 Depth=1
	v_mov_b64_e32 v[14:15], 0
.LBB4_493:                              ;   in Loop: Header=BB4_464 Depth=1
	s_mov_b32 s24, 0
	s_cbranch_execnz .LBB4_495
.LBB4_494:                              ;   in Loop: Header=BB4_464 Depth=1
	global_load_dwordx2 v[14:15], v31, s[0:1]
	s_add_i32 s24, s15, -8
	s_add_u32 s0, s0, 8
	s_addc_u32 s1, s1, 0
.LBB4_495:                              ;   in Loop: Header=BB4_464 Depth=1
	s_cmp_gt_u32 s24, 7
	s_cbranch_scc1 .LBB4_499
; %bb.496:                              ;   in Loop: Header=BB4_464 Depth=1
	s_cmp_eq_u32 s24, 0
	s_cbranch_scc1 .LBB4_500
; %bb.497:                              ;   in Loop: Header=BB4_464 Depth=1
	s_mov_b64 s[20:21], 0
	v_mov_b64_e32 v[16:17], 0
	s_mov_b64 s[22:23], 0
.LBB4_498:                              ;   Parent Loop BB4_464 Depth=1
                                        ; =>  This Inner Loop Header: Depth=2
	s_add_u32 s26, s0, s22
	s_addc_u32 s27, s1, s23
	global_load_ubyte v6, v31, s[26:27]
	s_add_u32 s22, s22, 1
	s_addc_u32 s23, s23, 0
	s_waitcnt vmcnt(0)
	v_and_b32_e32 v30, 0xffff, v6
	v_lshlrev_b64 v[6:7], s20, v[30:31]
	s_add_u32 s20, s20, 8
	s_addc_u32 s21, s21, 0
	v_or_b32_e32 v16, v6, v16
	s_cmp_lg_u32 s24, s22
	v_or_b32_e32 v17, v7, v17
	s_cbranch_scc1 .LBB4_498
	s_branch .LBB4_501
.LBB4_499:                              ;   in Loop: Header=BB4_464 Depth=1
                                        ; implicit-def: $sgpr15
	s_branch .LBB4_502
.LBB4_500:                              ;   in Loop: Header=BB4_464 Depth=1
	v_mov_b64_e32 v[16:17], 0
.LBB4_501:                              ;   in Loop: Header=BB4_464 Depth=1
	s_mov_b32 s15, 0
	s_cbranch_execnz .LBB4_503
.LBB4_502:                              ;   in Loop: Header=BB4_464 Depth=1
	global_load_dwordx2 v[16:17], v31, s[0:1]
	s_add_i32 s15, s24, -8
	s_add_u32 s0, s0, 8
	s_addc_u32 s1, s1, 0
.LBB4_503:                              ;   in Loop: Header=BB4_464 Depth=1
	s_cmp_gt_u32 s15, 7
	s_cbranch_scc1 .LBB4_507
; %bb.504:                              ;   in Loop: Header=BB4_464 Depth=1
	s_cmp_eq_u32 s15, 0
	s_cbranch_scc1 .LBB4_508
; %bb.505:                              ;   in Loop: Header=BB4_464 Depth=1
	s_mov_b64 s[20:21], 0
	v_mov_b64_e32 v[18:19], 0
	s_mov_b64 s[22:23], 0
.LBB4_506:                              ;   Parent Loop BB4_464 Depth=1
                                        ; =>  This Inner Loop Header: Depth=2
	s_add_u32 s24, s0, s22
	s_addc_u32 s25, s1, s23
	global_load_ubyte v6, v31, s[24:25]
	s_add_u32 s22, s22, 1
	s_addc_u32 s23, s23, 0
	s_waitcnt vmcnt(0)
	v_and_b32_e32 v30, 0xffff, v6
	v_lshlrev_b64 v[6:7], s20, v[30:31]
	s_add_u32 s20, s20, 8
	s_addc_u32 s21, s21, 0
	v_or_b32_e32 v18, v6, v18
	s_cmp_lg_u32 s15, s22
	v_or_b32_e32 v19, v7, v19
	s_cbranch_scc1 .LBB4_506
	s_branch .LBB4_509
.LBB4_507:                              ;   in Loop: Header=BB4_464 Depth=1
                                        ; implicit-def: $vgpr18_vgpr19
                                        ; implicit-def: $sgpr24
	s_branch .LBB4_510
.LBB4_508:                              ;   in Loop: Header=BB4_464 Depth=1
	v_mov_b64_e32 v[18:19], 0
.LBB4_509:                              ;   in Loop: Header=BB4_464 Depth=1
	s_mov_b32 s24, 0
	s_cbranch_execnz .LBB4_511
.LBB4_510:                              ;   in Loop: Header=BB4_464 Depth=1
	global_load_dwordx2 v[18:19], v31, s[0:1]
	s_add_i32 s24, s15, -8
	s_add_u32 s0, s0, 8
	s_addc_u32 s1, s1, 0
.LBB4_511:                              ;   in Loop: Header=BB4_464 Depth=1
	s_cmp_gt_u32 s24, 7
	s_cbranch_scc1 .LBB4_515
; %bb.512:                              ;   in Loop: Header=BB4_464 Depth=1
	s_cmp_eq_u32 s24, 0
	s_cbranch_scc1 .LBB4_516
; %bb.513:                              ;   in Loop: Header=BB4_464 Depth=1
	s_mov_b64 s[20:21], 0
	v_mov_b64_e32 v[20:21], 0
	s_mov_b64 s[22:23], s[0:1]
.LBB4_514:                              ;   Parent Loop BB4_464 Depth=1
                                        ; =>  This Inner Loop Header: Depth=2
	global_load_ubyte v6, v31, s[22:23]
	s_add_i32 s24, s24, -1
	s_waitcnt vmcnt(0)
	v_and_b32_e32 v30, 0xffff, v6
	v_lshlrev_b64 v[6:7], s20, v[30:31]
	s_add_u32 s20, s20, 8
	s_addc_u32 s21, s21, 0
	s_add_u32 s22, s22, 1
	s_addc_u32 s23, s23, 0
	v_or_b32_e32 v20, v6, v20
	s_cmp_lg_u32 s24, 0
	v_or_b32_e32 v21, v7, v21
	s_cbranch_scc1 .LBB4_514
	s_branch .LBB4_517
.LBB4_515:                              ;   in Loop: Header=BB4_464 Depth=1
	s_branch .LBB4_518
.LBB4_516:                              ;   in Loop: Header=BB4_464 Depth=1
	v_mov_b64_e32 v[20:21], 0
.LBB4_517:                              ;   in Loop: Header=BB4_464 Depth=1
	s_cbranch_execnz .LBB4_519
.LBB4_518:                              ;   in Loop: Header=BB4_464 Depth=1
	global_load_dwordx2 v[20:21], v31, s[0:1]
.LBB4_519:                              ;   in Loop: Header=BB4_464 Depth=1
	v_readfirstlane_b32 s0, v36
	v_mov_b64_e32 v[6:7], 0
	s_nop 0
	v_cmp_eq_u32_e64 s[0:1], s0, v36
	s_and_saveexec_b64 s[20:21], s[0:1]
	s_cbranch_execz .LBB4_525
; %bb.520:                              ;   in Loop: Header=BB4_464 Depth=1
	global_load_dwordx2 v[24:25], v31, s[2:3] offset:24 sc0 sc1
	s_waitcnt vmcnt(0)
	buffer_inv sc0 sc1
	global_load_dwordx2 v[6:7], v31, s[2:3] offset:40
	global_load_dwordx2 v[22:23], v31, s[2:3]
	s_waitcnt vmcnt(1)
	v_and_b32_e32 v6, v6, v24
	v_and_b32_e32 v7, v7, v25
	v_mul_lo_u32 v7, v7, 24
	v_mul_hi_u32 v27, v6, 24
	v_add_u32_e32 v7, v27, v7
	v_mul_lo_u32 v6, v6, 24
	s_waitcnt vmcnt(0)
	v_lshl_add_u64 v[6:7], v[22:23], 0, v[6:7]
	global_load_dwordx2 v[22:23], v[6:7], off sc0 sc1
	s_waitcnt vmcnt(0)
	global_atomic_cmpswap_x2 v[6:7], v31, v[22:25], s[2:3] offset:24 sc0 sc1
	s_waitcnt vmcnt(0)
	buffer_inv sc0 sc1
	v_cmp_ne_u64_e32 vcc, v[6:7], v[24:25]
	s_and_saveexec_b64 s[22:23], vcc
	s_cbranch_execz .LBB4_524
; %bb.521:                              ;   in Loop: Header=BB4_464 Depth=1
	s_mov_b64 s[24:25], 0
.LBB4_522:                              ;   Parent Loop BB4_464 Depth=1
                                        ; =>  This Inner Loop Header: Depth=2
	s_sleep 1
	global_load_dwordx2 v[22:23], v31, s[2:3] offset:40
	global_load_dwordx2 v[32:33], v31, s[2:3]
	v_mov_b64_e32 v[24:25], v[6:7]
	s_waitcnt vmcnt(1)
	v_and_b32_e32 v6, v22, v24
	s_waitcnt vmcnt(0)
	v_mad_u64_u32 v[6:7], s[26:27], v6, 24, v[32:33]
	v_and_b32_e32 v23, v23, v25
	v_mov_b32_e32 v22, v7
	v_mad_u64_u32 v[22:23], s[26:27], v23, 24, v[22:23]
	v_mov_b32_e32 v7, v22
	global_load_dwordx2 v[22:23], v[6:7], off sc0 sc1
	s_waitcnt vmcnt(0)
	global_atomic_cmpswap_x2 v[6:7], v31, v[22:25], s[2:3] offset:24 sc0 sc1
	s_waitcnt vmcnt(0)
	buffer_inv sc0 sc1
	v_cmp_eq_u64_e32 vcc, v[6:7], v[24:25]
	s_or_b64 s[24:25], vcc, s[24:25]
	s_andn2_b64 exec, exec, s[24:25]
	s_cbranch_execnz .LBB4_522
; %bb.523:                              ;   in Loop: Header=BB4_464 Depth=1
	s_or_b64 exec, exec, s[24:25]
.LBB4_524:                              ;   in Loop: Header=BB4_464 Depth=1
	s_or_b64 exec, exec, s[22:23]
.LBB4_525:                              ;   in Loop: Header=BB4_464 Depth=1
	s_or_b64 exec, exec, s[20:21]
	global_load_dwordx2 v[32:33], v31, s[2:3] offset:40
	global_load_dwordx4 v[22:25], v31, s[2:3]
	v_readfirstlane_b32 s20, v6
	v_readfirstlane_b32 s21, v7
	s_mov_b64 s[22:23], exec
	s_waitcnt vmcnt(1)
	v_readfirstlane_b32 s24, v32
	v_readfirstlane_b32 s25, v33
	s_and_b64 s[24:25], s[20:21], s[24:25]
	s_mul_i32 s15, s25, 24
	s_mul_hi_u32 s26, s24, 24
	s_add_i32 s27, s26, s15
	s_mul_i32 s26, s24, 24
	s_waitcnt vmcnt(0)
	v_lshl_add_u64 v[32:33], v[22:23], 0, s[26:27]
	s_and_saveexec_b64 s[26:27], s[0:1]
	s_cbranch_execz .LBB4_527
; %bb.526:                              ;   in Loop: Header=BB4_464 Depth=1
	v_mov_b64_e32 v[6:7], s[22:23]
	global_store_dwordx4 v[32:33], v[6:9], off offset:8
.LBB4_527:                              ;   in Loop: Header=BB4_464 Depth=1
	s_or_b64 exec, exec, s[26:27]
	s_lshl_b64 s[22:23], s[24:25], 12
	v_lshl_add_u64 v[6:7], v[24:25], 0, s[22:23]
	v_or_b32_e32 v25, v0, v26
	v_cmp_gt_u64_e64 vcc, s[16:17], 56
	s_lshl_b32 s15, s18, 2
	s_add_i32 s15, s15, 28
	v_cndmask_b32_e32 v0, v25, v0, vcc
	v_or_b32_e32 v24, 0, v1
	s_and_b32 s15, s15, 0x1e0
	v_and_b32_e32 v0, 0xffffff1f, v0
	v_cndmask_b32_e32 v1, v24, v1, vcc
	v_or_b32_e32 v0, s15, v0
	v_readfirstlane_b32 s22, v6
	v_readfirstlane_b32 s23, v7
	s_nop 4
	global_store_dwordx4 v28, v[0:3], s[22:23]
	global_store_dwordx4 v28, v[10:13], s[22:23] offset:16
	global_store_dwordx4 v28, v[14:17], s[22:23] offset:32
	global_store_dwordx4 v28, v[18:21], s[22:23] offset:48
	s_and_saveexec_b64 s[22:23], s[0:1]
	s_cbranch_execz .LBB4_535
; %bb.528:                              ;   in Loop: Header=BB4_464 Depth=1
	global_load_dwordx2 v[14:15], v31, s[2:3] offset:32 sc0 sc1
	global_load_dwordx2 v[0:1], v31, s[2:3] offset:40
	v_mov_b32_e32 v12, s20
	v_mov_b32_e32 v13, s21
	s_waitcnt vmcnt(0)
	v_readfirstlane_b32 s24, v0
	v_readfirstlane_b32 s25, v1
	s_and_b64 s[24:25], s[24:25], s[20:21]
	s_mul_i32 s15, s25, 24
	s_mul_hi_u32 s25, s24, 24
	s_mul_i32 s24, s24, 24
	s_add_i32 s25, s25, s15
	v_lshl_add_u64 v[10:11], v[22:23], 0, s[24:25]
	global_store_dwordx2 v[10:11], v[14:15], off
	buffer_wbl2 sc0 sc1
	s_waitcnt vmcnt(0)
	global_atomic_cmpswap_x2 v[2:3], v31, v[12:15], s[2:3] offset:32 sc0 sc1
	s_waitcnt vmcnt(0)
	v_cmp_ne_u64_e32 vcc, v[2:3], v[14:15]
	s_and_saveexec_b64 s[24:25], vcc
	s_cbranch_execz .LBB4_531
; %bb.529:                              ;   in Loop: Header=BB4_464 Depth=1
	s_mov_b64 s[26:27], 0
.LBB4_530:                              ;   Parent Loop BB4_464 Depth=1
                                        ; =>  This Inner Loop Header: Depth=2
	s_sleep 1
	global_store_dwordx2 v[10:11], v[2:3], off
	v_mov_b32_e32 v0, s20
	v_mov_b32_e32 v1, s21
	buffer_wbl2 sc0 sc1
	s_waitcnt vmcnt(0)
	global_atomic_cmpswap_x2 v[0:1], v31, v[0:3], s[2:3] offset:32 sc0 sc1
	s_waitcnt vmcnt(0)
	v_cmp_eq_u64_e32 vcc, v[0:1], v[2:3]
	s_or_b64 s[26:27], vcc, s[26:27]
	v_mov_b64_e32 v[2:3], v[0:1]
	s_andn2_b64 exec, exec, s[26:27]
	s_cbranch_execnz .LBB4_530
.LBB4_531:                              ;   in Loop: Header=BB4_464 Depth=1
	s_or_b64 exec, exec, s[24:25]
	global_load_dwordx2 v[0:1], v31, s[2:3] offset:16
	s_mov_b64 s[26:27], exec
	v_mbcnt_lo_u32_b32 v2, s26, 0
	v_mbcnt_hi_u32_b32 v2, s27, v2
	v_cmp_eq_u32_e32 vcc, 0, v2
	s_and_saveexec_b64 s[24:25], vcc
	s_cbranch_execz .LBB4_533
; %bb.532:                              ;   in Loop: Header=BB4_464 Depth=1
	s_bcnt1_i32_b64 s15, s[26:27]
	v_mov_b32_e32 v30, s15
	buffer_wbl2 sc0 sc1
	s_waitcnt vmcnt(0)
	global_atomic_add_x2 v[0:1], v[30:31], off offset:8 sc1
.LBB4_533:                              ;   in Loop: Header=BB4_464 Depth=1
	s_or_b64 exec, exec, s[24:25]
	s_waitcnt vmcnt(0)
	global_load_dwordx2 v[2:3], v[0:1], off offset:16
	s_waitcnt vmcnt(0)
	v_cmp_eq_u64_e32 vcc, 0, v[2:3]
	s_cbranch_vccnz .LBB4_535
; %bb.534:                              ;   in Loop: Header=BB4_464 Depth=1
	global_load_dword v30, v[0:1], off offset:24
	s_waitcnt vmcnt(0)
	v_and_b32_e32 v0, 0xffffff, v30
	s_nop 0
	v_readfirstlane_b32 m0, v0
	buffer_wbl2 sc0 sc1
	global_store_dwordx2 v[2:3], v[30:31], off sc0 sc1
	s_sendmsg sendmsg(MSG_INTERRUPT)
.LBB4_535:                              ;   in Loop: Header=BB4_464 Depth=1
	s_or_b64 exec, exec, s[22:23]
	v_mov_b32_e32 v29, v31
	v_lshl_add_u64 v[0:1], v[6:7], 0, v[28:29]
	s_branch .LBB4_539
.LBB4_536:                              ;   in Loop: Header=BB4_539 Depth=2
	s_or_b64 exec, exec, s[22:23]
	v_readfirstlane_b32 s15, v2
	s_cmp_eq_u32 s15, 0
	s_cbranch_scc1 .LBB4_538
; %bb.537:                              ;   in Loop: Header=BB4_539 Depth=2
	s_sleep 1
	s_cbranch_execnz .LBB4_539
	s_branch .LBB4_541
.LBB4_538:                              ;   in Loop: Header=BB4_464 Depth=1
	s_branch .LBB4_541
.LBB4_539:                              ;   Parent Loop BB4_464 Depth=1
                                        ; =>  This Inner Loop Header: Depth=2
	v_mov_b32_e32 v2, 1
	s_and_saveexec_b64 s[22:23], s[0:1]
	s_cbranch_execz .LBB4_536
; %bb.540:                              ;   in Loop: Header=BB4_539 Depth=2
	global_load_dword v2, v[32:33], off offset:20 sc0 sc1
	s_waitcnt vmcnt(0)
	buffer_inv sc0 sc1
	v_and_b32_e32 v2, 1, v2
	s_branch .LBB4_536
.LBB4_541:                              ;   in Loop: Header=BB4_464 Depth=1
	global_load_dwordx4 v[0:3], v[0:1], off
	s_and_saveexec_b64 s[22:23], s[0:1]
	s_cbranch_execz .LBB4_463
; %bb.542:                              ;   in Loop: Header=BB4_464 Depth=1
	global_load_dwordx2 v[2:3], v31, s[2:3] offset:40
	global_load_dwordx2 v[6:7], v31, s[2:3] offset:24 sc0 sc1
	global_load_dwordx2 v[14:15], v31, s[2:3]
	s_waitcnt vmcnt(2)
	v_lshl_add_u64 v[10:11], v[2:3], 0, 1
	v_lshl_add_u64 v[16:17], v[10:11], 0, s[20:21]
	v_cmp_eq_u64_e32 vcc, 0, v[16:17]
	s_waitcnt vmcnt(1)
	v_mov_b32_e32 v12, v6
	v_cndmask_b32_e32 v11, v17, v11, vcc
	v_cndmask_b32_e32 v10, v16, v10, vcc
	v_and_b32_e32 v3, v11, v3
	v_and_b32_e32 v2, v10, v2
	v_mul_lo_u32 v3, v3, 24
	v_mul_hi_u32 v13, v2, 24
	v_mul_lo_u32 v2, v2, 24
	v_add_u32_e32 v3, v13, v3
	s_waitcnt vmcnt(0)
	v_lshl_add_u64 v[2:3], v[14:15], 0, v[2:3]
	global_store_dwordx2 v[2:3], v[6:7], off
	v_mov_b32_e32 v13, v7
	buffer_wbl2 sc0 sc1
	s_waitcnt vmcnt(0)
	global_atomic_cmpswap_x2 v[12:13], v31, v[10:13], s[2:3] offset:24 sc0 sc1
	s_waitcnt vmcnt(0)
	v_cmp_ne_u64_e32 vcc, v[12:13], v[6:7]
	s_and_b64 exec, exec, vcc
	s_cbranch_execz .LBB4_463
; %bb.543:                              ;   in Loop: Header=BB4_464 Depth=1
	s_mov_b64 s[0:1], 0
.LBB4_544:                              ;   Parent Loop BB4_464 Depth=1
                                        ; =>  This Inner Loop Header: Depth=2
	s_sleep 1
	global_store_dwordx2 v[2:3], v[12:13], off
	buffer_wbl2 sc0 sc1
	s_waitcnt vmcnt(0)
	global_atomic_cmpswap_x2 v[6:7], v31, v[10:13], s[2:3] offset:24 sc0 sc1
	s_waitcnt vmcnt(0)
	v_cmp_eq_u64_e32 vcc, v[6:7], v[12:13]
	s_or_b64 s[0:1], vcc, s[0:1]
	v_mov_b64_e32 v[12:13], v[6:7]
	s_andn2_b64 exec, exec, s[0:1]
	s_cbranch_execnz .LBB4_544
	s_branch .LBB4_463
.LBB4_545:
	s_branch .LBB4_573
.LBB4_546:
                                        ; implicit-def: $vgpr0_vgpr1
	s_cbranch_execz .LBB4_573
; %bb.547:
	v_readfirstlane_b32 s0, v36
	v_mov_b64_e32 v[6:7], 0
	s_nop 0
	v_cmp_eq_u32_e64 s[0:1], s0, v36
	s_and_saveexec_b64 s[10:11], s[0:1]
	s_cbranch_execz .LBB4_553
; %bb.548:
	s_waitcnt vmcnt(0)
	v_mov_b32_e32 v0, 0
	global_load_dwordx2 v[8:9], v0, s[2:3] offset:24 sc0 sc1
	s_waitcnt vmcnt(0)
	buffer_inv sc0 sc1
	global_load_dwordx2 v[2:3], v0, s[2:3] offset:40
	global_load_dwordx2 v[6:7], v0, s[2:3]
	s_waitcnt vmcnt(1)
	v_and_b32_e32 v1, v2, v8
	v_and_b32_e32 v2, v3, v9
	v_mul_lo_u32 v2, v2, 24
	v_mul_hi_u32 v3, v1, 24
	v_add_u32_e32 v3, v3, v2
	v_mul_lo_u32 v2, v1, 24
	s_waitcnt vmcnt(0)
	v_lshl_add_u64 v[2:3], v[6:7], 0, v[2:3]
	global_load_dwordx2 v[6:7], v[2:3], off sc0 sc1
	s_waitcnt vmcnt(0)
	global_atomic_cmpswap_x2 v[6:7], v0, v[6:9], s[2:3] offset:24 sc0 sc1
	s_waitcnt vmcnt(0)
	buffer_inv sc0 sc1
	v_cmp_ne_u64_e32 vcc, v[6:7], v[8:9]
	s_and_saveexec_b64 s[16:17], vcc
	s_cbranch_execz .LBB4_552
; %bb.549:
	s_mov_b64 s[18:19], 0
.LBB4_550:                              ; =>This Inner Loop Header: Depth=1
	s_sleep 1
	global_load_dwordx2 v[2:3], v0, s[2:3] offset:40
	global_load_dwordx2 v[10:11], v0, s[2:3]
	v_mov_b64_e32 v[8:9], v[6:7]
	s_waitcnt vmcnt(1)
	v_and_b32_e32 v2, v2, v8
	v_and_b32_e32 v1, v3, v9
	s_waitcnt vmcnt(0)
	v_mad_u64_u32 v[2:3], s[20:21], v2, 24, v[10:11]
	v_mov_b32_e32 v6, v3
	v_mad_u64_u32 v[6:7], s[20:21], v1, 24, v[6:7]
	v_mov_b32_e32 v3, v6
	global_load_dwordx2 v[6:7], v[2:3], off sc0 sc1
	s_waitcnt vmcnt(0)
	global_atomic_cmpswap_x2 v[6:7], v0, v[6:9], s[2:3] offset:24 sc0 sc1
	s_waitcnt vmcnt(0)
	buffer_inv sc0 sc1
	v_cmp_eq_u64_e32 vcc, v[6:7], v[8:9]
	s_or_b64 s[18:19], vcc, s[18:19]
	s_andn2_b64 exec, exec, s[18:19]
	s_cbranch_execnz .LBB4_550
; %bb.551:
	s_or_b64 exec, exec, s[18:19]
.LBB4_552:
	s_or_b64 exec, exec, s[16:17]
.LBB4_553:
	s_or_b64 exec, exec, s[10:11]
	v_mov_b32_e32 v29, 0
	global_load_dwordx2 v[8:9], v29, s[2:3] offset:40
	global_load_dwordx4 v[0:3], v29, s[2:3]
	v_readfirstlane_b32 s10, v6
	v_readfirstlane_b32 s11, v7
	s_mov_b64 s[16:17], exec
	s_waitcnt vmcnt(1)
	v_readfirstlane_b32 s18, v8
	v_readfirstlane_b32 s19, v9
	s_and_b64 s[18:19], s[10:11], s[18:19]
	s_mul_i32 s15, s19, 24
	s_mul_hi_u32 s20, s18, 24
	s_add_i32 s21, s20, s15
	s_mul_i32 s20, s18, 24
	s_waitcnt vmcnt(0)
	v_lshl_add_u64 v[8:9], v[0:1], 0, s[20:21]
	s_and_saveexec_b64 s[20:21], s[0:1]
	s_cbranch_execz .LBB4_555
; %bb.554:
	v_mov_b64_e32 v[10:11], s[16:17]
	v_mov_b32_e32 v12, 2
	v_mov_b32_e32 v13, 1
	global_store_dwordx4 v[8:9], v[10:13], off offset:8
.LBB4_555:
	s_or_b64 exec, exec, s[20:21]
	s_lshl_b64 s[16:17], s[18:19], 12
	v_lshl_add_u64 v[10:11], v[2:3], 0, s[16:17]
	s_movk_i32 s15, 0xff1f
	s_mov_b32 s16, 0
	v_and_or_b32 v4, v4, s15, 32
	v_mov_b32_e32 v6, v29
	v_mov_b32_e32 v7, v29
	v_readfirstlane_b32 s20, v10
	v_readfirstlane_b32 s21, v11
	s_mov_b32 s17, s16
	s_mov_b32 s18, s16
	;; [unrolled: 1-line block ×3, first 2 shown]
	s_nop 1
	global_store_dwordx4 v28, v[4:7], s[20:21]
	v_mov_b64_e32 v[2:3], s[16:17]
	s_nop 0
	v_mov_b64_e32 v[4:5], s[18:19]
	global_store_dwordx4 v28, v[2:5], s[20:21] offset:16
	global_store_dwordx4 v28, v[2:5], s[20:21] offset:32
	;; [unrolled: 1-line block ×3, first 2 shown]
	s_and_saveexec_b64 s[16:17], s[0:1]
	s_cbranch_execz .LBB4_563
; %bb.556:
	v_mov_b32_e32 v6, 0
	global_load_dwordx2 v[14:15], v6, s[2:3] offset:32 sc0 sc1
	global_load_dwordx2 v[2:3], v6, s[2:3] offset:40
	v_mov_b32_e32 v12, s10
	v_mov_b32_e32 v13, s11
	s_waitcnt vmcnt(0)
	v_readfirstlane_b32 s18, v2
	v_readfirstlane_b32 s19, v3
	s_and_b64 s[18:19], s[18:19], s[10:11]
	s_mul_i32 s15, s19, 24
	s_mul_hi_u32 s19, s18, 24
	s_mul_i32 s18, s18, 24
	s_add_i32 s19, s19, s15
	v_lshl_add_u64 v[4:5], v[0:1], 0, s[18:19]
	global_store_dwordx2 v[4:5], v[14:15], off
	buffer_wbl2 sc0 sc1
	s_waitcnt vmcnt(0)
	global_atomic_cmpswap_x2 v[2:3], v6, v[12:15], s[2:3] offset:32 sc0 sc1
	s_waitcnt vmcnt(0)
	v_cmp_ne_u64_e32 vcc, v[2:3], v[14:15]
	s_and_saveexec_b64 s[18:19], vcc
	s_cbranch_execz .LBB4_559
; %bb.557:
	s_mov_b64 s[20:21], 0
.LBB4_558:                              ; =>This Inner Loop Header: Depth=1
	s_sleep 1
	global_store_dwordx2 v[4:5], v[2:3], off
	v_mov_b32_e32 v0, s10
	v_mov_b32_e32 v1, s11
	buffer_wbl2 sc0 sc1
	s_waitcnt vmcnt(0)
	global_atomic_cmpswap_x2 v[0:1], v6, v[0:3], s[2:3] offset:32 sc0 sc1
	s_waitcnt vmcnt(0)
	v_cmp_eq_u64_e32 vcc, v[0:1], v[2:3]
	s_or_b64 s[20:21], vcc, s[20:21]
	v_mov_b64_e32 v[2:3], v[0:1]
	s_andn2_b64 exec, exec, s[20:21]
	s_cbranch_execnz .LBB4_558
.LBB4_559:
	s_or_b64 exec, exec, s[18:19]
	v_mov_b32_e32 v3, 0
	global_load_dwordx2 v[0:1], v3, s[2:3] offset:16
	s_mov_b64 s[18:19], exec
	v_mbcnt_lo_u32_b32 v2, s18, 0
	v_mbcnt_hi_u32_b32 v2, s19, v2
	v_cmp_eq_u32_e32 vcc, 0, v2
	s_and_saveexec_b64 s[20:21], vcc
	s_cbranch_execz .LBB4_561
; %bb.560:
	s_bcnt1_i32_b64 s15, s[18:19]
	v_mov_b32_e32 v2, s15
	buffer_wbl2 sc0 sc1
	s_waitcnt vmcnt(0)
	global_atomic_add_x2 v[0:1], v[2:3], off offset:8 sc1
.LBB4_561:
	s_or_b64 exec, exec, s[20:21]
	s_waitcnt vmcnt(0)
	global_load_dwordx2 v[2:3], v[0:1], off offset:16
	s_waitcnt vmcnt(0)
	v_cmp_eq_u64_e32 vcc, 0, v[2:3]
	s_cbranch_vccnz .LBB4_563
; %bb.562:
	global_load_dword v0, v[0:1], off offset:24
	v_mov_b32_e32 v1, 0
	buffer_wbl2 sc0 sc1
	s_waitcnt vmcnt(0)
	global_store_dwordx2 v[2:3], v[0:1], off sc0 sc1
	v_and_b32_e32 v0, 0xffffff, v0
	s_nop 0
	v_readfirstlane_b32 m0, v0
	s_sendmsg sendmsg(MSG_INTERRUPT)
.LBB4_563:
	s_or_b64 exec, exec, s[16:17]
	v_lshl_add_u64 v[0:1], v[10:11], 0, v[28:29]
	s_branch .LBB4_567
.LBB4_564:                              ;   in Loop: Header=BB4_567 Depth=1
	s_or_b64 exec, exec, s[16:17]
	v_readfirstlane_b32 s15, v2
	s_cmp_eq_u32 s15, 0
	s_cbranch_scc1 .LBB4_566
; %bb.565:                              ;   in Loop: Header=BB4_567 Depth=1
	s_sleep 1
	s_cbranch_execnz .LBB4_567
	s_branch .LBB4_569
.LBB4_566:
	s_branch .LBB4_569
.LBB4_567:                              ; =>This Inner Loop Header: Depth=1
	v_mov_b32_e32 v2, 1
	s_and_saveexec_b64 s[16:17], s[0:1]
	s_cbranch_execz .LBB4_564
; %bb.568:                              ;   in Loop: Header=BB4_567 Depth=1
	global_load_dword v2, v[8:9], off offset:20 sc0 sc1
	s_waitcnt vmcnt(0)
	buffer_inv sc0 sc1
	v_and_b32_e32 v2, 1, v2
	s_branch .LBB4_564
.LBB4_569:
	global_load_dwordx2 v[0:1], v[0:1], off
	s_and_saveexec_b64 s[16:17], s[0:1]
	s_cbranch_execz .LBB4_572
; %bb.570:
	v_mov_b32_e32 v8, 0
	global_load_dwordx2 v[6:7], v8, s[2:3] offset:40
	global_load_dwordx2 v[10:11], v8, s[2:3] offset:24 sc0 sc1
	global_load_dwordx2 v[12:13], v8, s[2:3]
	s_mov_b64 s[0:1], 0
	s_waitcnt vmcnt(2)
	v_lshl_add_u64 v[2:3], v[6:7], 0, 1
	v_lshl_add_u64 v[14:15], v[2:3], 0, s[10:11]
	v_cmp_eq_u64_e32 vcc, 0, v[14:15]
	s_waitcnt vmcnt(1)
	v_mov_b32_e32 v4, v10
	v_cndmask_b32_e32 v3, v15, v3, vcc
	v_cndmask_b32_e32 v2, v14, v2, vcc
	v_and_b32_e32 v5, v3, v7
	v_and_b32_e32 v6, v2, v6
	v_mul_lo_u32 v5, v5, 24
	v_mul_hi_u32 v7, v6, 24
	v_mul_lo_u32 v6, v6, 24
	v_add_u32_e32 v7, v7, v5
	s_waitcnt vmcnt(0)
	v_lshl_add_u64 v[6:7], v[12:13], 0, v[6:7]
	global_store_dwordx2 v[6:7], v[10:11], off
	v_mov_b32_e32 v5, v11
	buffer_wbl2 sc0 sc1
	s_waitcnt vmcnt(0)
	global_atomic_cmpswap_x2 v[4:5], v8, v[2:5], s[2:3] offset:24 sc0 sc1
	s_waitcnt vmcnt(0)
	v_cmp_ne_u64_e32 vcc, v[4:5], v[10:11]
	s_and_b64 exec, exec, vcc
	s_cbranch_execz .LBB4_572
.LBB4_571:                              ; =>This Inner Loop Header: Depth=1
	s_sleep 1
	global_store_dwordx2 v[6:7], v[4:5], off
	buffer_wbl2 sc0 sc1
	s_waitcnt vmcnt(0)
	global_atomic_cmpswap_x2 v[10:11], v8, v[2:5], s[2:3] offset:24 sc0 sc1
	s_waitcnt vmcnt(0)
	v_cmp_eq_u64_e32 vcc, v[10:11], v[4:5]
	s_or_b64 s[0:1], vcc, s[0:1]
	v_mov_b64_e32 v[4:5], v[10:11]
	s_andn2_b64 exec, exec, s[0:1]
	s_cbranch_execnz .LBB4_571
.LBB4_572:
	s_or_b64 exec, exec, s[16:17]
.LBB4_573:
	s_getpc_b64 s[10:11]
	s_add_u32 s10, s10, .str.1@rel32@lo+4
	s_addc_u32 s11, s11, .str.1@rel32@hi+12
	s_cmp_lg_u64 s[10:11], 0
	s_cbranch_scc0 .LBB4_658
; %bb.574:
	s_waitcnt vmcnt(0)
	v_and_b32_e32 v6, -3, v0
	v_mov_b32_e32 v7, v1
	s_mov_b64 s[16:17], 0x53
	v_mov_b32_e32 v27, 0
	v_mov_b32_e32 v4, 2
	;; [unrolled: 1-line block ×3, first 2 shown]
	s_branch .LBB4_576
.LBB4_575:                              ;   in Loop: Header=BB4_576 Depth=1
	s_or_b64 exec, exec, s[22:23]
	s_sub_u32 s16, s16, s18
	s_subb_u32 s17, s17, s19
	s_add_u32 s10, s10, s18
	s_addc_u32 s11, s11, s19
	s_cmp_lg_u64 s[16:17], 0
	s_cbranch_scc0 .LBB4_657
.LBB4_576:                              ; =>This Loop Header: Depth=1
                                        ;     Child Loop BB4_579 Depth 2
                                        ;     Child Loop BB4_586 Depth 2
	;; [unrolled: 1-line block ×11, first 2 shown]
	v_cmp_lt_u64_e64 s[0:1], s[16:17], 56
	s_and_b64 s[0:1], s[0:1], exec
	v_cmp_gt_u64_e64 s[0:1], s[16:17], 7
	s_cselect_b32 s19, s17, 0
	s_cselect_b32 s18, s16, 56
	s_and_b64 vcc, exec, s[0:1]
	s_cbranch_vccnz .LBB4_581
; %bb.577:                              ;   in Loop: Header=BB4_576 Depth=1
	s_mov_b64 s[0:1], 0
	s_cmp_eq_u64 s[16:17], 0
	s_waitcnt vmcnt(0)
	v_mov_b64_e32 v[8:9], 0
	s_cbranch_scc1 .LBB4_580
; %bb.578:                              ;   in Loop: Header=BB4_576 Depth=1
	s_lshl_b64 s[20:21], s[18:19], 3
	s_mov_b64 s[22:23], 0
	v_mov_b64_e32 v[8:9], 0
	s_mov_b64 s[24:25], s[10:11]
.LBB4_579:                              ;   Parent Loop BB4_576 Depth=1
                                        ; =>  This Inner Loop Header: Depth=2
	global_load_ubyte v2, v27, s[24:25]
	s_waitcnt vmcnt(0)
	v_and_b32_e32 v26, 0xffff, v2
	v_lshlrev_b64 v[2:3], s22, v[26:27]
	s_add_u32 s22, s22, 8
	s_addc_u32 s23, s23, 0
	s_add_u32 s24, s24, 1
	s_addc_u32 s25, s25, 0
	v_or_b32_e32 v8, v2, v8
	s_cmp_lg_u32 s20, s22
	v_or_b32_e32 v9, v3, v9
	s_cbranch_scc1 .LBB4_579
.LBB4_580:                              ;   in Loop: Header=BB4_576 Depth=1
	s_mov_b32 s15, 0
	s_andn2_b64 vcc, exec, s[0:1]
	s_mov_b64 s[0:1], s[10:11]
	s_cbranch_vccz .LBB4_582
	s_branch .LBB4_583
.LBB4_581:                              ;   in Loop: Header=BB4_576 Depth=1
                                        ; implicit-def: $sgpr15
	s_mov_b64 s[0:1], s[10:11]
.LBB4_582:                              ;   in Loop: Header=BB4_576 Depth=1
	global_load_dwordx2 v[8:9], v27, s[10:11]
	s_add_i32 s15, s18, -8
	s_add_u32 s0, s10, 8
	s_addc_u32 s1, s11, 0
.LBB4_583:                              ;   in Loop: Header=BB4_576 Depth=1
	s_cmp_gt_u32 s15, 7
	s_cbranch_scc1 .LBB4_587
; %bb.584:                              ;   in Loop: Header=BB4_576 Depth=1
	s_cmp_eq_u32 s15, 0
	s_cbranch_scc1 .LBB4_588
; %bb.585:                              ;   in Loop: Header=BB4_576 Depth=1
	s_mov_b64 s[20:21], 0
	v_mov_b64_e32 v[10:11], 0
	s_mov_b64 s[22:23], 0
.LBB4_586:                              ;   Parent Loop BB4_576 Depth=1
                                        ; =>  This Inner Loop Header: Depth=2
	s_add_u32 s24, s0, s22
	s_addc_u32 s25, s1, s23
	global_load_ubyte v2, v27, s[24:25]
	s_add_u32 s22, s22, 1
	s_addc_u32 s23, s23, 0
	s_waitcnt vmcnt(0)
	v_and_b32_e32 v26, 0xffff, v2
	v_lshlrev_b64 v[2:3], s20, v[26:27]
	s_add_u32 s20, s20, 8
	s_addc_u32 s21, s21, 0
	v_or_b32_e32 v10, v2, v10
	s_cmp_lg_u32 s15, s22
	v_or_b32_e32 v11, v3, v11
	s_cbranch_scc1 .LBB4_586
	s_branch .LBB4_589
.LBB4_587:                              ;   in Loop: Header=BB4_576 Depth=1
                                        ; implicit-def: $vgpr10_vgpr11
                                        ; implicit-def: $sgpr24
	s_branch .LBB4_590
.LBB4_588:                              ;   in Loop: Header=BB4_576 Depth=1
	v_mov_b64_e32 v[10:11], 0
.LBB4_589:                              ;   in Loop: Header=BB4_576 Depth=1
	s_mov_b32 s24, 0
	s_cbranch_execnz .LBB4_591
.LBB4_590:                              ;   in Loop: Header=BB4_576 Depth=1
	global_load_dwordx2 v[10:11], v27, s[0:1]
	s_add_i32 s24, s15, -8
	s_add_u32 s0, s0, 8
	s_addc_u32 s1, s1, 0
.LBB4_591:                              ;   in Loop: Header=BB4_576 Depth=1
	s_cmp_gt_u32 s24, 7
	s_cbranch_scc1 .LBB4_595
; %bb.592:                              ;   in Loop: Header=BB4_576 Depth=1
	s_cmp_eq_u32 s24, 0
	s_cbranch_scc1 .LBB4_596
; %bb.593:                              ;   in Loop: Header=BB4_576 Depth=1
	s_mov_b64 s[20:21], 0
	v_mov_b64_e32 v[12:13], 0
	s_mov_b64 s[22:23], 0
.LBB4_594:                              ;   Parent Loop BB4_576 Depth=1
                                        ; =>  This Inner Loop Header: Depth=2
	s_add_u32 s26, s0, s22
	s_addc_u32 s27, s1, s23
	global_load_ubyte v2, v27, s[26:27]
	s_add_u32 s22, s22, 1
	s_addc_u32 s23, s23, 0
	s_waitcnt vmcnt(0)
	v_and_b32_e32 v26, 0xffff, v2
	v_lshlrev_b64 v[2:3], s20, v[26:27]
	s_add_u32 s20, s20, 8
	s_addc_u32 s21, s21, 0
	v_or_b32_e32 v12, v2, v12
	s_cmp_lg_u32 s24, s22
	v_or_b32_e32 v13, v3, v13
	s_cbranch_scc1 .LBB4_594
	s_branch .LBB4_597
.LBB4_595:                              ;   in Loop: Header=BB4_576 Depth=1
                                        ; implicit-def: $sgpr15
	s_branch .LBB4_598
.LBB4_596:                              ;   in Loop: Header=BB4_576 Depth=1
	v_mov_b64_e32 v[12:13], 0
.LBB4_597:                              ;   in Loop: Header=BB4_576 Depth=1
	s_mov_b32 s15, 0
	s_cbranch_execnz .LBB4_599
.LBB4_598:                              ;   in Loop: Header=BB4_576 Depth=1
	global_load_dwordx2 v[12:13], v27, s[0:1]
	s_add_i32 s15, s24, -8
	s_add_u32 s0, s0, 8
	s_addc_u32 s1, s1, 0
.LBB4_599:                              ;   in Loop: Header=BB4_576 Depth=1
	s_cmp_gt_u32 s15, 7
	s_cbranch_scc1 .LBB4_603
; %bb.600:                              ;   in Loop: Header=BB4_576 Depth=1
	s_cmp_eq_u32 s15, 0
	s_cbranch_scc1 .LBB4_604
; %bb.601:                              ;   in Loop: Header=BB4_576 Depth=1
	s_mov_b64 s[20:21], 0
	v_mov_b64_e32 v[14:15], 0
	s_mov_b64 s[22:23], 0
.LBB4_602:                              ;   Parent Loop BB4_576 Depth=1
                                        ; =>  This Inner Loop Header: Depth=2
	s_add_u32 s24, s0, s22
	s_addc_u32 s25, s1, s23
	global_load_ubyte v2, v27, s[24:25]
	s_add_u32 s22, s22, 1
	s_addc_u32 s23, s23, 0
	s_waitcnt vmcnt(0)
	v_and_b32_e32 v26, 0xffff, v2
	v_lshlrev_b64 v[2:3], s20, v[26:27]
	s_add_u32 s20, s20, 8
	s_addc_u32 s21, s21, 0
	v_or_b32_e32 v14, v2, v14
	s_cmp_lg_u32 s15, s22
	v_or_b32_e32 v15, v3, v15
	s_cbranch_scc1 .LBB4_602
	s_branch .LBB4_605
.LBB4_603:                              ;   in Loop: Header=BB4_576 Depth=1
                                        ; implicit-def: $vgpr14_vgpr15
                                        ; implicit-def: $sgpr24
	s_branch .LBB4_606
.LBB4_604:                              ;   in Loop: Header=BB4_576 Depth=1
	v_mov_b64_e32 v[14:15], 0
.LBB4_605:                              ;   in Loop: Header=BB4_576 Depth=1
	s_mov_b32 s24, 0
	s_cbranch_execnz .LBB4_607
.LBB4_606:                              ;   in Loop: Header=BB4_576 Depth=1
	global_load_dwordx2 v[14:15], v27, s[0:1]
	s_add_i32 s24, s15, -8
	s_add_u32 s0, s0, 8
	s_addc_u32 s1, s1, 0
.LBB4_607:                              ;   in Loop: Header=BB4_576 Depth=1
	s_cmp_gt_u32 s24, 7
	s_cbranch_scc1 .LBB4_611
; %bb.608:                              ;   in Loop: Header=BB4_576 Depth=1
	s_cmp_eq_u32 s24, 0
	s_cbranch_scc1 .LBB4_612
; %bb.609:                              ;   in Loop: Header=BB4_576 Depth=1
	s_mov_b64 s[20:21], 0
	v_mov_b64_e32 v[16:17], 0
	s_mov_b64 s[22:23], 0
.LBB4_610:                              ;   Parent Loop BB4_576 Depth=1
                                        ; =>  This Inner Loop Header: Depth=2
	s_add_u32 s26, s0, s22
	s_addc_u32 s27, s1, s23
	global_load_ubyte v2, v27, s[26:27]
	s_add_u32 s22, s22, 1
	s_addc_u32 s23, s23, 0
	s_waitcnt vmcnt(0)
	v_and_b32_e32 v26, 0xffff, v2
	v_lshlrev_b64 v[2:3], s20, v[26:27]
	s_add_u32 s20, s20, 8
	s_addc_u32 s21, s21, 0
	v_or_b32_e32 v16, v2, v16
	s_cmp_lg_u32 s24, s22
	v_or_b32_e32 v17, v3, v17
	s_cbranch_scc1 .LBB4_610
	s_branch .LBB4_613
.LBB4_611:                              ;   in Loop: Header=BB4_576 Depth=1
                                        ; implicit-def: $sgpr15
	s_branch .LBB4_614
.LBB4_612:                              ;   in Loop: Header=BB4_576 Depth=1
	v_mov_b64_e32 v[16:17], 0
.LBB4_613:                              ;   in Loop: Header=BB4_576 Depth=1
	s_mov_b32 s15, 0
	s_cbranch_execnz .LBB4_615
.LBB4_614:                              ;   in Loop: Header=BB4_576 Depth=1
	global_load_dwordx2 v[16:17], v27, s[0:1]
	s_add_i32 s15, s24, -8
	s_add_u32 s0, s0, 8
	s_addc_u32 s1, s1, 0
.LBB4_615:                              ;   in Loop: Header=BB4_576 Depth=1
	s_cmp_gt_u32 s15, 7
	s_cbranch_scc1 .LBB4_619
; %bb.616:                              ;   in Loop: Header=BB4_576 Depth=1
	s_cmp_eq_u32 s15, 0
	s_cbranch_scc1 .LBB4_620
; %bb.617:                              ;   in Loop: Header=BB4_576 Depth=1
	s_mov_b64 s[20:21], 0
	v_mov_b64_e32 v[18:19], 0
	s_mov_b64 s[22:23], 0
.LBB4_618:                              ;   Parent Loop BB4_576 Depth=1
                                        ; =>  This Inner Loop Header: Depth=2
	s_add_u32 s24, s0, s22
	s_addc_u32 s25, s1, s23
	global_load_ubyte v2, v27, s[24:25]
	s_add_u32 s22, s22, 1
	s_addc_u32 s23, s23, 0
	s_waitcnt vmcnt(0)
	v_and_b32_e32 v26, 0xffff, v2
	v_lshlrev_b64 v[2:3], s20, v[26:27]
	s_add_u32 s20, s20, 8
	s_addc_u32 s21, s21, 0
	v_or_b32_e32 v18, v2, v18
	s_cmp_lg_u32 s15, s22
	v_or_b32_e32 v19, v3, v19
	s_cbranch_scc1 .LBB4_618
	s_branch .LBB4_621
.LBB4_619:                              ;   in Loop: Header=BB4_576 Depth=1
                                        ; implicit-def: $vgpr18_vgpr19
                                        ; implicit-def: $sgpr24
	s_branch .LBB4_622
.LBB4_620:                              ;   in Loop: Header=BB4_576 Depth=1
	v_mov_b64_e32 v[18:19], 0
.LBB4_621:                              ;   in Loop: Header=BB4_576 Depth=1
	s_mov_b32 s24, 0
	s_cbranch_execnz .LBB4_623
.LBB4_622:                              ;   in Loop: Header=BB4_576 Depth=1
	global_load_dwordx2 v[18:19], v27, s[0:1]
	s_add_i32 s24, s15, -8
	s_add_u32 s0, s0, 8
	s_addc_u32 s1, s1, 0
.LBB4_623:                              ;   in Loop: Header=BB4_576 Depth=1
	s_cmp_gt_u32 s24, 7
	s_cbranch_scc1 .LBB4_627
; %bb.624:                              ;   in Loop: Header=BB4_576 Depth=1
	s_cmp_eq_u32 s24, 0
	s_cbranch_scc1 .LBB4_628
; %bb.625:                              ;   in Loop: Header=BB4_576 Depth=1
	s_mov_b64 s[20:21], 0
	v_mov_b64_e32 v[20:21], 0
	s_mov_b64 s[22:23], s[0:1]
.LBB4_626:                              ;   Parent Loop BB4_576 Depth=1
                                        ; =>  This Inner Loop Header: Depth=2
	global_load_ubyte v2, v27, s[22:23]
	s_add_i32 s24, s24, -1
	s_waitcnt vmcnt(0)
	v_and_b32_e32 v26, 0xffff, v2
	v_lshlrev_b64 v[2:3], s20, v[26:27]
	s_add_u32 s20, s20, 8
	s_addc_u32 s21, s21, 0
	s_add_u32 s22, s22, 1
	s_addc_u32 s23, s23, 0
	v_or_b32_e32 v20, v2, v20
	s_cmp_lg_u32 s24, 0
	v_or_b32_e32 v21, v3, v21
	s_cbranch_scc1 .LBB4_626
	s_branch .LBB4_629
.LBB4_627:                              ;   in Loop: Header=BB4_576 Depth=1
	s_branch .LBB4_630
.LBB4_628:                              ;   in Loop: Header=BB4_576 Depth=1
	v_mov_b64_e32 v[20:21], 0
.LBB4_629:                              ;   in Loop: Header=BB4_576 Depth=1
	s_cbranch_execnz .LBB4_631
.LBB4_630:                              ;   in Loop: Header=BB4_576 Depth=1
	global_load_dwordx2 v[20:21], v27, s[0:1]
.LBB4_631:                              ;   in Loop: Header=BB4_576 Depth=1
	v_readfirstlane_b32 s0, v36
	v_mov_b64_e32 v[2:3], 0
	s_nop 0
	v_cmp_eq_u32_e64 s[0:1], s0, v36
	s_and_saveexec_b64 s[20:21], s[0:1]
	s_cbranch_execz .LBB4_637
; %bb.632:                              ;   in Loop: Header=BB4_576 Depth=1
	global_load_dwordx2 v[24:25], v27, s[2:3] offset:24 sc0 sc1
	s_waitcnt vmcnt(0)
	buffer_inv sc0 sc1
	global_load_dwordx2 v[2:3], v27, s[2:3] offset:40
	global_load_dwordx2 v[22:23], v27, s[2:3]
	s_waitcnt vmcnt(1)
	v_and_b32_e32 v2, v2, v24
	v_and_b32_e32 v3, v3, v25
	v_mul_lo_u32 v3, v3, 24
	v_mul_hi_u32 v26, v2, 24
	v_add_u32_e32 v3, v26, v3
	v_mul_lo_u32 v2, v2, 24
	s_waitcnt vmcnt(0)
	v_lshl_add_u64 v[2:3], v[22:23], 0, v[2:3]
	global_load_dwordx2 v[22:23], v[2:3], off sc0 sc1
	s_waitcnt vmcnt(0)
	global_atomic_cmpswap_x2 v[2:3], v27, v[22:25], s[2:3] offset:24 sc0 sc1
	s_waitcnt vmcnt(0)
	buffer_inv sc0 sc1
	v_cmp_ne_u64_e32 vcc, v[2:3], v[24:25]
	s_and_saveexec_b64 s[22:23], vcc
	s_cbranch_execz .LBB4_636
; %bb.633:                              ;   in Loop: Header=BB4_576 Depth=1
	s_mov_b64 s[24:25], 0
.LBB4_634:                              ;   Parent Loop BB4_576 Depth=1
                                        ; =>  This Inner Loop Header: Depth=2
	s_sleep 1
	global_load_dwordx2 v[22:23], v27, s[2:3] offset:40
	global_load_dwordx2 v[30:31], v27, s[2:3]
	v_mov_b64_e32 v[24:25], v[2:3]
	s_waitcnt vmcnt(1)
	v_and_b32_e32 v2, v22, v24
	s_waitcnt vmcnt(0)
	v_mad_u64_u32 v[2:3], s[26:27], v2, 24, v[30:31]
	v_and_b32_e32 v23, v23, v25
	v_mov_b32_e32 v22, v3
	v_mad_u64_u32 v[22:23], s[26:27], v23, 24, v[22:23]
	v_mov_b32_e32 v3, v22
	global_load_dwordx2 v[22:23], v[2:3], off sc0 sc1
	s_waitcnt vmcnt(0)
	global_atomic_cmpswap_x2 v[2:3], v27, v[22:25], s[2:3] offset:24 sc0 sc1
	s_waitcnt vmcnt(0)
	buffer_inv sc0 sc1
	v_cmp_eq_u64_e32 vcc, v[2:3], v[24:25]
	s_or_b64 s[24:25], vcc, s[24:25]
	s_andn2_b64 exec, exec, s[24:25]
	s_cbranch_execnz .LBB4_634
; %bb.635:                              ;   in Loop: Header=BB4_576 Depth=1
	s_or_b64 exec, exec, s[24:25]
.LBB4_636:                              ;   in Loop: Header=BB4_576 Depth=1
	s_or_b64 exec, exec, s[22:23]
.LBB4_637:                              ;   in Loop: Header=BB4_576 Depth=1
	s_or_b64 exec, exec, s[20:21]
	global_load_dwordx2 v[30:31], v27, s[2:3] offset:40
	global_load_dwordx4 v[22:25], v27, s[2:3]
	v_readfirstlane_b32 s20, v2
	v_readfirstlane_b32 s21, v3
	s_mov_b64 s[22:23], exec
	s_waitcnt vmcnt(1)
	v_readfirstlane_b32 s24, v30
	v_readfirstlane_b32 s25, v31
	s_and_b64 s[24:25], s[20:21], s[24:25]
	s_mul_i32 s15, s25, 24
	s_mul_hi_u32 s26, s24, 24
	s_add_i32 s27, s26, s15
	s_mul_i32 s26, s24, 24
	s_waitcnt vmcnt(0)
	v_lshl_add_u64 v[30:31], v[22:23], 0, s[26:27]
	s_and_saveexec_b64 s[26:27], s[0:1]
	s_cbranch_execz .LBB4_639
; %bb.638:                              ;   in Loop: Header=BB4_576 Depth=1
	v_mov_b64_e32 v[2:3], s[22:23]
	global_store_dwordx4 v[30:31], v[2:5], off offset:8
.LBB4_639:                              ;   in Loop: Header=BB4_576 Depth=1
	s_or_b64 exec, exec, s[26:27]
	s_lshl_b64 s[22:23], s[24:25], 12
	v_lshl_add_u64 v[2:3], v[24:25], 0, s[22:23]
	v_or_b32_e32 v24, 2, v6
	v_cmp_gt_u64_e64 vcc, s[16:17], 56
	s_lshl_b32 s15, s18, 2
	s_add_i32 s15, s15, 28
	v_cndmask_b32_e32 v6, v24, v6, vcc
	s_and_b32 s15, s15, 0x1e0
	v_and_b32_e32 v6, 0xffffff1f, v6
	v_or_b32_e32 v6, s15, v6
	v_readfirstlane_b32 s22, v2
	v_readfirstlane_b32 s23, v3
	s_nop 4
	global_store_dwordx4 v28, v[6:9], s[22:23]
	global_store_dwordx4 v28, v[10:13], s[22:23] offset:16
	global_store_dwordx4 v28, v[14:17], s[22:23] offset:32
	;; [unrolled: 1-line block ×3, first 2 shown]
	s_and_saveexec_b64 s[22:23], s[0:1]
	s_cbranch_execz .LBB4_647
; %bb.640:                              ;   in Loop: Header=BB4_576 Depth=1
	global_load_dwordx2 v[14:15], v27, s[2:3] offset:32 sc0 sc1
	global_load_dwordx2 v[6:7], v27, s[2:3] offset:40
	v_mov_b32_e32 v12, s20
	v_mov_b32_e32 v13, s21
	s_waitcnt vmcnt(0)
	v_readfirstlane_b32 s24, v6
	v_readfirstlane_b32 s25, v7
	s_and_b64 s[24:25], s[24:25], s[20:21]
	s_mul_i32 s15, s25, 24
	s_mul_hi_u32 s25, s24, 24
	s_mul_i32 s24, s24, 24
	s_add_i32 s25, s25, s15
	v_lshl_add_u64 v[10:11], v[22:23], 0, s[24:25]
	global_store_dwordx2 v[10:11], v[14:15], off
	buffer_wbl2 sc0 sc1
	s_waitcnt vmcnt(0)
	global_atomic_cmpswap_x2 v[8:9], v27, v[12:15], s[2:3] offset:32 sc0 sc1
	s_waitcnt vmcnt(0)
	v_cmp_ne_u64_e32 vcc, v[8:9], v[14:15]
	s_and_saveexec_b64 s[24:25], vcc
	s_cbranch_execz .LBB4_643
; %bb.641:                              ;   in Loop: Header=BB4_576 Depth=1
	s_mov_b64 s[26:27], 0
.LBB4_642:                              ;   Parent Loop BB4_576 Depth=1
                                        ; =>  This Inner Loop Header: Depth=2
	s_sleep 1
	global_store_dwordx2 v[10:11], v[8:9], off
	v_mov_b32_e32 v6, s20
	v_mov_b32_e32 v7, s21
	buffer_wbl2 sc0 sc1
	s_waitcnt vmcnt(0)
	global_atomic_cmpswap_x2 v[6:7], v27, v[6:9], s[2:3] offset:32 sc0 sc1
	s_waitcnt vmcnt(0)
	v_cmp_eq_u64_e32 vcc, v[6:7], v[8:9]
	s_or_b64 s[26:27], vcc, s[26:27]
	v_mov_b64_e32 v[8:9], v[6:7]
	s_andn2_b64 exec, exec, s[26:27]
	s_cbranch_execnz .LBB4_642
.LBB4_643:                              ;   in Loop: Header=BB4_576 Depth=1
	s_or_b64 exec, exec, s[24:25]
	global_load_dwordx2 v[6:7], v27, s[2:3] offset:16
	s_mov_b64 s[26:27], exec
	v_mbcnt_lo_u32_b32 v8, s26, 0
	v_mbcnt_hi_u32_b32 v8, s27, v8
	v_cmp_eq_u32_e32 vcc, 0, v8
	s_and_saveexec_b64 s[24:25], vcc
	s_cbranch_execz .LBB4_645
; %bb.644:                              ;   in Loop: Header=BB4_576 Depth=1
	s_bcnt1_i32_b64 s15, s[26:27]
	v_mov_b32_e32 v26, s15
	buffer_wbl2 sc0 sc1
	s_waitcnt vmcnt(0)
	global_atomic_add_x2 v[6:7], v[26:27], off offset:8 sc1
.LBB4_645:                              ;   in Loop: Header=BB4_576 Depth=1
	s_or_b64 exec, exec, s[24:25]
	s_waitcnt vmcnt(0)
	global_load_dwordx2 v[8:9], v[6:7], off offset:16
	s_waitcnt vmcnt(0)
	v_cmp_eq_u64_e32 vcc, 0, v[8:9]
	s_cbranch_vccnz .LBB4_647
; %bb.646:                              ;   in Loop: Header=BB4_576 Depth=1
	global_load_dword v26, v[6:7], off offset:24
	s_waitcnt vmcnt(0)
	v_and_b32_e32 v6, 0xffffff, v26
	s_nop 0
	v_readfirstlane_b32 m0, v6
	buffer_wbl2 sc0 sc1
	global_store_dwordx2 v[8:9], v[26:27], off sc0 sc1
	s_sendmsg sendmsg(MSG_INTERRUPT)
.LBB4_647:                              ;   in Loop: Header=BB4_576 Depth=1
	s_or_b64 exec, exec, s[22:23]
	v_mov_b32_e32 v29, v27
	v_lshl_add_u64 v[2:3], v[2:3], 0, v[28:29]
	s_branch .LBB4_651
.LBB4_648:                              ;   in Loop: Header=BB4_651 Depth=2
	s_or_b64 exec, exec, s[22:23]
	v_readfirstlane_b32 s15, v6
	s_cmp_eq_u32 s15, 0
	s_cbranch_scc1 .LBB4_650
; %bb.649:                              ;   in Loop: Header=BB4_651 Depth=2
	s_sleep 1
	s_cbranch_execnz .LBB4_651
	s_branch .LBB4_653
.LBB4_650:                              ;   in Loop: Header=BB4_576 Depth=1
	s_branch .LBB4_653
.LBB4_651:                              ;   Parent Loop BB4_576 Depth=1
                                        ; =>  This Inner Loop Header: Depth=2
	v_mov_b32_e32 v6, 1
	s_and_saveexec_b64 s[22:23], s[0:1]
	s_cbranch_execz .LBB4_648
; %bb.652:                              ;   in Loop: Header=BB4_651 Depth=2
	global_load_dword v6, v[30:31], off offset:20 sc0 sc1
	s_waitcnt vmcnt(0)
	buffer_inv sc0 sc1
	v_and_b32_e32 v6, 1, v6
	s_branch .LBB4_648
.LBB4_653:                              ;   in Loop: Header=BB4_576 Depth=1
	global_load_dwordx4 v[6:9], v[2:3], off
	s_and_saveexec_b64 s[22:23], s[0:1]
	s_cbranch_execz .LBB4_575
; %bb.654:                              ;   in Loop: Header=BB4_576 Depth=1
	global_load_dwordx2 v[2:3], v27, s[2:3] offset:40
	global_load_dwordx2 v[12:13], v27, s[2:3] offset:24 sc0 sc1
	global_load_dwordx2 v[14:15], v27, s[2:3]
	s_waitcnt vmcnt(2)
	v_lshl_add_u64 v[8:9], v[2:3], 0, 1
	v_lshl_add_u64 v[16:17], v[8:9], 0, s[20:21]
	v_cmp_eq_u64_e32 vcc, 0, v[16:17]
	s_waitcnt vmcnt(1)
	v_mov_b32_e32 v10, v12
	v_cndmask_b32_e32 v9, v17, v9, vcc
	v_cndmask_b32_e32 v8, v16, v8, vcc
	v_and_b32_e32 v3, v9, v3
	v_and_b32_e32 v2, v8, v2
	v_mul_lo_u32 v3, v3, 24
	v_mul_hi_u32 v11, v2, 24
	v_mul_lo_u32 v2, v2, 24
	v_add_u32_e32 v3, v11, v3
	s_waitcnt vmcnt(0)
	v_lshl_add_u64 v[2:3], v[14:15], 0, v[2:3]
	global_store_dwordx2 v[2:3], v[12:13], off
	v_mov_b32_e32 v11, v13
	buffer_wbl2 sc0 sc1
	s_waitcnt vmcnt(0)
	global_atomic_cmpswap_x2 v[10:11], v27, v[8:11], s[2:3] offset:24 sc0 sc1
	s_waitcnt vmcnt(0)
	v_cmp_ne_u64_e32 vcc, v[10:11], v[12:13]
	s_and_b64 exec, exec, vcc
	s_cbranch_execz .LBB4_575
; %bb.655:                              ;   in Loop: Header=BB4_576 Depth=1
	s_mov_b64 s[0:1], 0
.LBB4_656:                              ;   Parent Loop BB4_576 Depth=1
                                        ; =>  This Inner Loop Header: Depth=2
	s_sleep 1
	global_store_dwordx2 v[2:3], v[10:11], off
	buffer_wbl2 sc0 sc1
	s_waitcnt vmcnt(0)
	global_atomic_cmpswap_x2 v[12:13], v27, v[8:11], s[2:3] offset:24 sc0 sc1
	s_waitcnt vmcnt(0)
	v_cmp_eq_u64_e32 vcc, v[12:13], v[10:11]
	s_or_b64 s[0:1], vcc, s[0:1]
	v_mov_b64_e32 v[10:11], v[12:13]
	s_andn2_b64 exec, exec, s[0:1]
	s_cbranch_execnz .LBB4_656
	s_branch .LBB4_575
.LBB4_657:
	s_branch .LBB4_685
.LBB4_658:
	s_cbranch_execz .LBB4_685
; %bb.659:
	v_readfirstlane_b32 s0, v36
	s_waitcnt vmcnt(0)
	v_mov_b64_e32 v[8:9], 0
	v_cmp_eq_u32_e64 s[0:1], s0, v36
	s_and_saveexec_b64 s[10:11], s[0:1]
	s_cbranch_execz .LBB4_665
; %bb.660:
	v_mov_b32_e32 v2, 0
	global_load_dwordx2 v[6:7], v2, s[2:3] offset:24 sc0 sc1
	s_waitcnt vmcnt(0)
	buffer_inv sc0 sc1
	global_load_dwordx2 v[4:5], v2, s[2:3] offset:40
	global_load_dwordx2 v[8:9], v2, s[2:3]
	s_waitcnt vmcnt(1)
	v_and_b32_e32 v3, v4, v6
	v_and_b32_e32 v4, v5, v7
	v_mul_lo_u32 v4, v4, 24
	v_mul_hi_u32 v5, v3, 24
	v_add_u32_e32 v5, v5, v4
	v_mul_lo_u32 v4, v3, 24
	s_waitcnt vmcnt(0)
	v_lshl_add_u64 v[4:5], v[8:9], 0, v[4:5]
	global_load_dwordx2 v[4:5], v[4:5], off sc0 sc1
	s_waitcnt vmcnt(0)
	global_atomic_cmpswap_x2 v[8:9], v2, v[4:7], s[2:3] offset:24 sc0 sc1
	s_waitcnt vmcnt(0)
	buffer_inv sc0 sc1
	v_cmp_ne_u64_e32 vcc, v[8:9], v[6:7]
	s_and_saveexec_b64 s[16:17], vcc
	s_cbranch_execz .LBB4_664
; %bb.661:
	s_mov_b64 s[18:19], 0
.LBB4_662:                              ; =>This Inner Loop Header: Depth=1
	s_sleep 1
	global_load_dwordx2 v[4:5], v2, s[2:3] offset:40
	global_load_dwordx2 v[10:11], v2, s[2:3]
	v_mov_b64_e32 v[6:7], v[8:9]
	s_waitcnt vmcnt(1)
	v_and_b32_e32 v4, v4, v6
	v_and_b32_e32 v3, v5, v7
	s_waitcnt vmcnt(0)
	v_mad_u64_u32 v[4:5], s[20:21], v4, 24, v[10:11]
	v_mov_b32_e32 v8, v5
	v_mad_u64_u32 v[8:9], s[20:21], v3, 24, v[8:9]
	v_mov_b32_e32 v5, v8
	global_load_dwordx2 v[4:5], v[4:5], off sc0 sc1
	s_waitcnt vmcnt(0)
	global_atomic_cmpswap_x2 v[8:9], v2, v[4:7], s[2:3] offset:24 sc0 sc1
	s_waitcnt vmcnt(0)
	buffer_inv sc0 sc1
	v_cmp_eq_u64_e32 vcc, v[8:9], v[6:7]
	s_or_b64 s[18:19], vcc, s[18:19]
	s_andn2_b64 exec, exec, s[18:19]
	s_cbranch_execnz .LBB4_662
; %bb.663:
	s_or_b64 exec, exec, s[18:19]
.LBB4_664:
	s_or_b64 exec, exec, s[16:17]
.LBB4_665:
	s_or_b64 exec, exec, s[10:11]
	v_mov_b32_e32 v2, 0
	global_load_dwordx2 v[10:11], v2, s[2:3] offset:40
	global_load_dwordx4 v[4:7], v2, s[2:3]
	v_readfirstlane_b32 s10, v8
	v_readfirstlane_b32 s11, v9
	s_mov_b64 s[16:17], exec
	s_waitcnt vmcnt(1)
	v_readfirstlane_b32 s18, v10
	v_readfirstlane_b32 s19, v11
	s_and_b64 s[18:19], s[10:11], s[18:19]
	s_mul_i32 s15, s19, 24
	s_mul_hi_u32 s20, s18, 24
	s_add_i32 s21, s20, s15
	s_mul_i32 s20, s18, 24
	s_waitcnt vmcnt(0)
	v_lshl_add_u64 v[8:9], v[4:5], 0, s[20:21]
	s_and_saveexec_b64 s[20:21], s[0:1]
	s_cbranch_execz .LBB4_667
; %bb.666:
	v_mov_b64_e32 v[10:11], s[16:17]
	v_mov_b32_e32 v12, 2
	v_mov_b32_e32 v13, 1
	global_store_dwordx4 v[8:9], v[10:13], off offset:8
.LBB4_667:
	s_or_b64 exec, exec, s[20:21]
	s_lshl_b64 s[16:17], s[18:19], 12
	v_lshl_add_u64 v[6:7], v[6:7], 0, s[16:17]
	s_movk_i32 s15, 0xff1d
	s_mov_b32 s16, 0
	v_and_or_b32 v0, v0, s15, 34
	v_mov_b32_e32 v3, v2
	v_readfirstlane_b32 s20, v6
	v_readfirstlane_b32 s21, v7
	s_mov_b32 s17, s16
	s_mov_b32 s18, s16
	;; [unrolled: 1-line block ×3, first 2 shown]
	s_nop 1
	global_store_dwordx4 v28, v[0:3], s[20:21]
	s_nop 1
	v_mov_b64_e32 v[0:1], s[16:17]
	v_mov_b64_e32 v[2:3], s[18:19]
	global_store_dwordx4 v28, v[0:3], s[20:21] offset:16
	global_store_dwordx4 v28, v[0:3], s[20:21] offset:32
	;; [unrolled: 1-line block ×3, first 2 shown]
	s_and_saveexec_b64 s[16:17], s[0:1]
	s_cbranch_execz .LBB4_675
; %bb.668:
	v_mov_b32_e32 v6, 0
	global_load_dwordx2 v[12:13], v6, s[2:3] offset:32 sc0 sc1
	global_load_dwordx2 v[0:1], v6, s[2:3] offset:40
	v_mov_b32_e32 v10, s10
	v_mov_b32_e32 v11, s11
	s_waitcnt vmcnt(0)
	v_readfirstlane_b32 s18, v0
	v_readfirstlane_b32 s19, v1
	s_and_b64 s[18:19], s[18:19], s[10:11]
	s_mul_i32 s15, s19, 24
	s_mul_hi_u32 s19, s18, 24
	s_mul_i32 s18, s18, 24
	s_add_i32 s19, s19, s15
	v_lshl_add_u64 v[4:5], v[4:5], 0, s[18:19]
	global_store_dwordx2 v[4:5], v[12:13], off
	buffer_wbl2 sc0 sc1
	s_waitcnt vmcnt(0)
	global_atomic_cmpswap_x2 v[2:3], v6, v[10:13], s[2:3] offset:32 sc0 sc1
	s_waitcnt vmcnt(0)
	v_cmp_ne_u64_e32 vcc, v[2:3], v[12:13]
	s_and_saveexec_b64 s[18:19], vcc
	s_cbranch_execz .LBB4_671
; %bb.669:
	s_mov_b64 s[20:21], 0
.LBB4_670:                              ; =>This Inner Loop Header: Depth=1
	s_sleep 1
	global_store_dwordx2 v[4:5], v[2:3], off
	v_mov_b32_e32 v0, s10
	v_mov_b32_e32 v1, s11
	buffer_wbl2 sc0 sc1
	s_waitcnt vmcnt(0)
	global_atomic_cmpswap_x2 v[0:1], v6, v[0:3], s[2:3] offset:32 sc0 sc1
	s_waitcnt vmcnt(0)
	v_cmp_eq_u64_e32 vcc, v[0:1], v[2:3]
	s_or_b64 s[20:21], vcc, s[20:21]
	v_mov_b64_e32 v[2:3], v[0:1]
	s_andn2_b64 exec, exec, s[20:21]
	s_cbranch_execnz .LBB4_670
.LBB4_671:
	s_or_b64 exec, exec, s[18:19]
	v_mov_b32_e32 v3, 0
	global_load_dwordx2 v[0:1], v3, s[2:3] offset:16
	s_mov_b64 s[18:19], exec
	v_mbcnt_lo_u32_b32 v2, s18, 0
	v_mbcnt_hi_u32_b32 v2, s19, v2
	v_cmp_eq_u32_e32 vcc, 0, v2
	s_and_saveexec_b64 s[20:21], vcc
	s_cbranch_execz .LBB4_673
; %bb.672:
	s_bcnt1_i32_b64 s15, s[18:19]
	v_mov_b32_e32 v2, s15
	buffer_wbl2 sc0 sc1
	s_waitcnt vmcnt(0)
	global_atomic_add_x2 v[0:1], v[2:3], off offset:8 sc1
.LBB4_673:
	s_or_b64 exec, exec, s[20:21]
	s_waitcnt vmcnt(0)
	global_load_dwordx2 v[2:3], v[0:1], off offset:16
	s_waitcnt vmcnt(0)
	v_cmp_eq_u64_e32 vcc, 0, v[2:3]
	s_cbranch_vccnz .LBB4_675
; %bb.674:
	global_load_dword v0, v[0:1], off offset:24
	v_mov_b32_e32 v1, 0
	buffer_wbl2 sc0 sc1
	s_waitcnt vmcnt(0)
	global_store_dwordx2 v[2:3], v[0:1], off sc0 sc1
	v_and_b32_e32 v0, 0xffffff, v0
	s_nop 0
	v_readfirstlane_b32 m0, v0
	s_sendmsg sendmsg(MSG_INTERRUPT)
.LBB4_675:
	s_or_b64 exec, exec, s[16:17]
	s_branch .LBB4_679
.LBB4_676:                              ;   in Loop: Header=BB4_679 Depth=1
	s_or_b64 exec, exec, s[16:17]
	v_readfirstlane_b32 s15, v0
	s_cmp_eq_u32 s15, 0
	s_cbranch_scc1 .LBB4_678
; %bb.677:                              ;   in Loop: Header=BB4_679 Depth=1
	s_sleep 1
	s_cbranch_execnz .LBB4_679
	s_branch .LBB4_681
.LBB4_678:
	s_branch .LBB4_681
.LBB4_679:                              ; =>This Inner Loop Header: Depth=1
	v_mov_b32_e32 v0, 1
	s_and_saveexec_b64 s[16:17], s[0:1]
	s_cbranch_execz .LBB4_676
; %bb.680:                              ;   in Loop: Header=BB4_679 Depth=1
	global_load_dword v0, v[8:9], off offset:20 sc0 sc1
	s_waitcnt vmcnt(0)
	buffer_inv sc0 sc1
	v_and_b32_e32 v0, 1, v0
	s_branch .LBB4_676
.LBB4_681:
	s_and_saveexec_b64 s[16:17], s[0:1]
	s_cbranch_execz .LBB4_684
; %bb.682:
	v_mov_b32_e32 v6, 0
	global_load_dwordx2 v[4:5], v6, s[2:3] offset:40
	global_load_dwordx2 v[8:9], v6, s[2:3] offset:24 sc0 sc1
	global_load_dwordx2 v[10:11], v6, s[2:3]
	s_mov_b64 s[0:1], 0
	s_waitcnt vmcnt(2)
	v_lshl_add_u64 v[0:1], v[4:5], 0, 1
	v_lshl_add_u64 v[12:13], v[0:1], 0, s[10:11]
	v_cmp_eq_u64_e32 vcc, 0, v[12:13]
	s_waitcnt vmcnt(1)
	v_mov_b32_e32 v2, v8
	v_cndmask_b32_e32 v1, v13, v1, vcc
	v_cndmask_b32_e32 v0, v12, v0, vcc
	v_and_b32_e32 v3, v1, v5
	v_and_b32_e32 v4, v0, v4
	v_mul_lo_u32 v3, v3, 24
	v_mul_hi_u32 v5, v4, 24
	v_mul_lo_u32 v4, v4, 24
	v_add_u32_e32 v5, v5, v3
	s_waitcnt vmcnt(0)
	v_lshl_add_u64 v[4:5], v[10:11], 0, v[4:5]
	global_store_dwordx2 v[4:5], v[8:9], off
	v_mov_b32_e32 v3, v9
	buffer_wbl2 sc0 sc1
	s_waitcnt vmcnt(0)
	global_atomic_cmpswap_x2 v[2:3], v6, v[0:3], s[2:3] offset:24 sc0 sc1
	s_waitcnt vmcnt(0)
	v_cmp_ne_u64_e32 vcc, v[2:3], v[8:9]
	s_and_b64 exec, exec, vcc
	s_cbranch_execz .LBB4_684
.LBB4_683:                              ; =>This Inner Loop Header: Depth=1
	s_sleep 1
	global_store_dwordx2 v[4:5], v[2:3], off
	buffer_wbl2 sc0 sc1
	s_waitcnt vmcnt(0)
	global_atomic_cmpswap_x2 v[8:9], v6, v[0:3], s[2:3] offset:24 sc0 sc1
	s_waitcnt vmcnt(0)
	v_cmp_eq_u64_e32 vcc, v[8:9], v[2:3]
	s_or_b64 s[0:1], vcc, s[0:1]
	v_mov_b64_e32 v[2:3], v[8:9]
	s_andn2_b64 exec, exec, s[0:1]
	s_cbranch_execnz .LBB4_683
.LBB4_684:
	s_or_b64 exec, exec, s[16:17]
.LBB4_685:
	v_readfirstlane_b32 s0, v36
	s_waitcnt vmcnt(0)
	v_mov_b64_e32 v[4:5], 0
	v_cmp_eq_u32_e64 s[0:1], s0, v36
	s_and_saveexec_b64 s[10:11], s[0:1]
	s_cbranch_execz .LBB4_691
; %bb.686:
	v_mov_b32_e32 v0, 0
	global_load_dwordx2 v[6:7], v0, s[2:3] offset:24 sc0 sc1
	s_waitcnt vmcnt(0)
	buffer_inv sc0 sc1
	global_load_dwordx2 v[2:3], v0, s[2:3] offset:40
	global_load_dwordx2 v[4:5], v0, s[2:3]
	s_waitcnt vmcnt(1)
	v_and_b32_e32 v1, v2, v6
	v_and_b32_e32 v2, v3, v7
	v_mul_lo_u32 v2, v2, 24
	v_mul_hi_u32 v3, v1, 24
	v_add_u32_e32 v3, v3, v2
	v_mul_lo_u32 v2, v1, 24
	s_waitcnt vmcnt(0)
	v_lshl_add_u64 v[2:3], v[4:5], 0, v[2:3]
	global_load_dwordx2 v[4:5], v[2:3], off sc0 sc1
	s_waitcnt vmcnt(0)
	global_atomic_cmpswap_x2 v[4:5], v0, v[4:7], s[2:3] offset:24 sc0 sc1
	s_waitcnt vmcnt(0)
	buffer_inv sc0 sc1
	v_cmp_ne_u64_e32 vcc, v[4:5], v[6:7]
	s_and_saveexec_b64 s[16:17], vcc
	s_cbranch_execz .LBB4_690
; %bb.687:
	s_mov_b64 s[18:19], 0
.LBB4_688:                              ; =>This Inner Loop Header: Depth=1
	s_sleep 1
	global_load_dwordx2 v[2:3], v0, s[2:3] offset:40
	global_load_dwordx2 v[8:9], v0, s[2:3]
	v_mov_b64_e32 v[6:7], v[4:5]
	s_waitcnt vmcnt(1)
	v_and_b32_e32 v2, v2, v6
	v_and_b32_e32 v1, v3, v7
	s_waitcnt vmcnt(0)
	v_mad_u64_u32 v[2:3], s[20:21], v2, 24, v[8:9]
	v_mov_b32_e32 v4, v3
	v_mad_u64_u32 v[4:5], s[20:21], v1, 24, v[4:5]
	v_mov_b32_e32 v3, v4
	global_load_dwordx2 v[4:5], v[2:3], off sc0 sc1
	s_waitcnt vmcnt(0)
	global_atomic_cmpswap_x2 v[4:5], v0, v[4:7], s[2:3] offset:24 sc0 sc1
	s_waitcnt vmcnt(0)
	buffer_inv sc0 sc1
	v_cmp_eq_u64_e32 vcc, v[4:5], v[6:7]
	s_or_b64 s[18:19], vcc, s[18:19]
	s_andn2_b64 exec, exec, s[18:19]
	s_cbranch_execnz .LBB4_688
; %bb.689:
	s_or_b64 exec, exec, s[18:19]
.LBB4_690:
	s_or_b64 exec, exec, s[16:17]
.LBB4_691:
	s_or_b64 exec, exec, s[10:11]
	v_mov_b32_e32 v29, 0
	global_load_dwordx2 v[6:7], v29, s[2:3] offset:40
	global_load_dwordx4 v[0:3], v29, s[2:3]
	v_readfirstlane_b32 s10, v4
	v_readfirstlane_b32 s11, v5
	s_mov_b64 s[16:17], exec
	s_waitcnt vmcnt(1)
	v_readfirstlane_b32 s18, v6
	v_readfirstlane_b32 s19, v7
	s_and_b64 s[18:19], s[10:11], s[18:19]
	s_mul_i32 s15, s19, 24
	s_mul_hi_u32 s20, s18, 24
	s_add_i32 s21, s20, s15
	s_mul_i32 s20, s18, 24
	s_waitcnt vmcnt(0)
	v_lshl_add_u64 v[4:5], v[0:1], 0, s[20:21]
	s_and_saveexec_b64 s[20:21], s[0:1]
	s_cbranch_execz .LBB4_693
; %bb.692:
	v_mov_b64_e32 v[6:7], s[16:17]
	v_mov_b32_e32 v8, 2
	v_mov_b32_e32 v9, 1
	global_store_dwordx4 v[4:5], v[6:9], off offset:8
.LBB4_693:
	s_or_b64 exec, exec, s[20:21]
	s_lshl_b64 s[16:17], s[18:19], 12
	v_lshl_add_u64 v[6:7], v[2:3], 0, s[16:17]
	s_mov_b32 s16, 0
	v_mov_b32_e32 v8, 33
	v_mov_b32_e32 v9, v29
	;; [unrolled: 1-line block ×4, first 2 shown]
	v_readfirstlane_b32 s20, v6
	v_readfirstlane_b32 s21, v7
	s_mov_b32 s17, s16
	s_mov_b32 s18, s16
	;; [unrolled: 1-line block ×3, first 2 shown]
	s_nop 1
	global_store_dwordx4 v28, v[8:11], s[20:21]
	s_nop 1
	v_mov_b64_e32 v[8:9], s[16:17]
	v_mov_b64_e32 v[10:11], s[18:19]
	global_store_dwordx4 v28, v[8:11], s[20:21] offset:16
	global_store_dwordx4 v28, v[8:11], s[20:21] offset:32
	;; [unrolled: 1-line block ×3, first 2 shown]
	s_and_saveexec_b64 s[16:17], s[0:1]
	s_cbranch_execz .LBB4_701
; %bb.694:
	v_mov_b32_e32 v10, 0
	global_load_dwordx2 v[14:15], v10, s[2:3] offset:32 sc0 sc1
	global_load_dwordx2 v[2:3], v10, s[2:3] offset:40
	v_mov_b32_e32 v12, s10
	v_mov_b32_e32 v13, s11
	s_waitcnt vmcnt(0)
	v_readfirstlane_b32 s18, v2
	v_readfirstlane_b32 s19, v3
	s_and_b64 s[18:19], s[18:19], s[10:11]
	s_mul_i32 s15, s19, 24
	s_mul_hi_u32 s19, s18, 24
	s_mul_i32 s18, s18, 24
	s_add_i32 s19, s19, s15
	v_lshl_add_u64 v[8:9], v[0:1], 0, s[18:19]
	global_store_dwordx2 v[8:9], v[14:15], off
	buffer_wbl2 sc0 sc1
	s_waitcnt vmcnt(0)
	global_atomic_cmpswap_x2 v[2:3], v10, v[12:15], s[2:3] offset:32 sc0 sc1
	s_waitcnt vmcnt(0)
	v_cmp_ne_u64_e32 vcc, v[2:3], v[14:15]
	s_and_saveexec_b64 s[18:19], vcc
	s_cbranch_execz .LBB4_697
; %bb.695:
	s_mov_b64 s[20:21], 0
.LBB4_696:                              ; =>This Inner Loop Header: Depth=1
	s_sleep 1
	global_store_dwordx2 v[8:9], v[2:3], off
	v_mov_b32_e32 v0, s10
	v_mov_b32_e32 v1, s11
	buffer_wbl2 sc0 sc1
	s_waitcnt vmcnt(0)
	global_atomic_cmpswap_x2 v[0:1], v10, v[0:3], s[2:3] offset:32 sc0 sc1
	s_waitcnt vmcnt(0)
	v_cmp_eq_u64_e32 vcc, v[0:1], v[2:3]
	s_or_b64 s[20:21], vcc, s[20:21]
	v_mov_b64_e32 v[2:3], v[0:1]
	s_andn2_b64 exec, exec, s[20:21]
	s_cbranch_execnz .LBB4_696
.LBB4_697:
	s_or_b64 exec, exec, s[18:19]
	v_mov_b32_e32 v3, 0
	global_load_dwordx2 v[0:1], v3, s[2:3] offset:16
	s_mov_b64 s[18:19], exec
	v_mbcnt_lo_u32_b32 v2, s18, 0
	v_mbcnt_hi_u32_b32 v2, s19, v2
	v_cmp_eq_u32_e32 vcc, 0, v2
	s_and_saveexec_b64 s[20:21], vcc
	s_cbranch_execz .LBB4_699
; %bb.698:
	s_bcnt1_i32_b64 s15, s[18:19]
	v_mov_b32_e32 v2, s15
	buffer_wbl2 sc0 sc1
	s_waitcnt vmcnt(0)
	global_atomic_add_x2 v[0:1], v[2:3], off offset:8 sc1
.LBB4_699:
	s_or_b64 exec, exec, s[20:21]
	s_waitcnt vmcnt(0)
	global_load_dwordx2 v[2:3], v[0:1], off offset:16
	s_waitcnt vmcnt(0)
	v_cmp_eq_u64_e32 vcc, 0, v[2:3]
	s_cbranch_vccnz .LBB4_701
; %bb.700:
	global_load_dword v0, v[0:1], off offset:24
	v_mov_b32_e32 v1, 0
	buffer_wbl2 sc0 sc1
	s_waitcnt vmcnt(0)
	global_store_dwordx2 v[2:3], v[0:1], off sc0 sc1
	v_and_b32_e32 v0, 0xffffff, v0
	s_nop 0
	v_readfirstlane_b32 m0, v0
	s_sendmsg sendmsg(MSG_INTERRUPT)
.LBB4_701:
	s_or_b64 exec, exec, s[16:17]
	v_lshl_add_u64 v[0:1], v[6:7], 0, v[28:29]
	s_branch .LBB4_705
.LBB4_702:                              ;   in Loop: Header=BB4_705 Depth=1
	s_or_b64 exec, exec, s[16:17]
	v_readfirstlane_b32 s15, v2
	s_cmp_eq_u32 s15, 0
	s_cbranch_scc1 .LBB4_704
; %bb.703:                              ;   in Loop: Header=BB4_705 Depth=1
	s_sleep 1
	s_cbranch_execnz .LBB4_705
	s_branch .LBB4_707
.LBB4_704:
	s_branch .LBB4_707
.LBB4_705:                              ; =>This Inner Loop Header: Depth=1
	v_mov_b32_e32 v2, 1
	s_and_saveexec_b64 s[16:17], s[0:1]
	s_cbranch_execz .LBB4_702
; %bb.706:                              ;   in Loop: Header=BB4_705 Depth=1
	global_load_dword v2, v[4:5], off offset:20 sc0 sc1
	s_waitcnt vmcnt(0)
	buffer_inv sc0 sc1
	v_and_b32_e32 v2, 1, v2
	s_branch .LBB4_702
.LBB4_707:
	global_load_dwordx2 v[0:1], v[0:1], off
	s_and_saveexec_b64 s[16:17], s[0:1]
	s_cbranch_execz .LBB4_710
; %bb.708:
	v_mov_b32_e32 v8, 0
	global_load_dwordx2 v[6:7], v8, s[2:3] offset:40
	global_load_dwordx2 v[10:11], v8, s[2:3] offset:24 sc0 sc1
	global_load_dwordx2 v[12:13], v8, s[2:3]
	s_mov_b64 s[0:1], 0
	s_waitcnt vmcnt(2)
	v_lshl_add_u64 v[2:3], v[6:7], 0, 1
	v_lshl_add_u64 v[14:15], v[2:3], 0, s[10:11]
	v_cmp_eq_u64_e32 vcc, 0, v[14:15]
	s_waitcnt vmcnt(1)
	v_mov_b32_e32 v4, v10
	v_cndmask_b32_e32 v3, v15, v3, vcc
	v_cndmask_b32_e32 v2, v14, v2, vcc
	v_and_b32_e32 v5, v3, v7
	v_and_b32_e32 v6, v2, v6
	v_mul_lo_u32 v5, v5, 24
	v_mul_hi_u32 v7, v6, 24
	v_mul_lo_u32 v6, v6, 24
	v_add_u32_e32 v7, v7, v5
	s_waitcnt vmcnt(0)
	v_lshl_add_u64 v[6:7], v[12:13], 0, v[6:7]
	global_store_dwordx2 v[6:7], v[10:11], off
	v_mov_b32_e32 v5, v11
	buffer_wbl2 sc0 sc1
	s_waitcnt vmcnt(0)
	global_atomic_cmpswap_x2 v[4:5], v8, v[2:5], s[2:3] offset:24 sc0 sc1
	s_waitcnt vmcnt(0)
	v_cmp_ne_u64_e32 vcc, v[4:5], v[10:11]
	s_and_b64 exec, exec, vcc
	s_cbranch_execz .LBB4_710
.LBB4_709:                              ; =>This Inner Loop Header: Depth=1
	s_sleep 1
	global_store_dwordx2 v[6:7], v[4:5], off
	buffer_wbl2 sc0 sc1
	s_waitcnt vmcnt(0)
	global_atomic_cmpswap_x2 v[10:11], v8, v[2:5], s[2:3] offset:24 sc0 sc1
	s_waitcnt vmcnt(0)
	v_cmp_eq_u64_e32 vcc, v[10:11], v[4:5]
	s_or_b64 s[0:1], vcc, s[0:1]
	v_mov_b64_e32 v[4:5], v[10:11]
	s_andn2_b64 exec, exec, s[0:1]
	s_cbranch_execnz .LBB4_709
.LBB4_710:
	s_or_b64 exec, exec, s[16:17]
	s_and_b64 vcc, exec, s[6:7]
	s_cbranch_vccz .LBB4_795
; %bb.711:
	s_waitcnt vmcnt(0)
	v_and_b32_e32 v30, 2, v0
	v_mov_b32_e32 v33, 0
	v_and_b32_e32 v2, -3, v0
	v_mov_b32_e32 v3, v1
	s_mov_b64 s[16:17], 3
	v_mov_b32_e32 v6, 2
	v_mov_b32_e32 v7, 1
	s_getpc_b64 s[10:11]
	s_add_u32 s10, s10, .str.6@rel32@lo+4
	s_addc_u32 s11, s11, .str.6@rel32@hi+12
	s_branch .LBB4_713
.LBB4_712:                              ;   in Loop: Header=BB4_713 Depth=1
	s_or_b64 exec, exec, s[22:23]
	s_sub_u32 s16, s16, s18
	s_subb_u32 s17, s17, s19
	s_add_u32 s10, s10, s18
	s_addc_u32 s11, s11, s19
	s_cmp_lg_u64 s[16:17], 0
	s_cbranch_scc0 .LBB4_794
.LBB4_713:                              ; =>This Loop Header: Depth=1
                                        ;     Child Loop BB4_716 Depth 2
                                        ;     Child Loop BB4_723 Depth 2
	;; [unrolled: 1-line block ×11, first 2 shown]
	v_cmp_lt_u64_e64 s[0:1], s[16:17], 56
	s_and_b64 s[0:1], s[0:1], exec
	v_cmp_gt_u64_e64 s[0:1], s[16:17], 7
	s_cselect_b32 s19, s17, 0
	s_cselect_b32 s18, s16, 56
	s_and_b64 vcc, exec, s[0:1]
	s_cbranch_vccnz .LBB4_718
; %bb.714:                              ;   in Loop: Header=BB4_713 Depth=1
	s_mov_b64 s[0:1], 0
	s_cmp_eq_u64 s[16:17], 0
	v_mov_b64_e32 v[10:11], 0
	s_cbranch_scc1 .LBB4_717
; %bb.715:                              ;   in Loop: Header=BB4_713 Depth=1
	s_lshl_b64 s[20:21], s[18:19], 3
	s_mov_b64 s[22:23], 0
	v_mov_b64_e32 v[10:11], 0
	s_mov_b64 s[24:25], s[10:11]
.LBB4_716:                              ;   Parent Loop BB4_713 Depth=1
                                        ; =>  This Inner Loop Header: Depth=2
	global_load_ubyte v4, v33, s[24:25]
	s_waitcnt vmcnt(0)
	v_and_b32_e32 v32, 0xffff, v4
	v_lshlrev_b64 v[4:5], s22, v[32:33]
	s_add_u32 s22, s22, 8
	s_addc_u32 s23, s23, 0
	s_add_u32 s24, s24, 1
	s_addc_u32 s25, s25, 0
	v_or_b32_e32 v10, v4, v10
	s_cmp_lg_u32 s20, s22
	v_or_b32_e32 v11, v5, v11
	s_cbranch_scc1 .LBB4_716
.LBB4_717:                              ;   in Loop: Header=BB4_713 Depth=1
	s_mov_b32 s15, 0
	s_andn2_b64 vcc, exec, s[0:1]
	s_mov_b64 s[0:1], s[10:11]
	s_cbranch_vccz .LBB4_719
	s_branch .LBB4_720
.LBB4_718:                              ;   in Loop: Header=BB4_713 Depth=1
                                        ; implicit-def: $vgpr10_vgpr11
                                        ; implicit-def: $sgpr15
	s_mov_b64 s[0:1], s[10:11]
.LBB4_719:                              ;   in Loop: Header=BB4_713 Depth=1
	global_load_dwordx2 v[10:11], v33, s[10:11]
	s_add_i32 s15, s18, -8
	s_add_u32 s0, s10, 8
	s_addc_u32 s1, s11, 0
.LBB4_720:                              ;   in Loop: Header=BB4_713 Depth=1
	s_cmp_gt_u32 s15, 7
	s_cbranch_scc1 .LBB4_724
; %bb.721:                              ;   in Loop: Header=BB4_713 Depth=1
	s_cmp_eq_u32 s15, 0
	s_cbranch_scc1 .LBB4_725
; %bb.722:                              ;   in Loop: Header=BB4_713 Depth=1
	s_mov_b64 s[20:21], 0
	v_mov_b64_e32 v[12:13], 0
	s_mov_b64 s[22:23], 0
.LBB4_723:                              ;   Parent Loop BB4_713 Depth=1
                                        ; =>  This Inner Loop Header: Depth=2
	s_add_u32 s24, s0, s22
	s_addc_u32 s25, s1, s23
	global_load_ubyte v4, v33, s[24:25]
	s_add_u32 s22, s22, 1
	s_addc_u32 s23, s23, 0
	s_waitcnt vmcnt(0)
	v_and_b32_e32 v32, 0xffff, v4
	v_lshlrev_b64 v[4:5], s20, v[32:33]
	s_add_u32 s20, s20, 8
	s_addc_u32 s21, s21, 0
	v_or_b32_e32 v12, v4, v12
	s_cmp_lg_u32 s15, s22
	v_or_b32_e32 v13, v5, v13
	s_cbranch_scc1 .LBB4_723
	s_branch .LBB4_726
.LBB4_724:                              ;   in Loop: Header=BB4_713 Depth=1
                                        ; implicit-def: $vgpr12_vgpr13
                                        ; implicit-def: $sgpr24
	s_branch .LBB4_727
.LBB4_725:                              ;   in Loop: Header=BB4_713 Depth=1
	v_mov_b64_e32 v[12:13], 0
.LBB4_726:                              ;   in Loop: Header=BB4_713 Depth=1
	s_mov_b32 s24, 0
	s_cbranch_execnz .LBB4_728
.LBB4_727:                              ;   in Loop: Header=BB4_713 Depth=1
	global_load_dwordx2 v[12:13], v33, s[0:1]
	s_add_i32 s24, s15, -8
	s_add_u32 s0, s0, 8
	s_addc_u32 s1, s1, 0
.LBB4_728:                              ;   in Loop: Header=BB4_713 Depth=1
	s_cmp_gt_u32 s24, 7
	s_cbranch_scc1 .LBB4_732
; %bb.729:                              ;   in Loop: Header=BB4_713 Depth=1
	s_cmp_eq_u32 s24, 0
	s_cbranch_scc1 .LBB4_733
; %bb.730:                              ;   in Loop: Header=BB4_713 Depth=1
	s_mov_b64 s[20:21], 0
	v_mov_b64_e32 v[14:15], 0
	s_mov_b64 s[22:23], 0
.LBB4_731:                              ;   Parent Loop BB4_713 Depth=1
                                        ; =>  This Inner Loop Header: Depth=2
	s_add_u32 s26, s0, s22
	s_addc_u32 s27, s1, s23
	global_load_ubyte v4, v33, s[26:27]
	s_add_u32 s22, s22, 1
	s_addc_u32 s23, s23, 0
	s_waitcnt vmcnt(0)
	v_and_b32_e32 v32, 0xffff, v4
	v_lshlrev_b64 v[4:5], s20, v[32:33]
	s_add_u32 s20, s20, 8
	s_addc_u32 s21, s21, 0
	v_or_b32_e32 v14, v4, v14
	s_cmp_lg_u32 s24, s22
	v_or_b32_e32 v15, v5, v15
	s_cbranch_scc1 .LBB4_731
	s_branch .LBB4_734
.LBB4_732:                              ;   in Loop: Header=BB4_713 Depth=1
                                        ; implicit-def: $sgpr15
	s_branch .LBB4_735
.LBB4_733:                              ;   in Loop: Header=BB4_713 Depth=1
	v_mov_b64_e32 v[14:15], 0
.LBB4_734:                              ;   in Loop: Header=BB4_713 Depth=1
	s_mov_b32 s15, 0
	s_cbranch_execnz .LBB4_736
.LBB4_735:                              ;   in Loop: Header=BB4_713 Depth=1
	global_load_dwordx2 v[14:15], v33, s[0:1]
	s_add_i32 s15, s24, -8
	s_add_u32 s0, s0, 8
	s_addc_u32 s1, s1, 0
.LBB4_736:                              ;   in Loop: Header=BB4_713 Depth=1
	s_cmp_gt_u32 s15, 7
	s_cbranch_scc1 .LBB4_740
; %bb.737:                              ;   in Loop: Header=BB4_713 Depth=1
	s_cmp_eq_u32 s15, 0
	s_cbranch_scc1 .LBB4_741
; %bb.738:                              ;   in Loop: Header=BB4_713 Depth=1
	s_mov_b64 s[20:21], 0
	v_mov_b64_e32 v[16:17], 0
	s_mov_b64 s[22:23], 0
.LBB4_739:                              ;   Parent Loop BB4_713 Depth=1
                                        ; =>  This Inner Loop Header: Depth=2
	s_add_u32 s24, s0, s22
	s_addc_u32 s25, s1, s23
	global_load_ubyte v4, v33, s[24:25]
	s_add_u32 s22, s22, 1
	s_addc_u32 s23, s23, 0
	s_waitcnt vmcnt(0)
	v_and_b32_e32 v32, 0xffff, v4
	v_lshlrev_b64 v[4:5], s20, v[32:33]
	s_add_u32 s20, s20, 8
	s_addc_u32 s21, s21, 0
	v_or_b32_e32 v16, v4, v16
	s_cmp_lg_u32 s15, s22
	v_or_b32_e32 v17, v5, v17
	s_cbranch_scc1 .LBB4_739
	s_branch .LBB4_742
.LBB4_740:                              ;   in Loop: Header=BB4_713 Depth=1
                                        ; implicit-def: $vgpr16_vgpr17
                                        ; implicit-def: $sgpr24
	s_branch .LBB4_743
.LBB4_741:                              ;   in Loop: Header=BB4_713 Depth=1
	v_mov_b64_e32 v[16:17], 0
.LBB4_742:                              ;   in Loop: Header=BB4_713 Depth=1
	s_mov_b32 s24, 0
	s_cbranch_execnz .LBB4_744
.LBB4_743:                              ;   in Loop: Header=BB4_713 Depth=1
	global_load_dwordx2 v[16:17], v33, s[0:1]
	s_add_i32 s24, s15, -8
	s_add_u32 s0, s0, 8
	s_addc_u32 s1, s1, 0
.LBB4_744:                              ;   in Loop: Header=BB4_713 Depth=1
	s_cmp_gt_u32 s24, 7
	s_cbranch_scc1 .LBB4_748
; %bb.745:                              ;   in Loop: Header=BB4_713 Depth=1
	s_cmp_eq_u32 s24, 0
	s_cbranch_scc1 .LBB4_749
; %bb.746:                              ;   in Loop: Header=BB4_713 Depth=1
	s_mov_b64 s[20:21], 0
	v_mov_b64_e32 v[18:19], 0
	s_mov_b64 s[22:23], 0
.LBB4_747:                              ;   Parent Loop BB4_713 Depth=1
                                        ; =>  This Inner Loop Header: Depth=2
	s_add_u32 s26, s0, s22
	s_addc_u32 s27, s1, s23
	global_load_ubyte v4, v33, s[26:27]
	s_add_u32 s22, s22, 1
	s_addc_u32 s23, s23, 0
	s_waitcnt vmcnt(0)
	v_and_b32_e32 v32, 0xffff, v4
	v_lshlrev_b64 v[4:5], s20, v[32:33]
	s_add_u32 s20, s20, 8
	s_addc_u32 s21, s21, 0
	v_or_b32_e32 v18, v4, v18
	s_cmp_lg_u32 s24, s22
	v_or_b32_e32 v19, v5, v19
	s_cbranch_scc1 .LBB4_747
	s_branch .LBB4_750
.LBB4_748:                              ;   in Loop: Header=BB4_713 Depth=1
                                        ; implicit-def: $sgpr15
	s_branch .LBB4_751
.LBB4_749:                              ;   in Loop: Header=BB4_713 Depth=1
	v_mov_b64_e32 v[18:19], 0
.LBB4_750:                              ;   in Loop: Header=BB4_713 Depth=1
	s_mov_b32 s15, 0
	s_cbranch_execnz .LBB4_752
.LBB4_751:                              ;   in Loop: Header=BB4_713 Depth=1
	global_load_dwordx2 v[18:19], v33, s[0:1]
	s_add_i32 s15, s24, -8
	s_add_u32 s0, s0, 8
	s_addc_u32 s1, s1, 0
.LBB4_752:                              ;   in Loop: Header=BB4_713 Depth=1
	s_cmp_gt_u32 s15, 7
	s_cbranch_scc1 .LBB4_756
; %bb.753:                              ;   in Loop: Header=BB4_713 Depth=1
	s_cmp_eq_u32 s15, 0
	s_cbranch_scc1 .LBB4_757
; %bb.754:                              ;   in Loop: Header=BB4_713 Depth=1
	s_mov_b64 s[20:21], 0
	v_mov_b64_e32 v[20:21], 0
	s_mov_b64 s[22:23], 0
.LBB4_755:                              ;   Parent Loop BB4_713 Depth=1
                                        ; =>  This Inner Loop Header: Depth=2
	s_add_u32 s24, s0, s22
	s_addc_u32 s25, s1, s23
	global_load_ubyte v4, v33, s[24:25]
	s_add_u32 s22, s22, 1
	s_addc_u32 s23, s23, 0
	s_waitcnt vmcnt(0)
	v_and_b32_e32 v32, 0xffff, v4
	v_lshlrev_b64 v[4:5], s20, v[32:33]
	s_add_u32 s20, s20, 8
	s_addc_u32 s21, s21, 0
	v_or_b32_e32 v20, v4, v20
	s_cmp_lg_u32 s15, s22
	v_or_b32_e32 v21, v5, v21
	s_cbranch_scc1 .LBB4_755
	s_branch .LBB4_758
.LBB4_756:                              ;   in Loop: Header=BB4_713 Depth=1
                                        ; implicit-def: $vgpr20_vgpr21
                                        ; implicit-def: $sgpr24
	s_branch .LBB4_759
.LBB4_757:                              ;   in Loop: Header=BB4_713 Depth=1
	v_mov_b64_e32 v[20:21], 0
.LBB4_758:                              ;   in Loop: Header=BB4_713 Depth=1
	s_mov_b32 s24, 0
	s_cbranch_execnz .LBB4_760
.LBB4_759:                              ;   in Loop: Header=BB4_713 Depth=1
	global_load_dwordx2 v[20:21], v33, s[0:1]
	s_add_i32 s24, s15, -8
	s_add_u32 s0, s0, 8
	s_addc_u32 s1, s1, 0
.LBB4_760:                              ;   in Loop: Header=BB4_713 Depth=1
	s_cmp_gt_u32 s24, 7
	s_cbranch_scc1 .LBB4_764
; %bb.761:                              ;   in Loop: Header=BB4_713 Depth=1
	s_cmp_eq_u32 s24, 0
	s_cbranch_scc1 .LBB4_765
; %bb.762:                              ;   in Loop: Header=BB4_713 Depth=1
	s_mov_b64 s[20:21], 0
	v_mov_b64_e32 v[22:23], 0
	s_mov_b64 s[22:23], s[0:1]
.LBB4_763:                              ;   Parent Loop BB4_713 Depth=1
                                        ; =>  This Inner Loop Header: Depth=2
	global_load_ubyte v4, v33, s[22:23]
	s_add_i32 s24, s24, -1
	s_waitcnt vmcnt(0)
	v_and_b32_e32 v32, 0xffff, v4
	v_lshlrev_b64 v[4:5], s20, v[32:33]
	s_add_u32 s20, s20, 8
	s_addc_u32 s21, s21, 0
	s_add_u32 s22, s22, 1
	s_addc_u32 s23, s23, 0
	v_or_b32_e32 v22, v4, v22
	s_cmp_lg_u32 s24, 0
	v_or_b32_e32 v23, v5, v23
	s_cbranch_scc1 .LBB4_763
	s_branch .LBB4_766
.LBB4_764:                              ;   in Loop: Header=BB4_713 Depth=1
	s_branch .LBB4_767
.LBB4_765:                              ;   in Loop: Header=BB4_713 Depth=1
	v_mov_b64_e32 v[22:23], 0
.LBB4_766:                              ;   in Loop: Header=BB4_713 Depth=1
	s_cbranch_execnz .LBB4_768
.LBB4_767:                              ;   in Loop: Header=BB4_713 Depth=1
	global_load_dwordx2 v[22:23], v33, s[0:1]
.LBB4_768:                              ;   in Loop: Header=BB4_713 Depth=1
	v_readfirstlane_b32 s0, v36
	s_waitcnt vmcnt(0)
	v_mov_b64_e32 v[4:5], 0
	v_cmp_eq_u32_e64 s[0:1], s0, v36
	s_and_saveexec_b64 s[20:21], s[0:1]
	s_cbranch_execz .LBB4_774
; %bb.769:                              ;   in Loop: Header=BB4_713 Depth=1
	global_load_dwordx2 v[26:27], v33, s[2:3] offset:24 sc0 sc1
	s_waitcnt vmcnt(0)
	buffer_inv sc0 sc1
	global_load_dwordx2 v[4:5], v33, s[2:3] offset:40
	global_load_dwordx2 v[8:9], v33, s[2:3]
	s_waitcnt vmcnt(1)
	v_and_b32_e32 v4, v4, v26
	v_and_b32_e32 v5, v5, v27
	v_mul_lo_u32 v5, v5, 24
	v_mul_hi_u32 v24, v4, 24
	v_add_u32_e32 v5, v24, v5
	v_mul_lo_u32 v4, v4, 24
	s_waitcnt vmcnt(0)
	v_lshl_add_u64 v[4:5], v[8:9], 0, v[4:5]
	global_load_dwordx2 v[24:25], v[4:5], off sc0 sc1
	s_waitcnt vmcnt(0)
	global_atomic_cmpswap_x2 v[4:5], v33, v[24:27], s[2:3] offset:24 sc0 sc1
	s_waitcnt vmcnt(0)
	buffer_inv sc0 sc1
	v_cmp_ne_u64_e32 vcc, v[4:5], v[26:27]
	s_and_saveexec_b64 s[22:23], vcc
	s_cbranch_execz .LBB4_773
; %bb.770:                              ;   in Loop: Header=BB4_713 Depth=1
	s_mov_b64 s[24:25], 0
.LBB4_771:                              ;   Parent Loop BB4_713 Depth=1
                                        ; =>  This Inner Loop Header: Depth=2
	s_sleep 1
	global_load_dwordx2 v[8:9], v33, s[2:3] offset:40
	global_load_dwordx2 v[24:25], v33, s[2:3]
	v_mov_b64_e32 v[26:27], v[4:5]
	s_waitcnt vmcnt(1)
	v_and_b32_e32 v4, v8, v26
	s_waitcnt vmcnt(0)
	v_mad_u64_u32 v[4:5], s[26:27], v4, 24, v[24:25]
	v_and_b32_e32 v9, v9, v27
	v_mov_b32_e32 v8, v5
	v_mad_u64_u32 v[8:9], s[26:27], v9, 24, v[8:9]
	v_mov_b32_e32 v5, v8
	global_load_dwordx2 v[24:25], v[4:5], off sc0 sc1
	s_waitcnt vmcnt(0)
	global_atomic_cmpswap_x2 v[4:5], v33, v[24:27], s[2:3] offset:24 sc0 sc1
	s_waitcnt vmcnt(0)
	buffer_inv sc0 sc1
	v_cmp_eq_u64_e32 vcc, v[4:5], v[26:27]
	s_or_b64 s[24:25], vcc, s[24:25]
	s_andn2_b64 exec, exec, s[24:25]
	s_cbranch_execnz .LBB4_771
; %bb.772:                              ;   in Loop: Header=BB4_713 Depth=1
	s_or_b64 exec, exec, s[24:25]
.LBB4_773:                              ;   in Loop: Header=BB4_713 Depth=1
	s_or_b64 exec, exec, s[22:23]
.LBB4_774:                              ;   in Loop: Header=BB4_713 Depth=1
	s_or_b64 exec, exec, s[20:21]
	global_load_dwordx2 v[8:9], v33, s[2:3] offset:40
	global_load_dwordx4 v[24:27], v33, s[2:3]
	v_readfirstlane_b32 s20, v4
	v_readfirstlane_b32 s21, v5
	s_mov_b64 s[22:23], exec
	s_waitcnt vmcnt(1)
	v_readfirstlane_b32 s24, v8
	v_readfirstlane_b32 s25, v9
	s_and_b64 s[24:25], s[20:21], s[24:25]
	s_mul_i32 s15, s25, 24
	s_mul_hi_u32 s26, s24, 24
	s_add_i32 s27, s26, s15
	s_mul_i32 s26, s24, 24
	s_waitcnt vmcnt(0)
	v_lshl_add_u64 v[34:35], v[24:25], 0, s[26:27]
	s_and_saveexec_b64 s[26:27], s[0:1]
	s_cbranch_execz .LBB4_776
; %bb.775:                              ;   in Loop: Header=BB4_713 Depth=1
	v_mov_b64_e32 v[4:5], s[22:23]
	global_store_dwordx4 v[34:35], v[4:7], off offset:8
.LBB4_776:                              ;   in Loop: Header=BB4_713 Depth=1
	s_or_b64 exec, exec, s[26:27]
	s_nop 0
	v_or_b32_e32 v5, v2, v30
	v_cmp_gt_u64_e64 vcc, s[16:17], 56
	s_lshl_b32 s15, s18, 2
	s_lshl_b64 s[22:23], s[24:25], 12
	v_cndmask_b32_e32 v2, v5, v2, vcc
	s_add_i32 s15, s15, 28
	v_lshl_add_u64 v[26:27], v[26:27], 0, s[22:23]
	v_or_b32_e32 v4, 0, v3
	s_and_b32 s15, s15, 0x1e0
	v_and_b32_e32 v2, 0xffffff1f, v2
	v_cndmask_b32_e32 v9, v4, v3, vcc
	v_or_b32_e32 v8, s15, v2
	v_readfirstlane_b32 s22, v26
	v_readfirstlane_b32 s23, v27
	s_nop 4
	global_store_dwordx4 v28, v[8:11], s[22:23]
	global_store_dwordx4 v28, v[12:15], s[22:23] offset:16
	global_store_dwordx4 v28, v[16:19], s[22:23] offset:32
	global_store_dwordx4 v28, v[20:23], s[22:23] offset:48
	s_and_saveexec_b64 s[22:23], s[0:1]
	s_cbranch_execz .LBB4_784
; %bb.777:                              ;   in Loop: Header=BB4_713 Depth=1
	global_load_dwordx2 v[12:13], v33, s[2:3] offset:32 sc0 sc1
	global_load_dwordx2 v[2:3], v33, s[2:3] offset:40
	v_mov_b32_e32 v10, s20
	v_mov_b32_e32 v11, s21
	s_waitcnt vmcnt(0)
	v_readfirstlane_b32 s24, v2
	v_readfirstlane_b32 s25, v3
	s_and_b64 s[24:25], s[24:25], s[20:21]
	s_mul_i32 s15, s25, 24
	s_mul_hi_u32 s25, s24, 24
	s_mul_i32 s24, s24, 24
	s_add_i32 s25, s25, s15
	v_lshl_add_u64 v[8:9], v[24:25], 0, s[24:25]
	global_store_dwordx2 v[8:9], v[12:13], off
	buffer_wbl2 sc0 sc1
	s_waitcnt vmcnt(0)
	global_atomic_cmpswap_x2 v[4:5], v33, v[10:13], s[2:3] offset:32 sc0 sc1
	s_waitcnt vmcnt(0)
	v_cmp_ne_u64_e32 vcc, v[4:5], v[12:13]
	s_and_saveexec_b64 s[24:25], vcc
	s_cbranch_execz .LBB4_780
; %bb.778:                              ;   in Loop: Header=BB4_713 Depth=1
	s_mov_b64 s[26:27], 0
.LBB4_779:                              ;   Parent Loop BB4_713 Depth=1
                                        ; =>  This Inner Loop Header: Depth=2
	s_sleep 1
	global_store_dwordx2 v[8:9], v[4:5], off
	v_mov_b32_e32 v2, s20
	v_mov_b32_e32 v3, s21
	buffer_wbl2 sc0 sc1
	s_waitcnt vmcnt(0)
	global_atomic_cmpswap_x2 v[2:3], v33, v[2:5], s[2:3] offset:32 sc0 sc1
	s_waitcnt vmcnt(0)
	v_cmp_eq_u64_e32 vcc, v[2:3], v[4:5]
	s_or_b64 s[26:27], vcc, s[26:27]
	v_mov_b64_e32 v[4:5], v[2:3]
	s_andn2_b64 exec, exec, s[26:27]
	s_cbranch_execnz .LBB4_779
.LBB4_780:                              ;   in Loop: Header=BB4_713 Depth=1
	s_or_b64 exec, exec, s[24:25]
	global_load_dwordx2 v[2:3], v33, s[2:3] offset:16
	s_mov_b64 s[26:27], exec
	v_mbcnt_lo_u32_b32 v4, s26, 0
	v_mbcnt_hi_u32_b32 v4, s27, v4
	v_cmp_eq_u32_e32 vcc, 0, v4
	s_and_saveexec_b64 s[24:25], vcc
	s_cbranch_execz .LBB4_782
; %bb.781:                              ;   in Loop: Header=BB4_713 Depth=1
	s_bcnt1_i32_b64 s15, s[26:27]
	v_mov_b32_e32 v32, s15
	buffer_wbl2 sc0 sc1
	s_waitcnt vmcnt(0)
	global_atomic_add_x2 v[2:3], v[32:33], off offset:8 sc1
.LBB4_782:                              ;   in Loop: Header=BB4_713 Depth=1
	s_or_b64 exec, exec, s[24:25]
	s_waitcnt vmcnt(0)
	global_load_dwordx2 v[4:5], v[2:3], off offset:16
	s_waitcnt vmcnt(0)
	v_cmp_eq_u64_e32 vcc, 0, v[4:5]
	s_cbranch_vccnz .LBB4_784
; %bb.783:                              ;   in Loop: Header=BB4_713 Depth=1
	global_load_dword v32, v[2:3], off offset:24
	s_waitcnt vmcnt(0)
	v_and_b32_e32 v2, 0xffffff, v32
	s_nop 0
	v_readfirstlane_b32 m0, v2
	buffer_wbl2 sc0 sc1
	global_store_dwordx2 v[4:5], v[32:33], off sc0 sc1
	s_sendmsg sendmsg(MSG_INTERRUPT)
.LBB4_784:                              ;   in Loop: Header=BB4_713 Depth=1
	s_or_b64 exec, exec, s[22:23]
	v_mov_b32_e32 v29, v33
	v_lshl_add_u64 v[2:3], v[26:27], 0, v[28:29]
	s_branch .LBB4_788
.LBB4_785:                              ;   in Loop: Header=BB4_788 Depth=2
	s_or_b64 exec, exec, s[22:23]
	v_readfirstlane_b32 s15, v4
	s_cmp_eq_u32 s15, 0
	s_cbranch_scc1 .LBB4_787
; %bb.786:                              ;   in Loop: Header=BB4_788 Depth=2
	s_sleep 1
	s_cbranch_execnz .LBB4_788
	s_branch .LBB4_790
.LBB4_787:                              ;   in Loop: Header=BB4_713 Depth=1
	s_branch .LBB4_790
.LBB4_788:                              ;   Parent Loop BB4_713 Depth=1
                                        ; =>  This Inner Loop Header: Depth=2
	v_mov_b32_e32 v4, 1
	s_and_saveexec_b64 s[22:23], s[0:1]
	s_cbranch_execz .LBB4_785
; %bb.789:                              ;   in Loop: Header=BB4_788 Depth=2
	global_load_dword v4, v[34:35], off offset:20 sc0 sc1
	s_waitcnt vmcnt(0)
	buffer_inv sc0 sc1
	v_and_b32_e32 v4, 1, v4
	s_branch .LBB4_785
.LBB4_790:                              ;   in Loop: Header=BB4_713 Depth=1
	global_load_dwordx4 v[2:5], v[2:3], off
	s_and_saveexec_b64 s[22:23], s[0:1]
	s_cbranch_execz .LBB4_712
; %bb.791:                              ;   in Loop: Header=BB4_713 Depth=1
	global_load_dwordx2 v[4:5], v33, s[2:3] offset:40
	global_load_dwordx2 v[12:13], v33, s[2:3] offset:24 sc0 sc1
	global_load_dwordx2 v[14:15], v33, s[2:3]
	s_waitcnt vmcnt(2)
	v_lshl_add_u64 v[8:9], v[4:5], 0, 1
	v_lshl_add_u64 v[16:17], v[8:9], 0, s[20:21]
	v_cmp_eq_u64_e32 vcc, 0, v[16:17]
	s_waitcnt vmcnt(1)
	v_mov_b32_e32 v10, v12
	v_cndmask_b32_e32 v9, v17, v9, vcc
	v_cndmask_b32_e32 v8, v16, v8, vcc
	v_and_b32_e32 v5, v9, v5
	v_and_b32_e32 v4, v8, v4
	v_mul_lo_u32 v5, v5, 24
	v_mul_hi_u32 v11, v4, 24
	v_mul_lo_u32 v4, v4, 24
	v_add_u32_e32 v5, v11, v5
	s_waitcnt vmcnt(0)
	v_lshl_add_u64 v[4:5], v[14:15], 0, v[4:5]
	global_store_dwordx2 v[4:5], v[12:13], off
	v_mov_b32_e32 v11, v13
	buffer_wbl2 sc0 sc1
	s_waitcnt vmcnt(0)
	global_atomic_cmpswap_x2 v[10:11], v33, v[8:11], s[2:3] offset:24 sc0 sc1
	s_waitcnt vmcnt(0)
	v_cmp_ne_u64_e32 vcc, v[10:11], v[12:13]
	s_and_b64 exec, exec, vcc
	s_cbranch_execz .LBB4_712
; %bb.792:                              ;   in Loop: Header=BB4_713 Depth=1
	s_mov_b64 s[0:1], 0
.LBB4_793:                              ;   Parent Loop BB4_713 Depth=1
                                        ; =>  This Inner Loop Header: Depth=2
	s_sleep 1
	global_store_dwordx2 v[4:5], v[10:11], off
	buffer_wbl2 sc0 sc1
	s_waitcnt vmcnt(0)
	global_atomic_cmpswap_x2 v[12:13], v33, v[8:11], s[2:3] offset:24 sc0 sc1
	s_waitcnt vmcnt(0)
	v_cmp_eq_u64_e32 vcc, v[12:13], v[10:11]
	s_or_b64 s[0:1], vcc, s[0:1]
	v_mov_b64_e32 v[10:11], v[12:13]
	s_andn2_b64 exec, exec, s[0:1]
	s_cbranch_execnz .LBB4_793
	s_branch .LBB4_712
.LBB4_794:
	s_branch .LBB4_822
.LBB4_795:
                                        ; implicit-def: $vgpr2_vgpr3
	s_cbranch_execz .LBB4_822
; %bb.796:
	v_readfirstlane_b32 s0, v36
	s_waitcnt vmcnt(0)
	v_mov_b64_e32 v[2:3], 0
	v_cmp_eq_u32_e64 s[0:1], s0, v36
	s_and_saveexec_b64 s[10:11], s[0:1]
	s_cbranch_execz .LBB4_802
; %bb.797:
	v_mov_b32_e32 v4, 0
	global_load_dwordx2 v[8:9], v4, s[2:3] offset:24 sc0 sc1
	s_waitcnt vmcnt(0)
	buffer_inv sc0 sc1
	global_load_dwordx2 v[2:3], v4, s[2:3] offset:40
	global_load_dwordx2 v[6:7], v4, s[2:3]
	s_waitcnt vmcnt(1)
	v_and_b32_e32 v2, v2, v8
	v_and_b32_e32 v3, v3, v9
	v_mul_lo_u32 v3, v3, 24
	v_mul_hi_u32 v5, v2, 24
	v_add_u32_e32 v3, v5, v3
	v_mul_lo_u32 v2, v2, 24
	s_waitcnt vmcnt(0)
	v_lshl_add_u64 v[2:3], v[6:7], 0, v[2:3]
	global_load_dwordx2 v[6:7], v[2:3], off sc0 sc1
	s_waitcnt vmcnt(0)
	global_atomic_cmpswap_x2 v[2:3], v4, v[6:9], s[2:3] offset:24 sc0 sc1
	s_waitcnt vmcnt(0)
	buffer_inv sc0 sc1
	v_cmp_ne_u64_e32 vcc, v[2:3], v[8:9]
	s_and_saveexec_b64 s[16:17], vcc
	s_cbranch_execz .LBB4_801
; %bb.798:
	s_mov_b64 s[18:19], 0
.LBB4_799:                              ; =>This Inner Loop Header: Depth=1
	s_sleep 1
	global_load_dwordx2 v[6:7], v4, s[2:3] offset:40
	global_load_dwordx2 v[10:11], v4, s[2:3]
	v_mov_b64_e32 v[8:9], v[2:3]
	s_waitcnt vmcnt(1)
	v_and_b32_e32 v2, v6, v8
	s_waitcnt vmcnt(0)
	v_mad_u64_u32 v[2:3], s[20:21], v2, 24, v[10:11]
	v_and_b32_e32 v5, v7, v9
	v_mov_b32_e32 v6, v3
	v_mad_u64_u32 v[6:7], s[20:21], v5, 24, v[6:7]
	v_mov_b32_e32 v3, v6
	global_load_dwordx2 v[6:7], v[2:3], off sc0 sc1
	s_waitcnt vmcnt(0)
	global_atomic_cmpswap_x2 v[2:3], v4, v[6:9], s[2:3] offset:24 sc0 sc1
	s_waitcnt vmcnt(0)
	buffer_inv sc0 sc1
	v_cmp_eq_u64_e32 vcc, v[2:3], v[8:9]
	s_or_b64 s[18:19], vcc, s[18:19]
	s_andn2_b64 exec, exec, s[18:19]
	s_cbranch_execnz .LBB4_799
; %bb.800:
	s_or_b64 exec, exec, s[18:19]
.LBB4_801:
	s_or_b64 exec, exec, s[16:17]
.LBB4_802:
	s_or_b64 exec, exec, s[10:11]
	v_mov_b32_e32 v29, 0
	global_load_dwordx2 v[8:9], v29, s[2:3] offset:40
	global_load_dwordx4 v[4:7], v29, s[2:3]
	v_readfirstlane_b32 s10, v2
	v_readfirstlane_b32 s11, v3
	s_mov_b64 s[16:17], exec
	s_waitcnt vmcnt(1)
	v_readfirstlane_b32 s18, v8
	v_readfirstlane_b32 s19, v9
	s_and_b64 s[18:19], s[10:11], s[18:19]
	s_mul_i32 s15, s19, 24
	s_mul_hi_u32 s20, s18, 24
	s_add_i32 s21, s20, s15
	s_mul_i32 s20, s18, 24
	s_waitcnt vmcnt(0)
	v_lshl_add_u64 v[8:9], v[4:5], 0, s[20:21]
	s_and_saveexec_b64 s[20:21], s[0:1]
	s_cbranch_execz .LBB4_804
; %bb.803:
	v_mov_b64_e32 v[10:11], s[16:17]
	v_mov_b32_e32 v12, 2
	v_mov_b32_e32 v13, 1
	global_store_dwordx4 v[8:9], v[10:13], off offset:8
.LBB4_804:
	s_or_b64 exec, exec, s[20:21]
	s_lshl_b64 s[16:17], s[18:19], 12
	v_lshl_add_u64 v[6:7], v[6:7], 0, s[16:17]
	s_movk_i32 s15, 0xff1f
	s_mov_b32 s16, 0
	v_and_or_b32 v0, v0, s15, 32
	v_mov_b32_e32 v2, v29
	v_mov_b32_e32 v3, v29
	v_readfirstlane_b32 s20, v6
	v_readfirstlane_b32 s21, v7
	s_mov_b32 s17, s16
	s_mov_b32 s18, s16
	;; [unrolled: 1-line block ×3, first 2 shown]
	s_nop 1
	global_store_dwordx4 v28, v[0:3], s[20:21]
	s_nop 1
	v_mov_b64_e32 v[0:1], s[16:17]
	v_mov_b64_e32 v[2:3], s[18:19]
	global_store_dwordx4 v28, v[0:3], s[20:21] offset:16
	global_store_dwordx4 v28, v[0:3], s[20:21] offset:32
	;; [unrolled: 1-line block ×3, first 2 shown]
	s_and_saveexec_b64 s[16:17], s[0:1]
	s_cbranch_execz .LBB4_812
; %bb.805:
	v_mov_b32_e32 v10, 0
	global_load_dwordx2 v[14:15], v10, s[2:3] offset:32 sc0 sc1
	global_load_dwordx2 v[0:1], v10, s[2:3] offset:40
	v_mov_b32_e32 v12, s10
	v_mov_b32_e32 v13, s11
	s_waitcnt vmcnt(0)
	v_readfirstlane_b32 s18, v0
	v_readfirstlane_b32 s19, v1
	s_and_b64 s[18:19], s[18:19], s[10:11]
	s_mul_i32 s15, s19, 24
	s_mul_hi_u32 s19, s18, 24
	s_mul_i32 s18, s18, 24
	s_add_i32 s19, s19, s15
	v_lshl_add_u64 v[4:5], v[4:5], 0, s[18:19]
	global_store_dwordx2 v[4:5], v[14:15], off
	buffer_wbl2 sc0 sc1
	s_waitcnt vmcnt(0)
	global_atomic_cmpswap_x2 v[2:3], v10, v[12:15], s[2:3] offset:32 sc0 sc1
	s_waitcnt vmcnt(0)
	v_cmp_ne_u64_e32 vcc, v[2:3], v[14:15]
	s_and_saveexec_b64 s[18:19], vcc
	s_cbranch_execz .LBB4_808
; %bb.806:
	s_mov_b64 s[20:21], 0
.LBB4_807:                              ; =>This Inner Loop Header: Depth=1
	s_sleep 1
	global_store_dwordx2 v[4:5], v[2:3], off
	v_mov_b32_e32 v0, s10
	v_mov_b32_e32 v1, s11
	buffer_wbl2 sc0 sc1
	s_waitcnt vmcnt(0)
	global_atomic_cmpswap_x2 v[0:1], v10, v[0:3], s[2:3] offset:32 sc0 sc1
	s_waitcnt vmcnt(0)
	v_cmp_eq_u64_e32 vcc, v[0:1], v[2:3]
	s_or_b64 s[20:21], vcc, s[20:21]
	v_mov_b64_e32 v[2:3], v[0:1]
	s_andn2_b64 exec, exec, s[20:21]
	s_cbranch_execnz .LBB4_807
.LBB4_808:
	s_or_b64 exec, exec, s[18:19]
	v_mov_b32_e32 v3, 0
	global_load_dwordx2 v[0:1], v3, s[2:3] offset:16
	s_mov_b64 s[18:19], exec
	v_mbcnt_lo_u32_b32 v2, s18, 0
	v_mbcnt_hi_u32_b32 v2, s19, v2
	v_cmp_eq_u32_e32 vcc, 0, v2
	s_and_saveexec_b64 s[20:21], vcc
	s_cbranch_execz .LBB4_810
; %bb.809:
	s_bcnt1_i32_b64 s15, s[18:19]
	v_mov_b32_e32 v2, s15
	buffer_wbl2 sc0 sc1
	s_waitcnt vmcnt(0)
	global_atomic_add_x2 v[0:1], v[2:3], off offset:8 sc1
.LBB4_810:
	s_or_b64 exec, exec, s[20:21]
	s_waitcnt vmcnt(0)
	global_load_dwordx2 v[2:3], v[0:1], off offset:16
	s_waitcnt vmcnt(0)
	v_cmp_eq_u64_e32 vcc, 0, v[2:3]
	s_cbranch_vccnz .LBB4_812
; %bb.811:
	global_load_dword v0, v[0:1], off offset:24
	v_mov_b32_e32 v1, 0
	buffer_wbl2 sc0 sc1
	s_waitcnt vmcnt(0)
	global_store_dwordx2 v[2:3], v[0:1], off sc0 sc1
	v_and_b32_e32 v0, 0xffffff, v0
	s_nop 0
	v_readfirstlane_b32 m0, v0
	s_sendmsg sendmsg(MSG_INTERRUPT)
.LBB4_812:
	s_or_b64 exec, exec, s[16:17]
	v_lshl_add_u64 v[0:1], v[6:7], 0, v[28:29]
	s_branch .LBB4_816
.LBB4_813:                              ;   in Loop: Header=BB4_816 Depth=1
	s_or_b64 exec, exec, s[16:17]
	v_readfirstlane_b32 s15, v2
	s_cmp_eq_u32 s15, 0
	s_cbranch_scc1 .LBB4_815
; %bb.814:                              ;   in Loop: Header=BB4_816 Depth=1
	s_sleep 1
	s_cbranch_execnz .LBB4_816
	s_branch .LBB4_818
.LBB4_815:
	s_branch .LBB4_818
.LBB4_816:                              ; =>This Inner Loop Header: Depth=1
	v_mov_b32_e32 v2, 1
	s_and_saveexec_b64 s[16:17], s[0:1]
	s_cbranch_execz .LBB4_813
; %bb.817:                              ;   in Loop: Header=BB4_816 Depth=1
	global_load_dword v2, v[8:9], off offset:20 sc0 sc1
	s_waitcnt vmcnt(0)
	buffer_inv sc0 sc1
	v_and_b32_e32 v2, 1, v2
	s_branch .LBB4_813
.LBB4_818:
	global_load_dwordx2 v[2:3], v[0:1], off
	s_and_saveexec_b64 s[16:17], s[0:1]
	s_cbranch_execz .LBB4_821
; %bb.819:
	v_mov_b32_e32 v8, 0
	global_load_dwordx2 v[0:1], v8, s[2:3] offset:40
	global_load_dwordx2 v[10:11], v8, s[2:3] offset:24 sc0 sc1
	global_load_dwordx2 v[12:13], v8, s[2:3]
	s_mov_b64 s[0:1], 0
	s_waitcnt vmcnt(2)
	v_lshl_add_u64 v[4:5], v[0:1], 0, 1
	v_lshl_add_u64 v[14:15], v[4:5], 0, s[10:11]
	v_cmp_eq_u64_e32 vcc, 0, v[14:15]
	s_waitcnt vmcnt(1)
	v_mov_b32_e32 v6, v10
	v_cndmask_b32_e32 v5, v15, v5, vcc
	v_cndmask_b32_e32 v4, v14, v4, vcc
	v_and_b32_e32 v1, v5, v1
	v_and_b32_e32 v0, v4, v0
	v_mul_lo_u32 v1, v1, 24
	v_mul_hi_u32 v7, v0, 24
	v_mul_lo_u32 v0, v0, 24
	v_add_u32_e32 v1, v7, v1
	s_waitcnt vmcnt(0)
	v_lshl_add_u64 v[0:1], v[12:13], 0, v[0:1]
	global_store_dwordx2 v[0:1], v[10:11], off
	v_mov_b32_e32 v7, v11
	buffer_wbl2 sc0 sc1
	s_waitcnt vmcnt(0)
	global_atomic_cmpswap_x2 v[6:7], v8, v[4:7], s[2:3] offset:24 sc0 sc1
	s_waitcnt vmcnt(0)
	v_cmp_ne_u64_e32 vcc, v[6:7], v[10:11]
	s_and_b64 exec, exec, vcc
	s_cbranch_execz .LBB4_821
.LBB4_820:                              ; =>This Inner Loop Header: Depth=1
	s_sleep 1
	global_store_dwordx2 v[0:1], v[6:7], off
	buffer_wbl2 sc0 sc1
	s_waitcnt vmcnt(0)
	global_atomic_cmpswap_x2 v[10:11], v8, v[4:7], s[2:3] offset:24 sc0 sc1
	s_waitcnt vmcnt(0)
	v_cmp_eq_u64_e32 vcc, v[10:11], v[6:7]
	s_or_b64 s[0:1], vcc, s[0:1]
	v_mov_b64_e32 v[6:7], v[10:11]
	s_andn2_b64 exec, exec, s[0:1]
	s_cbranch_execnz .LBB4_820
.LBB4_821:
	s_or_b64 exec, exec, s[16:17]
.LBB4_822:
	v_readfirstlane_b32 s0, v36
	s_waitcnt vmcnt(0)
	v_mov_b64_e32 v[0:1], 0
	v_cmp_eq_u32_e64 s[0:1], s0, v36
	s_and_saveexec_b64 s[10:11], s[0:1]
	s_cbranch_execz .LBB4_828
; %bb.823:
	v_mov_b32_e32 v4, 0
	global_load_dwordx2 v[8:9], v4, s[2:3] offset:24 sc0 sc1
	s_waitcnt vmcnt(0)
	buffer_inv sc0 sc1
	global_load_dwordx2 v[0:1], v4, s[2:3] offset:40
	global_load_dwordx2 v[6:7], v4, s[2:3]
	s_waitcnt vmcnt(1)
	v_and_b32_e32 v0, v0, v8
	v_and_b32_e32 v1, v1, v9
	v_mul_lo_u32 v1, v1, 24
	v_mul_hi_u32 v5, v0, 24
	v_add_u32_e32 v1, v5, v1
	v_mul_lo_u32 v0, v0, 24
	s_waitcnt vmcnt(0)
	v_lshl_add_u64 v[0:1], v[6:7], 0, v[0:1]
	global_load_dwordx2 v[6:7], v[0:1], off sc0 sc1
	s_waitcnt vmcnt(0)
	global_atomic_cmpswap_x2 v[0:1], v4, v[6:9], s[2:3] offset:24 sc0 sc1
	s_waitcnt vmcnt(0)
	buffer_inv sc0 sc1
	v_cmp_ne_u64_e32 vcc, v[0:1], v[8:9]
	s_and_saveexec_b64 s[16:17], vcc
	s_cbranch_execz .LBB4_827
; %bb.824:
	s_mov_b64 s[18:19], 0
.LBB4_825:                              ; =>This Inner Loop Header: Depth=1
	s_sleep 1
	global_load_dwordx2 v[6:7], v4, s[2:3] offset:40
	global_load_dwordx2 v[10:11], v4, s[2:3]
	v_mov_b64_e32 v[8:9], v[0:1]
	s_waitcnt vmcnt(1)
	v_and_b32_e32 v0, v6, v8
	s_waitcnt vmcnt(0)
	v_mad_u64_u32 v[0:1], s[20:21], v0, 24, v[10:11]
	v_and_b32_e32 v5, v7, v9
	v_mov_b32_e32 v6, v1
	v_mad_u64_u32 v[6:7], s[20:21], v5, 24, v[6:7]
	v_mov_b32_e32 v1, v6
	global_load_dwordx2 v[6:7], v[0:1], off sc0 sc1
	s_waitcnt vmcnt(0)
	global_atomic_cmpswap_x2 v[0:1], v4, v[6:9], s[2:3] offset:24 sc0 sc1
	s_waitcnt vmcnt(0)
	buffer_inv sc0 sc1
	v_cmp_eq_u64_e32 vcc, v[0:1], v[8:9]
	s_or_b64 s[18:19], vcc, s[18:19]
	s_andn2_b64 exec, exec, s[18:19]
	s_cbranch_execnz .LBB4_825
; %bb.826:
	s_or_b64 exec, exec, s[18:19]
.LBB4_827:
	s_or_b64 exec, exec, s[16:17]
.LBB4_828:
	s_or_b64 exec, exec, s[10:11]
	v_mov_b32_e32 v5, 0
	global_load_dwordx2 v[10:11], v5, s[2:3] offset:40
	global_load_dwordx4 v[6:9], v5, s[2:3]
	v_readfirstlane_b32 s10, v0
	v_readfirstlane_b32 s11, v1
	s_mov_b64 s[16:17], exec
	s_waitcnt vmcnt(1)
	v_readfirstlane_b32 s18, v10
	v_readfirstlane_b32 s19, v11
	s_and_b64 s[18:19], s[10:11], s[18:19]
	s_mul_i32 s15, s19, 24
	s_mul_hi_u32 s20, s18, 24
	s_add_i32 s21, s20, s15
	s_mul_i32 s20, s18, 24
	s_waitcnt vmcnt(0)
	v_lshl_add_u64 v[10:11], v[6:7], 0, s[20:21]
	s_and_saveexec_b64 s[20:21], s[0:1]
	s_cbranch_execz .LBB4_830
; %bb.829:
	v_mov_b64_e32 v[12:13], s[16:17]
	v_mov_b32_e32 v14, 2
	v_mov_b32_e32 v15, 1
	global_store_dwordx4 v[10:11], v[12:15], off offset:8
.LBB4_830:
	s_or_b64 exec, exec, s[20:21]
	s_lshl_b64 s[16:17], s[18:19], 12
	v_lshl_add_u64 v[0:1], v[8:9], 0, s[16:17]
	s_movk_i32 s15, 0xff1d
	s_mov_b32 s16, 0
	v_and_or_b32 v2, v2, s15, 34
	v_mov_b32_e32 v4, 58
	v_readfirstlane_b32 s20, v0
	v_readfirstlane_b32 s21, v1
	s_mov_b32 s17, s16
	s_mov_b32 s18, s16
	;; [unrolled: 1-line block ×3, first 2 shown]
	s_nop 1
	global_store_dwordx4 v28, v[2:5], s[20:21]
	v_mov_b64_e32 v[0:1], s[16:17]
	s_nop 0
	v_mov_b64_e32 v[2:3], s[18:19]
	global_store_dwordx4 v28, v[0:3], s[20:21] offset:16
	global_store_dwordx4 v28, v[0:3], s[20:21] offset:32
	;; [unrolled: 1-line block ×3, first 2 shown]
	s_and_saveexec_b64 s[16:17], s[0:1]
	s_cbranch_execz .LBB4_838
; %bb.831:
	v_mov_b32_e32 v8, 0
	global_load_dwordx2 v[14:15], v8, s[2:3] offset:32 sc0 sc1
	global_load_dwordx2 v[0:1], v8, s[2:3] offset:40
	v_mov_b32_e32 v12, s10
	v_mov_b32_e32 v13, s11
	s_waitcnt vmcnt(0)
	v_readfirstlane_b32 s18, v0
	v_readfirstlane_b32 s19, v1
	s_and_b64 s[18:19], s[18:19], s[10:11]
	s_mul_i32 s15, s19, 24
	s_mul_hi_u32 s19, s18, 24
	s_mul_i32 s18, s18, 24
	s_add_i32 s19, s19, s15
	v_lshl_add_u64 v[4:5], v[6:7], 0, s[18:19]
	global_store_dwordx2 v[4:5], v[14:15], off
	buffer_wbl2 sc0 sc1
	s_waitcnt vmcnt(0)
	global_atomic_cmpswap_x2 v[2:3], v8, v[12:15], s[2:3] offset:32 sc0 sc1
	s_waitcnt vmcnt(0)
	v_cmp_ne_u64_e32 vcc, v[2:3], v[14:15]
	s_and_saveexec_b64 s[18:19], vcc
	s_cbranch_execz .LBB4_834
; %bb.832:
	s_mov_b64 s[20:21], 0
.LBB4_833:                              ; =>This Inner Loop Header: Depth=1
	s_sleep 1
	global_store_dwordx2 v[4:5], v[2:3], off
	v_mov_b32_e32 v0, s10
	v_mov_b32_e32 v1, s11
	buffer_wbl2 sc0 sc1
	s_waitcnt vmcnt(0)
	global_atomic_cmpswap_x2 v[0:1], v8, v[0:3], s[2:3] offset:32 sc0 sc1
	s_waitcnt vmcnt(0)
	v_cmp_eq_u64_e32 vcc, v[0:1], v[2:3]
	s_or_b64 s[20:21], vcc, s[20:21]
	v_mov_b64_e32 v[2:3], v[0:1]
	s_andn2_b64 exec, exec, s[20:21]
	s_cbranch_execnz .LBB4_833
.LBB4_834:
	s_or_b64 exec, exec, s[18:19]
	v_mov_b32_e32 v3, 0
	global_load_dwordx2 v[0:1], v3, s[2:3] offset:16
	s_mov_b64 s[18:19], exec
	v_mbcnt_lo_u32_b32 v2, s18, 0
	v_mbcnt_hi_u32_b32 v2, s19, v2
	v_cmp_eq_u32_e32 vcc, 0, v2
	s_and_saveexec_b64 s[20:21], vcc
	s_cbranch_execz .LBB4_836
; %bb.835:
	s_bcnt1_i32_b64 s15, s[18:19]
	v_mov_b32_e32 v2, s15
	buffer_wbl2 sc0 sc1
	s_waitcnt vmcnt(0)
	global_atomic_add_x2 v[0:1], v[2:3], off offset:8 sc1
.LBB4_836:
	s_or_b64 exec, exec, s[20:21]
	s_waitcnt vmcnt(0)
	global_load_dwordx2 v[2:3], v[0:1], off offset:16
	s_waitcnt vmcnt(0)
	v_cmp_eq_u64_e32 vcc, 0, v[2:3]
	s_cbranch_vccnz .LBB4_838
; %bb.837:
	global_load_dword v0, v[0:1], off offset:24
	v_mov_b32_e32 v1, 0
	buffer_wbl2 sc0 sc1
	s_waitcnt vmcnt(0)
	global_store_dwordx2 v[2:3], v[0:1], off sc0 sc1
	v_and_b32_e32 v0, 0xffffff, v0
	s_nop 0
	v_readfirstlane_b32 m0, v0
	s_sendmsg sendmsg(MSG_INTERRUPT)
.LBB4_838:
	s_or_b64 exec, exec, s[16:17]
	s_branch .LBB4_842
.LBB4_839:                              ;   in Loop: Header=BB4_842 Depth=1
	s_or_b64 exec, exec, s[16:17]
	v_readfirstlane_b32 s15, v0
	s_cmp_eq_u32 s15, 0
	s_cbranch_scc1 .LBB4_841
; %bb.840:                              ;   in Loop: Header=BB4_842 Depth=1
	s_sleep 1
	s_cbranch_execnz .LBB4_842
	s_branch .LBB4_844
.LBB4_841:
	s_branch .LBB4_844
.LBB4_842:                              ; =>This Inner Loop Header: Depth=1
	v_mov_b32_e32 v0, 1
	s_and_saveexec_b64 s[16:17], s[0:1]
	s_cbranch_execz .LBB4_839
; %bb.843:                              ;   in Loop: Header=BB4_842 Depth=1
	global_load_dword v0, v[10:11], off offset:20 sc0 sc1
	s_waitcnt vmcnt(0)
	buffer_inv sc0 sc1
	v_and_b32_e32 v0, 1, v0
	s_branch .LBB4_839
.LBB4_844:
	s_and_saveexec_b64 s[16:17], s[0:1]
	s_cbranch_execz .LBB4_847
; %bb.845:
	v_mov_b32_e32 v6, 0
	global_load_dwordx2 v[4:5], v6, s[2:3] offset:40
	global_load_dwordx2 v[8:9], v6, s[2:3] offset:24 sc0 sc1
	global_load_dwordx2 v[10:11], v6, s[2:3]
	s_mov_b64 s[0:1], 0
	s_waitcnt vmcnt(2)
	v_lshl_add_u64 v[0:1], v[4:5], 0, 1
	v_lshl_add_u64 v[12:13], v[0:1], 0, s[10:11]
	v_cmp_eq_u64_e32 vcc, 0, v[12:13]
	s_waitcnt vmcnt(1)
	v_mov_b32_e32 v2, v8
	v_cndmask_b32_e32 v1, v13, v1, vcc
	v_cndmask_b32_e32 v0, v12, v0, vcc
	v_and_b32_e32 v3, v1, v5
	v_and_b32_e32 v4, v0, v4
	v_mul_lo_u32 v3, v3, 24
	v_mul_hi_u32 v5, v4, 24
	v_mul_lo_u32 v4, v4, 24
	v_add_u32_e32 v5, v5, v3
	s_waitcnt vmcnt(0)
	v_lshl_add_u64 v[4:5], v[10:11], 0, v[4:5]
	global_store_dwordx2 v[4:5], v[8:9], off
	v_mov_b32_e32 v3, v9
	buffer_wbl2 sc0 sc1
	s_waitcnt vmcnt(0)
	global_atomic_cmpswap_x2 v[2:3], v6, v[0:3], s[2:3] offset:24 sc0 sc1
	s_waitcnt vmcnt(0)
	v_cmp_ne_u64_e32 vcc, v[2:3], v[8:9]
	s_and_b64 exec, exec, vcc
	s_cbranch_execz .LBB4_847
.LBB4_846:                              ; =>This Inner Loop Header: Depth=1
	s_sleep 1
	global_store_dwordx2 v[4:5], v[2:3], off
	buffer_wbl2 sc0 sc1
	s_waitcnt vmcnt(0)
	global_atomic_cmpswap_x2 v[8:9], v6, v[0:3], s[2:3] offset:24 sc0 sc1
	s_waitcnt vmcnt(0)
	v_cmp_eq_u64_e32 vcc, v[8:9], v[2:3]
	s_or_b64 s[0:1], vcc, s[0:1]
	v_mov_b64_e32 v[2:3], v[8:9]
	s_andn2_b64 exec, exec, s[0:1]
	s_cbranch_execnz .LBB4_846
.LBB4_847:
	s_or_b64 exec, exec, s[16:17]
	v_readfirstlane_b32 s0, v36
	v_mov_b64_e32 v[4:5], 0
	s_nop 0
	v_cmp_eq_u32_e64 s[0:1], s0, v36
	s_and_saveexec_b64 s[10:11], s[0:1]
	s_cbranch_execz .LBB4_853
; %bb.848:
	v_mov_b32_e32 v0, 0
	global_load_dwordx2 v[6:7], v0, s[2:3] offset:24 sc0 sc1
	s_waitcnt vmcnt(0)
	buffer_inv sc0 sc1
	global_load_dwordx2 v[2:3], v0, s[2:3] offset:40
	global_load_dwordx2 v[4:5], v0, s[2:3]
	s_waitcnt vmcnt(1)
	v_and_b32_e32 v1, v2, v6
	v_and_b32_e32 v2, v3, v7
	v_mul_lo_u32 v2, v2, 24
	v_mul_hi_u32 v3, v1, 24
	v_add_u32_e32 v3, v3, v2
	v_mul_lo_u32 v2, v1, 24
	s_waitcnt vmcnt(0)
	v_lshl_add_u64 v[2:3], v[4:5], 0, v[2:3]
	global_load_dwordx2 v[4:5], v[2:3], off sc0 sc1
	s_waitcnt vmcnt(0)
	global_atomic_cmpswap_x2 v[4:5], v0, v[4:7], s[2:3] offset:24 sc0 sc1
	s_waitcnt vmcnt(0)
	buffer_inv sc0 sc1
	v_cmp_ne_u64_e32 vcc, v[4:5], v[6:7]
	s_and_saveexec_b64 s[16:17], vcc
	s_cbranch_execz .LBB4_852
; %bb.849:
	s_mov_b64 s[18:19], 0
.LBB4_850:                              ; =>This Inner Loop Header: Depth=1
	s_sleep 1
	global_load_dwordx2 v[2:3], v0, s[2:3] offset:40
	global_load_dwordx2 v[8:9], v0, s[2:3]
	v_mov_b64_e32 v[6:7], v[4:5]
	s_waitcnt vmcnt(1)
	v_and_b32_e32 v2, v2, v6
	v_and_b32_e32 v1, v3, v7
	s_waitcnt vmcnt(0)
	v_mad_u64_u32 v[2:3], s[20:21], v2, 24, v[8:9]
	v_mov_b32_e32 v4, v3
	v_mad_u64_u32 v[4:5], s[20:21], v1, 24, v[4:5]
	v_mov_b32_e32 v3, v4
	global_load_dwordx2 v[4:5], v[2:3], off sc0 sc1
	s_waitcnt vmcnt(0)
	global_atomic_cmpswap_x2 v[4:5], v0, v[4:7], s[2:3] offset:24 sc0 sc1
	s_waitcnt vmcnt(0)
	buffer_inv sc0 sc1
	v_cmp_eq_u64_e32 vcc, v[4:5], v[6:7]
	s_or_b64 s[18:19], vcc, s[18:19]
	s_andn2_b64 exec, exec, s[18:19]
	s_cbranch_execnz .LBB4_850
; %bb.851:
	s_or_b64 exec, exec, s[18:19]
.LBB4_852:
	s_or_b64 exec, exec, s[16:17]
.LBB4_853:
	s_or_b64 exec, exec, s[10:11]
	v_mov_b32_e32 v29, 0
	global_load_dwordx2 v[6:7], v29, s[2:3] offset:40
	global_load_dwordx4 v[0:3], v29, s[2:3]
	v_readfirstlane_b32 s10, v4
	v_readfirstlane_b32 s11, v5
	s_mov_b64 s[16:17], exec
	s_waitcnt vmcnt(1)
	v_readfirstlane_b32 s18, v6
	v_readfirstlane_b32 s19, v7
	s_and_b64 s[18:19], s[10:11], s[18:19]
	s_mul_i32 s15, s19, 24
	s_mul_hi_u32 s20, s18, 24
	s_add_i32 s21, s20, s15
	s_mul_i32 s20, s18, 24
	s_waitcnt vmcnt(0)
	v_lshl_add_u64 v[4:5], v[0:1], 0, s[20:21]
	s_and_saveexec_b64 s[20:21], s[0:1]
	s_cbranch_execz .LBB4_855
; %bb.854:
	v_mov_b64_e32 v[6:7], s[16:17]
	v_mov_b32_e32 v8, 2
	v_mov_b32_e32 v9, 1
	global_store_dwordx4 v[4:5], v[6:9], off offset:8
.LBB4_855:
	s_or_b64 exec, exec, s[20:21]
	s_lshl_b64 s[16:17], s[18:19], 12
	v_lshl_add_u64 v[6:7], v[2:3], 0, s[16:17]
	s_mov_b32 s16, 0
	v_mov_b32_e32 v8, 33
	v_mov_b32_e32 v9, v29
	;; [unrolled: 1-line block ×4, first 2 shown]
	v_readfirstlane_b32 s20, v6
	v_readfirstlane_b32 s21, v7
	s_mov_b32 s17, s16
	s_mov_b32 s18, s16
	;; [unrolled: 1-line block ×3, first 2 shown]
	s_nop 1
	global_store_dwordx4 v28, v[8:11], s[20:21]
	s_nop 1
	v_mov_b64_e32 v[8:9], s[16:17]
	v_mov_b64_e32 v[10:11], s[18:19]
	global_store_dwordx4 v28, v[8:11], s[20:21] offset:16
	global_store_dwordx4 v28, v[8:11], s[20:21] offset:32
	;; [unrolled: 1-line block ×3, first 2 shown]
	s_and_saveexec_b64 s[16:17], s[0:1]
	s_cbranch_execz .LBB4_863
; %bb.856:
	v_mov_b32_e32 v10, 0
	global_load_dwordx2 v[14:15], v10, s[2:3] offset:32 sc0 sc1
	global_load_dwordx2 v[2:3], v10, s[2:3] offset:40
	v_mov_b32_e32 v12, s10
	v_mov_b32_e32 v13, s11
	s_waitcnt vmcnt(0)
	v_readfirstlane_b32 s18, v2
	v_readfirstlane_b32 s19, v3
	s_and_b64 s[18:19], s[18:19], s[10:11]
	s_mul_i32 s15, s19, 24
	s_mul_hi_u32 s19, s18, 24
	s_mul_i32 s18, s18, 24
	s_add_i32 s19, s19, s15
	v_lshl_add_u64 v[8:9], v[0:1], 0, s[18:19]
	global_store_dwordx2 v[8:9], v[14:15], off
	buffer_wbl2 sc0 sc1
	s_waitcnt vmcnt(0)
	global_atomic_cmpswap_x2 v[2:3], v10, v[12:15], s[2:3] offset:32 sc0 sc1
	s_waitcnt vmcnt(0)
	v_cmp_ne_u64_e32 vcc, v[2:3], v[14:15]
	s_and_saveexec_b64 s[18:19], vcc
	s_cbranch_execz .LBB4_859
; %bb.857:
	s_mov_b64 s[20:21], 0
.LBB4_858:                              ; =>This Inner Loop Header: Depth=1
	s_sleep 1
	global_store_dwordx2 v[8:9], v[2:3], off
	v_mov_b32_e32 v0, s10
	v_mov_b32_e32 v1, s11
	buffer_wbl2 sc0 sc1
	s_waitcnt vmcnt(0)
	global_atomic_cmpswap_x2 v[0:1], v10, v[0:3], s[2:3] offset:32 sc0 sc1
	s_waitcnt vmcnt(0)
	v_cmp_eq_u64_e32 vcc, v[0:1], v[2:3]
	s_or_b64 s[20:21], vcc, s[20:21]
	v_mov_b64_e32 v[2:3], v[0:1]
	s_andn2_b64 exec, exec, s[20:21]
	s_cbranch_execnz .LBB4_858
.LBB4_859:
	s_or_b64 exec, exec, s[18:19]
	v_mov_b32_e32 v3, 0
	global_load_dwordx2 v[0:1], v3, s[2:3] offset:16
	s_mov_b64 s[18:19], exec
	v_mbcnt_lo_u32_b32 v2, s18, 0
	v_mbcnt_hi_u32_b32 v2, s19, v2
	v_cmp_eq_u32_e32 vcc, 0, v2
	s_and_saveexec_b64 s[20:21], vcc
	s_cbranch_execz .LBB4_861
; %bb.860:
	s_bcnt1_i32_b64 s15, s[18:19]
	v_mov_b32_e32 v2, s15
	buffer_wbl2 sc0 sc1
	s_waitcnt vmcnt(0)
	global_atomic_add_x2 v[0:1], v[2:3], off offset:8 sc1
.LBB4_861:
	s_or_b64 exec, exec, s[20:21]
	s_waitcnt vmcnt(0)
	global_load_dwordx2 v[2:3], v[0:1], off offset:16
	s_waitcnt vmcnt(0)
	v_cmp_eq_u64_e32 vcc, 0, v[2:3]
	s_cbranch_vccnz .LBB4_863
; %bb.862:
	global_load_dword v0, v[0:1], off offset:24
	v_mov_b32_e32 v1, 0
	buffer_wbl2 sc0 sc1
	s_waitcnt vmcnt(0)
	global_store_dwordx2 v[2:3], v[0:1], off sc0 sc1
	v_and_b32_e32 v0, 0xffffff, v0
	s_nop 0
	v_readfirstlane_b32 m0, v0
	s_sendmsg sendmsg(MSG_INTERRUPT)
.LBB4_863:
	s_or_b64 exec, exec, s[16:17]
	v_lshl_add_u64 v[0:1], v[6:7], 0, v[28:29]
	s_branch .LBB4_867
.LBB4_864:                              ;   in Loop: Header=BB4_867 Depth=1
	s_or_b64 exec, exec, s[16:17]
	v_readfirstlane_b32 s15, v2
	s_cmp_eq_u32 s15, 0
	s_cbranch_scc1 .LBB4_866
; %bb.865:                              ;   in Loop: Header=BB4_867 Depth=1
	s_sleep 1
	s_cbranch_execnz .LBB4_867
	s_branch .LBB4_869
.LBB4_866:
	s_branch .LBB4_869
.LBB4_867:                              ; =>This Inner Loop Header: Depth=1
	v_mov_b32_e32 v2, 1
	s_and_saveexec_b64 s[16:17], s[0:1]
	s_cbranch_execz .LBB4_864
; %bb.868:                              ;   in Loop: Header=BB4_867 Depth=1
	global_load_dword v2, v[4:5], off offset:20 sc0 sc1
	s_waitcnt vmcnt(0)
	buffer_inv sc0 sc1
	v_and_b32_e32 v2, 1, v2
	s_branch .LBB4_864
.LBB4_869:
	global_load_dwordx2 v[0:1], v[0:1], off
	s_and_saveexec_b64 s[16:17], s[0:1]
	s_cbranch_execz .LBB4_872
; %bb.870:
	v_mov_b32_e32 v8, 0
	global_load_dwordx2 v[6:7], v8, s[2:3] offset:40
	global_load_dwordx2 v[10:11], v8, s[2:3] offset:24 sc0 sc1
	global_load_dwordx2 v[12:13], v8, s[2:3]
	s_mov_b64 s[0:1], 0
	s_waitcnt vmcnt(2)
	v_lshl_add_u64 v[2:3], v[6:7], 0, 1
	v_lshl_add_u64 v[14:15], v[2:3], 0, s[10:11]
	v_cmp_eq_u64_e32 vcc, 0, v[14:15]
	s_waitcnt vmcnt(1)
	v_mov_b32_e32 v4, v10
	v_cndmask_b32_e32 v3, v15, v3, vcc
	v_cndmask_b32_e32 v2, v14, v2, vcc
	v_and_b32_e32 v5, v3, v7
	v_and_b32_e32 v6, v2, v6
	v_mul_lo_u32 v5, v5, 24
	v_mul_hi_u32 v7, v6, 24
	v_mul_lo_u32 v6, v6, 24
	v_add_u32_e32 v7, v7, v5
	s_waitcnt vmcnt(0)
	v_lshl_add_u64 v[6:7], v[12:13], 0, v[6:7]
	global_store_dwordx2 v[6:7], v[10:11], off
	v_mov_b32_e32 v5, v11
	buffer_wbl2 sc0 sc1
	s_waitcnt vmcnt(0)
	global_atomic_cmpswap_x2 v[4:5], v8, v[2:5], s[2:3] offset:24 sc0 sc1
	s_waitcnt vmcnt(0)
	v_cmp_ne_u64_e32 vcc, v[4:5], v[10:11]
	s_and_b64 exec, exec, vcc
	s_cbranch_execz .LBB4_872
.LBB4_871:                              ; =>This Inner Loop Header: Depth=1
	s_sleep 1
	global_store_dwordx2 v[6:7], v[4:5], off
	buffer_wbl2 sc0 sc1
	s_waitcnt vmcnt(0)
	global_atomic_cmpswap_x2 v[10:11], v8, v[2:5], s[2:3] offset:24 sc0 sc1
	s_waitcnt vmcnt(0)
	v_cmp_eq_u64_e32 vcc, v[10:11], v[4:5]
	s_or_b64 s[0:1], vcc, s[0:1]
	v_mov_b64_e32 v[4:5], v[10:11]
	s_andn2_b64 exec, exec, s[0:1]
	s_cbranch_execnz .LBB4_871
.LBB4_872:
	s_or_b64 exec, exec, s[16:17]
	s_getpc_b64 s[10:11]
	s_add_u32 s10, s10, .str.7@rel32@lo+4
	s_addc_u32 s11, s11, .str.7@rel32@hi+12
	s_cmp_lg_u64 s[10:11], 0
	s_cbranch_scc0 .LBB4_957
; %bb.873:
	s_waitcnt vmcnt(0)
	v_and_b32_e32 v30, 2, v0
	v_mov_b32_e32 v33, 0
	v_and_b32_e32 v2, -3, v0
	v_mov_b32_e32 v3, v1
	s_mov_b64 s[16:17], 4
	v_mov_b32_e32 v6, 2
	v_mov_b32_e32 v7, 1
	s_branch .LBB4_875
.LBB4_874:                              ;   in Loop: Header=BB4_875 Depth=1
	s_or_b64 exec, exec, s[22:23]
	s_sub_u32 s16, s16, s18
	s_subb_u32 s17, s17, s19
	s_add_u32 s10, s10, s18
	s_addc_u32 s11, s11, s19
	s_cmp_lg_u64 s[16:17], 0
	s_cbranch_scc0 .LBB4_956
.LBB4_875:                              ; =>This Loop Header: Depth=1
                                        ;     Child Loop BB4_878 Depth 2
                                        ;     Child Loop BB4_885 Depth 2
	;; [unrolled: 1-line block ×11, first 2 shown]
	v_cmp_lt_u64_e64 s[0:1], s[16:17], 56
	s_and_b64 s[0:1], s[0:1], exec
	v_cmp_gt_u64_e64 s[0:1], s[16:17], 7
	s_cselect_b32 s19, s17, 0
	s_cselect_b32 s18, s16, 56
	s_and_b64 vcc, exec, s[0:1]
	s_cbranch_vccnz .LBB4_880
; %bb.876:                              ;   in Loop: Header=BB4_875 Depth=1
	s_mov_b64 s[0:1], 0
	s_cmp_eq_u64 s[16:17], 0
	v_mov_b64_e32 v[10:11], 0
	s_cbranch_scc1 .LBB4_879
; %bb.877:                              ;   in Loop: Header=BB4_875 Depth=1
	s_lshl_b64 s[20:21], s[18:19], 3
	s_mov_b64 s[22:23], 0
	v_mov_b64_e32 v[10:11], 0
	s_mov_b64 s[24:25], s[10:11]
.LBB4_878:                              ;   Parent Loop BB4_875 Depth=1
                                        ; =>  This Inner Loop Header: Depth=2
	global_load_ubyte v4, v33, s[24:25]
	s_waitcnt vmcnt(0)
	v_and_b32_e32 v32, 0xffff, v4
	v_lshlrev_b64 v[4:5], s22, v[32:33]
	s_add_u32 s22, s22, 8
	s_addc_u32 s23, s23, 0
	s_add_u32 s24, s24, 1
	s_addc_u32 s25, s25, 0
	v_or_b32_e32 v10, v4, v10
	s_cmp_lg_u32 s20, s22
	v_or_b32_e32 v11, v5, v11
	s_cbranch_scc1 .LBB4_878
.LBB4_879:                              ;   in Loop: Header=BB4_875 Depth=1
	s_mov_b32 s15, 0
	s_andn2_b64 vcc, exec, s[0:1]
	s_mov_b64 s[0:1], s[10:11]
	s_cbranch_vccz .LBB4_881
	s_branch .LBB4_882
.LBB4_880:                              ;   in Loop: Header=BB4_875 Depth=1
                                        ; implicit-def: $vgpr10_vgpr11
                                        ; implicit-def: $sgpr15
	s_mov_b64 s[0:1], s[10:11]
.LBB4_881:                              ;   in Loop: Header=BB4_875 Depth=1
	global_load_dwordx2 v[10:11], v33, s[10:11]
	s_add_i32 s15, s18, -8
	s_add_u32 s0, s10, 8
	s_addc_u32 s1, s11, 0
.LBB4_882:                              ;   in Loop: Header=BB4_875 Depth=1
	s_cmp_gt_u32 s15, 7
	s_cbranch_scc1 .LBB4_886
; %bb.883:                              ;   in Loop: Header=BB4_875 Depth=1
	s_cmp_eq_u32 s15, 0
	s_cbranch_scc1 .LBB4_887
; %bb.884:                              ;   in Loop: Header=BB4_875 Depth=1
	s_mov_b64 s[20:21], 0
	v_mov_b64_e32 v[12:13], 0
	s_mov_b64 s[22:23], 0
.LBB4_885:                              ;   Parent Loop BB4_875 Depth=1
                                        ; =>  This Inner Loop Header: Depth=2
	s_add_u32 s24, s0, s22
	s_addc_u32 s25, s1, s23
	global_load_ubyte v4, v33, s[24:25]
	s_add_u32 s22, s22, 1
	s_addc_u32 s23, s23, 0
	s_waitcnt vmcnt(0)
	v_and_b32_e32 v32, 0xffff, v4
	v_lshlrev_b64 v[4:5], s20, v[32:33]
	s_add_u32 s20, s20, 8
	s_addc_u32 s21, s21, 0
	v_or_b32_e32 v12, v4, v12
	s_cmp_lg_u32 s15, s22
	v_or_b32_e32 v13, v5, v13
	s_cbranch_scc1 .LBB4_885
	s_branch .LBB4_888
.LBB4_886:                              ;   in Loop: Header=BB4_875 Depth=1
                                        ; implicit-def: $vgpr12_vgpr13
                                        ; implicit-def: $sgpr24
	s_branch .LBB4_889
.LBB4_887:                              ;   in Loop: Header=BB4_875 Depth=1
	v_mov_b64_e32 v[12:13], 0
.LBB4_888:                              ;   in Loop: Header=BB4_875 Depth=1
	s_mov_b32 s24, 0
	s_cbranch_execnz .LBB4_890
.LBB4_889:                              ;   in Loop: Header=BB4_875 Depth=1
	global_load_dwordx2 v[12:13], v33, s[0:1]
	s_add_i32 s24, s15, -8
	s_add_u32 s0, s0, 8
	s_addc_u32 s1, s1, 0
.LBB4_890:                              ;   in Loop: Header=BB4_875 Depth=1
	s_cmp_gt_u32 s24, 7
	s_cbranch_scc1 .LBB4_894
; %bb.891:                              ;   in Loop: Header=BB4_875 Depth=1
	s_cmp_eq_u32 s24, 0
	s_cbranch_scc1 .LBB4_895
; %bb.892:                              ;   in Loop: Header=BB4_875 Depth=1
	s_mov_b64 s[20:21], 0
	v_mov_b64_e32 v[14:15], 0
	s_mov_b64 s[22:23], 0
.LBB4_893:                              ;   Parent Loop BB4_875 Depth=1
                                        ; =>  This Inner Loop Header: Depth=2
	s_add_u32 s26, s0, s22
	s_addc_u32 s27, s1, s23
	global_load_ubyte v4, v33, s[26:27]
	s_add_u32 s22, s22, 1
	s_addc_u32 s23, s23, 0
	s_waitcnt vmcnt(0)
	v_and_b32_e32 v32, 0xffff, v4
	v_lshlrev_b64 v[4:5], s20, v[32:33]
	s_add_u32 s20, s20, 8
	s_addc_u32 s21, s21, 0
	v_or_b32_e32 v14, v4, v14
	s_cmp_lg_u32 s24, s22
	v_or_b32_e32 v15, v5, v15
	s_cbranch_scc1 .LBB4_893
	s_branch .LBB4_896
.LBB4_894:                              ;   in Loop: Header=BB4_875 Depth=1
                                        ; implicit-def: $sgpr15
	s_branch .LBB4_897
.LBB4_895:                              ;   in Loop: Header=BB4_875 Depth=1
	v_mov_b64_e32 v[14:15], 0
.LBB4_896:                              ;   in Loop: Header=BB4_875 Depth=1
	s_mov_b32 s15, 0
	s_cbranch_execnz .LBB4_898
.LBB4_897:                              ;   in Loop: Header=BB4_875 Depth=1
	global_load_dwordx2 v[14:15], v33, s[0:1]
	s_add_i32 s15, s24, -8
	s_add_u32 s0, s0, 8
	s_addc_u32 s1, s1, 0
.LBB4_898:                              ;   in Loop: Header=BB4_875 Depth=1
	s_cmp_gt_u32 s15, 7
	s_cbranch_scc1 .LBB4_902
; %bb.899:                              ;   in Loop: Header=BB4_875 Depth=1
	s_cmp_eq_u32 s15, 0
	s_cbranch_scc1 .LBB4_903
; %bb.900:                              ;   in Loop: Header=BB4_875 Depth=1
	s_mov_b64 s[20:21], 0
	v_mov_b64_e32 v[16:17], 0
	s_mov_b64 s[22:23], 0
.LBB4_901:                              ;   Parent Loop BB4_875 Depth=1
                                        ; =>  This Inner Loop Header: Depth=2
	s_add_u32 s24, s0, s22
	s_addc_u32 s25, s1, s23
	global_load_ubyte v4, v33, s[24:25]
	s_add_u32 s22, s22, 1
	s_addc_u32 s23, s23, 0
	s_waitcnt vmcnt(0)
	v_and_b32_e32 v32, 0xffff, v4
	v_lshlrev_b64 v[4:5], s20, v[32:33]
	s_add_u32 s20, s20, 8
	s_addc_u32 s21, s21, 0
	v_or_b32_e32 v16, v4, v16
	s_cmp_lg_u32 s15, s22
	v_or_b32_e32 v17, v5, v17
	s_cbranch_scc1 .LBB4_901
	s_branch .LBB4_904
.LBB4_902:                              ;   in Loop: Header=BB4_875 Depth=1
                                        ; implicit-def: $vgpr16_vgpr17
                                        ; implicit-def: $sgpr24
	s_branch .LBB4_905
.LBB4_903:                              ;   in Loop: Header=BB4_875 Depth=1
	v_mov_b64_e32 v[16:17], 0
.LBB4_904:                              ;   in Loop: Header=BB4_875 Depth=1
	s_mov_b32 s24, 0
	s_cbranch_execnz .LBB4_906
.LBB4_905:                              ;   in Loop: Header=BB4_875 Depth=1
	global_load_dwordx2 v[16:17], v33, s[0:1]
	s_add_i32 s24, s15, -8
	s_add_u32 s0, s0, 8
	s_addc_u32 s1, s1, 0
.LBB4_906:                              ;   in Loop: Header=BB4_875 Depth=1
	s_cmp_gt_u32 s24, 7
	s_cbranch_scc1 .LBB4_910
; %bb.907:                              ;   in Loop: Header=BB4_875 Depth=1
	s_cmp_eq_u32 s24, 0
	s_cbranch_scc1 .LBB4_911
; %bb.908:                              ;   in Loop: Header=BB4_875 Depth=1
	s_mov_b64 s[20:21], 0
	v_mov_b64_e32 v[18:19], 0
	s_mov_b64 s[22:23], 0
.LBB4_909:                              ;   Parent Loop BB4_875 Depth=1
                                        ; =>  This Inner Loop Header: Depth=2
	s_add_u32 s26, s0, s22
	s_addc_u32 s27, s1, s23
	global_load_ubyte v4, v33, s[26:27]
	s_add_u32 s22, s22, 1
	s_addc_u32 s23, s23, 0
	s_waitcnt vmcnt(0)
	v_and_b32_e32 v32, 0xffff, v4
	v_lshlrev_b64 v[4:5], s20, v[32:33]
	s_add_u32 s20, s20, 8
	s_addc_u32 s21, s21, 0
	v_or_b32_e32 v18, v4, v18
	s_cmp_lg_u32 s24, s22
	v_or_b32_e32 v19, v5, v19
	s_cbranch_scc1 .LBB4_909
	s_branch .LBB4_912
.LBB4_910:                              ;   in Loop: Header=BB4_875 Depth=1
                                        ; implicit-def: $sgpr15
	s_branch .LBB4_913
.LBB4_911:                              ;   in Loop: Header=BB4_875 Depth=1
	v_mov_b64_e32 v[18:19], 0
.LBB4_912:                              ;   in Loop: Header=BB4_875 Depth=1
	s_mov_b32 s15, 0
	s_cbranch_execnz .LBB4_914
.LBB4_913:                              ;   in Loop: Header=BB4_875 Depth=1
	global_load_dwordx2 v[18:19], v33, s[0:1]
	s_add_i32 s15, s24, -8
	s_add_u32 s0, s0, 8
	s_addc_u32 s1, s1, 0
.LBB4_914:                              ;   in Loop: Header=BB4_875 Depth=1
	s_cmp_gt_u32 s15, 7
	s_cbranch_scc1 .LBB4_918
; %bb.915:                              ;   in Loop: Header=BB4_875 Depth=1
	s_cmp_eq_u32 s15, 0
	s_cbranch_scc1 .LBB4_919
; %bb.916:                              ;   in Loop: Header=BB4_875 Depth=1
	s_mov_b64 s[20:21], 0
	v_mov_b64_e32 v[20:21], 0
	s_mov_b64 s[22:23], 0
.LBB4_917:                              ;   Parent Loop BB4_875 Depth=1
                                        ; =>  This Inner Loop Header: Depth=2
	s_add_u32 s24, s0, s22
	s_addc_u32 s25, s1, s23
	global_load_ubyte v4, v33, s[24:25]
	s_add_u32 s22, s22, 1
	s_addc_u32 s23, s23, 0
	s_waitcnt vmcnt(0)
	v_and_b32_e32 v32, 0xffff, v4
	v_lshlrev_b64 v[4:5], s20, v[32:33]
	s_add_u32 s20, s20, 8
	s_addc_u32 s21, s21, 0
	v_or_b32_e32 v20, v4, v20
	s_cmp_lg_u32 s15, s22
	v_or_b32_e32 v21, v5, v21
	s_cbranch_scc1 .LBB4_917
	s_branch .LBB4_920
.LBB4_918:                              ;   in Loop: Header=BB4_875 Depth=1
                                        ; implicit-def: $vgpr20_vgpr21
                                        ; implicit-def: $sgpr24
	s_branch .LBB4_921
.LBB4_919:                              ;   in Loop: Header=BB4_875 Depth=1
	v_mov_b64_e32 v[20:21], 0
.LBB4_920:                              ;   in Loop: Header=BB4_875 Depth=1
	s_mov_b32 s24, 0
	s_cbranch_execnz .LBB4_922
.LBB4_921:                              ;   in Loop: Header=BB4_875 Depth=1
	global_load_dwordx2 v[20:21], v33, s[0:1]
	s_add_i32 s24, s15, -8
	s_add_u32 s0, s0, 8
	s_addc_u32 s1, s1, 0
.LBB4_922:                              ;   in Loop: Header=BB4_875 Depth=1
	s_cmp_gt_u32 s24, 7
	s_cbranch_scc1 .LBB4_926
; %bb.923:                              ;   in Loop: Header=BB4_875 Depth=1
	s_cmp_eq_u32 s24, 0
	s_cbranch_scc1 .LBB4_927
; %bb.924:                              ;   in Loop: Header=BB4_875 Depth=1
	s_mov_b64 s[20:21], 0
	v_mov_b64_e32 v[22:23], 0
	s_mov_b64 s[22:23], s[0:1]
.LBB4_925:                              ;   Parent Loop BB4_875 Depth=1
                                        ; =>  This Inner Loop Header: Depth=2
	global_load_ubyte v4, v33, s[22:23]
	s_add_i32 s24, s24, -1
	s_waitcnt vmcnt(0)
	v_and_b32_e32 v32, 0xffff, v4
	v_lshlrev_b64 v[4:5], s20, v[32:33]
	s_add_u32 s20, s20, 8
	s_addc_u32 s21, s21, 0
	s_add_u32 s22, s22, 1
	s_addc_u32 s23, s23, 0
	v_or_b32_e32 v22, v4, v22
	s_cmp_lg_u32 s24, 0
	v_or_b32_e32 v23, v5, v23
	s_cbranch_scc1 .LBB4_925
	s_branch .LBB4_928
.LBB4_926:                              ;   in Loop: Header=BB4_875 Depth=1
	s_branch .LBB4_929
.LBB4_927:                              ;   in Loop: Header=BB4_875 Depth=1
	v_mov_b64_e32 v[22:23], 0
.LBB4_928:                              ;   in Loop: Header=BB4_875 Depth=1
	s_cbranch_execnz .LBB4_930
.LBB4_929:                              ;   in Loop: Header=BB4_875 Depth=1
	global_load_dwordx2 v[22:23], v33, s[0:1]
.LBB4_930:                              ;   in Loop: Header=BB4_875 Depth=1
	v_readfirstlane_b32 s0, v36
	s_waitcnt vmcnt(0)
	v_mov_b64_e32 v[4:5], 0
	v_cmp_eq_u32_e64 s[0:1], s0, v36
	s_and_saveexec_b64 s[20:21], s[0:1]
	s_cbranch_execz .LBB4_936
; %bb.931:                              ;   in Loop: Header=BB4_875 Depth=1
	global_load_dwordx2 v[26:27], v33, s[2:3] offset:24 sc0 sc1
	s_waitcnt vmcnt(0)
	buffer_inv sc0 sc1
	global_load_dwordx2 v[4:5], v33, s[2:3] offset:40
	global_load_dwordx2 v[8:9], v33, s[2:3]
	s_waitcnt vmcnt(1)
	v_and_b32_e32 v4, v4, v26
	v_and_b32_e32 v5, v5, v27
	v_mul_lo_u32 v5, v5, 24
	v_mul_hi_u32 v24, v4, 24
	v_add_u32_e32 v5, v24, v5
	v_mul_lo_u32 v4, v4, 24
	s_waitcnt vmcnt(0)
	v_lshl_add_u64 v[4:5], v[8:9], 0, v[4:5]
	global_load_dwordx2 v[24:25], v[4:5], off sc0 sc1
	s_waitcnt vmcnt(0)
	global_atomic_cmpswap_x2 v[4:5], v33, v[24:27], s[2:3] offset:24 sc0 sc1
	s_waitcnt vmcnt(0)
	buffer_inv sc0 sc1
	v_cmp_ne_u64_e32 vcc, v[4:5], v[26:27]
	s_and_saveexec_b64 s[22:23], vcc
	s_cbranch_execz .LBB4_935
; %bb.932:                              ;   in Loop: Header=BB4_875 Depth=1
	s_mov_b64 s[24:25], 0
.LBB4_933:                              ;   Parent Loop BB4_875 Depth=1
                                        ; =>  This Inner Loop Header: Depth=2
	s_sleep 1
	global_load_dwordx2 v[8:9], v33, s[2:3] offset:40
	global_load_dwordx2 v[24:25], v33, s[2:3]
	v_mov_b64_e32 v[26:27], v[4:5]
	s_waitcnt vmcnt(1)
	v_and_b32_e32 v4, v8, v26
	s_waitcnt vmcnt(0)
	v_mad_u64_u32 v[4:5], s[26:27], v4, 24, v[24:25]
	v_and_b32_e32 v9, v9, v27
	v_mov_b32_e32 v8, v5
	v_mad_u64_u32 v[8:9], s[26:27], v9, 24, v[8:9]
	v_mov_b32_e32 v5, v8
	global_load_dwordx2 v[24:25], v[4:5], off sc0 sc1
	s_waitcnt vmcnt(0)
	global_atomic_cmpswap_x2 v[4:5], v33, v[24:27], s[2:3] offset:24 sc0 sc1
	s_waitcnt vmcnt(0)
	buffer_inv sc0 sc1
	v_cmp_eq_u64_e32 vcc, v[4:5], v[26:27]
	s_or_b64 s[24:25], vcc, s[24:25]
	s_andn2_b64 exec, exec, s[24:25]
	s_cbranch_execnz .LBB4_933
; %bb.934:                              ;   in Loop: Header=BB4_875 Depth=1
	s_or_b64 exec, exec, s[24:25]
.LBB4_935:                              ;   in Loop: Header=BB4_875 Depth=1
	s_or_b64 exec, exec, s[22:23]
.LBB4_936:                              ;   in Loop: Header=BB4_875 Depth=1
	s_or_b64 exec, exec, s[20:21]
	global_load_dwordx2 v[8:9], v33, s[2:3] offset:40
	global_load_dwordx4 v[24:27], v33, s[2:3]
	v_readfirstlane_b32 s20, v4
	v_readfirstlane_b32 s21, v5
	s_mov_b64 s[22:23], exec
	s_waitcnt vmcnt(1)
	v_readfirstlane_b32 s24, v8
	v_readfirstlane_b32 s25, v9
	s_and_b64 s[24:25], s[20:21], s[24:25]
	s_mul_i32 s15, s25, 24
	s_mul_hi_u32 s26, s24, 24
	s_add_i32 s27, s26, s15
	s_mul_i32 s26, s24, 24
	s_waitcnt vmcnt(0)
	v_lshl_add_u64 v[34:35], v[24:25], 0, s[26:27]
	s_and_saveexec_b64 s[26:27], s[0:1]
	s_cbranch_execz .LBB4_938
; %bb.937:                              ;   in Loop: Header=BB4_875 Depth=1
	v_mov_b64_e32 v[4:5], s[22:23]
	global_store_dwordx4 v[34:35], v[4:7], off offset:8
.LBB4_938:                              ;   in Loop: Header=BB4_875 Depth=1
	s_or_b64 exec, exec, s[26:27]
	s_nop 0
	v_or_b32_e32 v5, v2, v30
	v_cmp_gt_u64_e64 vcc, s[16:17], 56
	s_lshl_b32 s15, s18, 2
	s_lshl_b64 s[22:23], s[24:25], 12
	v_cndmask_b32_e32 v2, v5, v2, vcc
	s_add_i32 s15, s15, 28
	v_lshl_add_u64 v[26:27], v[26:27], 0, s[22:23]
	v_or_b32_e32 v4, 0, v3
	s_and_b32 s15, s15, 0x1e0
	v_and_b32_e32 v2, 0xffffff1f, v2
	v_cndmask_b32_e32 v9, v4, v3, vcc
	v_or_b32_e32 v8, s15, v2
	v_readfirstlane_b32 s22, v26
	v_readfirstlane_b32 s23, v27
	s_nop 4
	global_store_dwordx4 v28, v[8:11], s[22:23]
	global_store_dwordx4 v28, v[12:15], s[22:23] offset:16
	global_store_dwordx4 v28, v[16:19], s[22:23] offset:32
	;; [unrolled: 1-line block ×3, first 2 shown]
	s_and_saveexec_b64 s[22:23], s[0:1]
	s_cbranch_execz .LBB4_946
; %bb.939:                              ;   in Loop: Header=BB4_875 Depth=1
	global_load_dwordx2 v[12:13], v33, s[2:3] offset:32 sc0 sc1
	global_load_dwordx2 v[2:3], v33, s[2:3] offset:40
	v_mov_b32_e32 v10, s20
	v_mov_b32_e32 v11, s21
	s_waitcnt vmcnt(0)
	v_readfirstlane_b32 s24, v2
	v_readfirstlane_b32 s25, v3
	s_and_b64 s[24:25], s[24:25], s[20:21]
	s_mul_i32 s15, s25, 24
	s_mul_hi_u32 s25, s24, 24
	s_mul_i32 s24, s24, 24
	s_add_i32 s25, s25, s15
	v_lshl_add_u64 v[8:9], v[24:25], 0, s[24:25]
	global_store_dwordx2 v[8:9], v[12:13], off
	buffer_wbl2 sc0 sc1
	s_waitcnt vmcnt(0)
	global_atomic_cmpswap_x2 v[4:5], v33, v[10:13], s[2:3] offset:32 sc0 sc1
	s_waitcnt vmcnt(0)
	v_cmp_ne_u64_e32 vcc, v[4:5], v[12:13]
	s_and_saveexec_b64 s[24:25], vcc
	s_cbranch_execz .LBB4_942
; %bb.940:                              ;   in Loop: Header=BB4_875 Depth=1
	s_mov_b64 s[26:27], 0
.LBB4_941:                              ;   Parent Loop BB4_875 Depth=1
                                        ; =>  This Inner Loop Header: Depth=2
	s_sleep 1
	global_store_dwordx2 v[8:9], v[4:5], off
	v_mov_b32_e32 v2, s20
	v_mov_b32_e32 v3, s21
	buffer_wbl2 sc0 sc1
	s_waitcnt vmcnt(0)
	global_atomic_cmpswap_x2 v[2:3], v33, v[2:5], s[2:3] offset:32 sc0 sc1
	s_waitcnt vmcnt(0)
	v_cmp_eq_u64_e32 vcc, v[2:3], v[4:5]
	s_or_b64 s[26:27], vcc, s[26:27]
	v_mov_b64_e32 v[4:5], v[2:3]
	s_andn2_b64 exec, exec, s[26:27]
	s_cbranch_execnz .LBB4_941
.LBB4_942:                              ;   in Loop: Header=BB4_875 Depth=1
	s_or_b64 exec, exec, s[24:25]
	global_load_dwordx2 v[2:3], v33, s[2:3] offset:16
	s_mov_b64 s[26:27], exec
	v_mbcnt_lo_u32_b32 v4, s26, 0
	v_mbcnt_hi_u32_b32 v4, s27, v4
	v_cmp_eq_u32_e32 vcc, 0, v4
	s_and_saveexec_b64 s[24:25], vcc
	s_cbranch_execz .LBB4_944
; %bb.943:                              ;   in Loop: Header=BB4_875 Depth=1
	s_bcnt1_i32_b64 s15, s[26:27]
	v_mov_b32_e32 v32, s15
	buffer_wbl2 sc0 sc1
	s_waitcnt vmcnt(0)
	global_atomic_add_x2 v[2:3], v[32:33], off offset:8 sc1
.LBB4_944:                              ;   in Loop: Header=BB4_875 Depth=1
	s_or_b64 exec, exec, s[24:25]
	s_waitcnt vmcnt(0)
	global_load_dwordx2 v[4:5], v[2:3], off offset:16
	s_waitcnt vmcnt(0)
	v_cmp_eq_u64_e32 vcc, 0, v[4:5]
	s_cbranch_vccnz .LBB4_946
; %bb.945:                              ;   in Loop: Header=BB4_875 Depth=1
	global_load_dword v32, v[2:3], off offset:24
	s_waitcnt vmcnt(0)
	v_and_b32_e32 v2, 0xffffff, v32
	s_nop 0
	v_readfirstlane_b32 m0, v2
	buffer_wbl2 sc0 sc1
	global_store_dwordx2 v[4:5], v[32:33], off sc0 sc1
	s_sendmsg sendmsg(MSG_INTERRUPT)
.LBB4_946:                              ;   in Loop: Header=BB4_875 Depth=1
	s_or_b64 exec, exec, s[22:23]
	v_mov_b32_e32 v29, v33
	v_lshl_add_u64 v[2:3], v[26:27], 0, v[28:29]
	s_branch .LBB4_950
.LBB4_947:                              ;   in Loop: Header=BB4_950 Depth=2
	s_or_b64 exec, exec, s[22:23]
	v_readfirstlane_b32 s15, v4
	s_cmp_eq_u32 s15, 0
	s_cbranch_scc1 .LBB4_949
; %bb.948:                              ;   in Loop: Header=BB4_950 Depth=2
	s_sleep 1
	s_cbranch_execnz .LBB4_950
	s_branch .LBB4_952
.LBB4_949:                              ;   in Loop: Header=BB4_875 Depth=1
	s_branch .LBB4_952
.LBB4_950:                              ;   Parent Loop BB4_875 Depth=1
                                        ; =>  This Inner Loop Header: Depth=2
	v_mov_b32_e32 v4, 1
	s_and_saveexec_b64 s[22:23], s[0:1]
	s_cbranch_execz .LBB4_947
; %bb.951:                              ;   in Loop: Header=BB4_950 Depth=2
	global_load_dword v4, v[34:35], off offset:20 sc0 sc1
	s_waitcnt vmcnt(0)
	buffer_inv sc0 sc1
	v_and_b32_e32 v4, 1, v4
	s_branch .LBB4_947
.LBB4_952:                              ;   in Loop: Header=BB4_875 Depth=1
	global_load_dwordx4 v[2:5], v[2:3], off
	s_and_saveexec_b64 s[22:23], s[0:1]
	s_cbranch_execz .LBB4_874
; %bb.953:                              ;   in Loop: Header=BB4_875 Depth=1
	global_load_dwordx2 v[4:5], v33, s[2:3] offset:40
	global_load_dwordx2 v[12:13], v33, s[2:3] offset:24 sc0 sc1
	global_load_dwordx2 v[14:15], v33, s[2:3]
	s_waitcnt vmcnt(2)
	v_lshl_add_u64 v[8:9], v[4:5], 0, 1
	v_lshl_add_u64 v[16:17], v[8:9], 0, s[20:21]
	v_cmp_eq_u64_e32 vcc, 0, v[16:17]
	s_waitcnt vmcnt(1)
	v_mov_b32_e32 v10, v12
	v_cndmask_b32_e32 v9, v17, v9, vcc
	v_cndmask_b32_e32 v8, v16, v8, vcc
	v_and_b32_e32 v5, v9, v5
	v_and_b32_e32 v4, v8, v4
	v_mul_lo_u32 v5, v5, 24
	v_mul_hi_u32 v11, v4, 24
	v_mul_lo_u32 v4, v4, 24
	v_add_u32_e32 v5, v11, v5
	s_waitcnt vmcnt(0)
	v_lshl_add_u64 v[4:5], v[14:15], 0, v[4:5]
	global_store_dwordx2 v[4:5], v[12:13], off
	v_mov_b32_e32 v11, v13
	buffer_wbl2 sc0 sc1
	s_waitcnt vmcnt(0)
	global_atomic_cmpswap_x2 v[10:11], v33, v[8:11], s[2:3] offset:24 sc0 sc1
	s_waitcnt vmcnt(0)
	v_cmp_ne_u64_e32 vcc, v[10:11], v[12:13]
	s_and_b64 exec, exec, vcc
	s_cbranch_execz .LBB4_874
; %bb.954:                              ;   in Loop: Header=BB4_875 Depth=1
	s_mov_b64 s[0:1], 0
.LBB4_955:                              ;   Parent Loop BB4_875 Depth=1
                                        ; =>  This Inner Loop Header: Depth=2
	s_sleep 1
	global_store_dwordx2 v[4:5], v[10:11], off
	buffer_wbl2 sc0 sc1
	s_waitcnt vmcnt(0)
	global_atomic_cmpswap_x2 v[12:13], v33, v[8:11], s[2:3] offset:24 sc0 sc1
	s_waitcnt vmcnt(0)
	v_cmp_eq_u64_e32 vcc, v[12:13], v[10:11]
	s_or_b64 s[0:1], vcc, s[0:1]
	v_mov_b64_e32 v[10:11], v[12:13]
	s_andn2_b64 exec, exec, s[0:1]
	s_cbranch_execnz .LBB4_955
	s_branch .LBB4_874
.LBB4_956:
	s_branch .LBB4_984
.LBB4_957:
                                        ; implicit-def: $vgpr2_vgpr3
	s_cbranch_execz .LBB4_984
; %bb.958:
	v_readfirstlane_b32 s0, v36
	s_waitcnt vmcnt(0)
	v_mov_b64_e32 v[2:3], 0
	v_cmp_eq_u32_e64 s[0:1], s0, v36
	s_and_saveexec_b64 s[10:11], s[0:1]
	s_cbranch_execz .LBB4_964
; %bb.959:
	v_mov_b32_e32 v4, 0
	global_load_dwordx2 v[8:9], v4, s[2:3] offset:24 sc0 sc1
	s_waitcnt vmcnt(0)
	buffer_inv sc0 sc1
	global_load_dwordx2 v[2:3], v4, s[2:3] offset:40
	global_load_dwordx2 v[6:7], v4, s[2:3]
	s_waitcnt vmcnt(1)
	v_and_b32_e32 v2, v2, v8
	v_and_b32_e32 v3, v3, v9
	v_mul_lo_u32 v3, v3, 24
	v_mul_hi_u32 v5, v2, 24
	v_add_u32_e32 v3, v5, v3
	v_mul_lo_u32 v2, v2, 24
	s_waitcnt vmcnt(0)
	v_lshl_add_u64 v[2:3], v[6:7], 0, v[2:3]
	global_load_dwordx2 v[6:7], v[2:3], off sc0 sc1
	s_waitcnt vmcnt(0)
	global_atomic_cmpswap_x2 v[2:3], v4, v[6:9], s[2:3] offset:24 sc0 sc1
	s_waitcnt vmcnt(0)
	buffer_inv sc0 sc1
	v_cmp_ne_u64_e32 vcc, v[2:3], v[8:9]
	s_and_saveexec_b64 s[16:17], vcc
	s_cbranch_execz .LBB4_963
; %bb.960:
	s_mov_b64 s[18:19], 0
.LBB4_961:                              ; =>This Inner Loop Header: Depth=1
	s_sleep 1
	global_load_dwordx2 v[6:7], v4, s[2:3] offset:40
	global_load_dwordx2 v[10:11], v4, s[2:3]
	v_mov_b64_e32 v[8:9], v[2:3]
	s_waitcnt vmcnt(1)
	v_and_b32_e32 v2, v6, v8
	s_waitcnt vmcnt(0)
	v_mad_u64_u32 v[2:3], s[20:21], v2, 24, v[10:11]
	v_and_b32_e32 v5, v7, v9
	v_mov_b32_e32 v6, v3
	v_mad_u64_u32 v[6:7], s[20:21], v5, 24, v[6:7]
	v_mov_b32_e32 v3, v6
	global_load_dwordx2 v[6:7], v[2:3], off sc0 sc1
	s_waitcnt vmcnt(0)
	global_atomic_cmpswap_x2 v[2:3], v4, v[6:9], s[2:3] offset:24 sc0 sc1
	s_waitcnt vmcnt(0)
	buffer_inv sc0 sc1
	v_cmp_eq_u64_e32 vcc, v[2:3], v[8:9]
	s_or_b64 s[18:19], vcc, s[18:19]
	s_andn2_b64 exec, exec, s[18:19]
	s_cbranch_execnz .LBB4_961
; %bb.962:
	s_or_b64 exec, exec, s[18:19]
.LBB4_963:
	s_or_b64 exec, exec, s[16:17]
.LBB4_964:
	s_or_b64 exec, exec, s[10:11]
	v_mov_b32_e32 v29, 0
	global_load_dwordx2 v[8:9], v29, s[2:3] offset:40
	global_load_dwordx4 v[4:7], v29, s[2:3]
	v_readfirstlane_b32 s10, v2
	v_readfirstlane_b32 s11, v3
	s_mov_b64 s[16:17], exec
	s_waitcnt vmcnt(1)
	v_readfirstlane_b32 s18, v8
	v_readfirstlane_b32 s19, v9
	s_and_b64 s[18:19], s[10:11], s[18:19]
	s_mul_i32 s15, s19, 24
	s_mul_hi_u32 s20, s18, 24
	s_add_i32 s21, s20, s15
	s_mul_i32 s20, s18, 24
	s_waitcnt vmcnt(0)
	v_lshl_add_u64 v[8:9], v[4:5], 0, s[20:21]
	s_and_saveexec_b64 s[20:21], s[0:1]
	s_cbranch_execz .LBB4_966
; %bb.965:
	v_mov_b64_e32 v[10:11], s[16:17]
	v_mov_b32_e32 v12, 2
	v_mov_b32_e32 v13, 1
	global_store_dwordx4 v[8:9], v[10:13], off offset:8
.LBB4_966:
	s_or_b64 exec, exec, s[20:21]
	s_lshl_b64 s[16:17], s[18:19], 12
	v_lshl_add_u64 v[6:7], v[6:7], 0, s[16:17]
	s_movk_i32 s15, 0xff1f
	s_mov_b32 s16, 0
	v_and_or_b32 v0, v0, s15, 32
	v_mov_b32_e32 v2, v29
	v_mov_b32_e32 v3, v29
	v_readfirstlane_b32 s20, v6
	v_readfirstlane_b32 s21, v7
	s_mov_b32 s17, s16
	s_mov_b32 s18, s16
	;; [unrolled: 1-line block ×3, first 2 shown]
	s_nop 1
	global_store_dwordx4 v28, v[0:3], s[20:21]
	s_nop 1
	v_mov_b64_e32 v[0:1], s[16:17]
	v_mov_b64_e32 v[2:3], s[18:19]
	global_store_dwordx4 v28, v[0:3], s[20:21] offset:16
	global_store_dwordx4 v28, v[0:3], s[20:21] offset:32
	global_store_dwordx4 v28, v[0:3], s[20:21] offset:48
	s_and_saveexec_b64 s[16:17], s[0:1]
	s_cbranch_execz .LBB4_974
; %bb.967:
	v_mov_b32_e32 v10, 0
	global_load_dwordx2 v[14:15], v10, s[2:3] offset:32 sc0 sc1
	global_load_dwordx2 v[0:1], v10, s[2:3] offset:40
	v_mov_b32_e32 v12, s10
	v_mov_b32_e32 v13, s11
	s_waitcnt vmcnt(0)
	v_readfirstlane_b32 s18, v0
	v_readfirstlane_b32 s19, v1
	s_and_b64 s[18:19], s[18:19], s[10:11]
	s_mul_i32 s15, s19, 24
	s_mul_hi_u32 s19, s18, 24
	s_mul_i32 s18, s18, 24
	s_add_i32 s19, s19, s15
	v_lshl_add_u64 v[4:5], v[4:5], 0, s[18:19]
	global_store_dwordx2 v[4:5], v[14:15], off
	buffer_wbl2 sc0 sc1
	s_waitcnt vmcnt(0)
	global_atomic_cmpswap_x2 v[2:3], v10, v[12:15], s[2:3] offset:32 sc0 sc1
	s_waitcnt vmcnt(0)
	v_cmp_ne_u64_e32 vcc, v[2:3], v[14:15]
	s_and_saveexec_b64 s[18:19], vcc
	s_cbranch_execz .LBB4_970
; %bb.968:
	s_mov_b64 s[20:21], 0
.LBB4_969:                              ; =>This Inner Loop Header: Depth=1
	s_sleep 1
	global_store_dwordx2 v[4:5], v[2:3], off
	v_mov_b32_e32 v0, s10
	v_mov_b32_e32 v1, s11
	buffer_wbl2 sc0 sc1
	s_waitcnt vmcnt(0)
	global_atomic_cmpswap_x2 v[0:1], v10, v[0:3], s[2:3] offset:32 sc0 sc1
	s_waitcnt vmcnt(0)
	v_cmp_eq_u64_e32 vcc, v[0:1], v[2:3]
	s_or_b64 s[20:21], vcc, s[20:21]
	v_mov_b64_e32 v[2:3], v[0:1]
	s_andn2_b64 exec, exec, s[20:21]
	s_cbranch_execnz .LBB4_969
.LBB4_970:
	s_or_b64 exec, exec, s[18:19]
	v_mov_b32_e32 v3, 0
	global_load_dwordx2 v[0:1], v3, s[2:3] offset:16
	s_mov_b64 s[18:19], exec
	v_mbcnt_lo_u32_b32 v2, s18, 0
	v_mbcnt_hi_u32_b32 v2, s19, v2
	v_cmp_eq_u32_e32 vcc, 0, v2
	s_and_saveexec_b64 s[20:21], vcc
	s_cbranch_execz .LBB4_972
; %bb.971:
	s_bcnt1_i32_b64 s15, s[18:19]
	v_mov_b32_e32 v2, s15
	buffer_wbl2 sc0 sc1
	s_waitcnt vmcnt(0)
	global_atomic_add_x2 v[0:1], v[2:3], off offset:8 sc1
.LBB4_972:
	s_or_b64 exec, exec, s[20:21]
	s_waitcnt vmcnt(0)
	global_load_dwordx2 v[2:3], v[0:1], off offset:16
	s_waitcnt vmcnt(0)
	v_cmp_eq_u64_e32 vcc, 0, v[2:3]
	s_cbranch_vccnz .LBB4_974
; %bb.973:
	global_load_dword v0, v[0:1], off offset:24
	v_mov_b32_e32 v1, 0
	buffer_wbl2 sc0 sc1
	s_waitcnt vmcnt(0)
	global_store_dwordx2 v[2:3], v[0:1], off sc0 sc1
	v_and_b32_e32 v0, 0xffffff, v0
	s_nop 0
	v_readfirstlane_b32 m0, v0
	s_sendmsg sendmsg(MSG_INTERRUPT)
.LBB4_974:
	s_or_b64 exec, exec, s[16:17]
	v_lshl_add_u64 v[0:1], v[6:7], 0, v[28:29]
	s_branch .LBB4_978
.LBB4_975:                              ;   in Loop: Header=BB4_978 Depth=1
	s_or_b64 exec, exec, s[16:17]
	v_readfirstlane_b32 s15, v2
	s_cmp_eq_u32 s15, 0
	s_cbranch_scc1 .LBB4_977
; %bb.976:                              ;   in Loop: Header=BB4_978 Depth=1
	s_sleep 1
	s_cbranch_execnz .LBB4_978
	s_branch .LBB4_980
.LBB4_977:
	s_branch .LBB4_980
.LBB4_978:                              ; =>This Inner Loop Header: Depth=1
	v_mov_b32_e32 v2, 1
	s_and_saveexec_b64 s[16:17], s[0:1]
	s_cbranch_execz .LBB4_975
; %bb.979:                              ;   in Loop: Header=BB4_978 Depth=1
	global_load_dword v2, v[8:9], off offset:20 sc0 sc1
	s_waitcnt vmcnt(0)
	buffer_inv sc0 sc1
	v_and_b32_e32 v2, 1, v2
	s_branch .LBB4_975
.LBB4_980:
	global_load_dwordx2 v[2:3], v[0:1], off
	s_and_saveexec_b64 s[16:17], s[0:1]
	s_cbranch_execz .LBB4_983
; %bb.981:
	v_mov_b32_e32 v8, 0
	global_load_dwordx2 v[0:1], v8, s[2:3] offset:40
	global_load_dwordx2 v[10:11], v8, s[2:3] offset:24 sc0 sc1
	global_load_dwordx2 v[12:13], v8, s[2:3]
	s_mov_b64 s[0:1], 0
	s_waitcnt vmcnt(2)
	v_lshl_add_u64 v[4:5], v[0:1], 0, 1
	v_lshl_add_u64 v[14:15], v[4:5], 0, s[10:11]
	v_cmp_eq_u64_e32 vcc, 0, v[14:15]
	s_waitcnt vmcnt(1)
	v_mov_b32_e32 v6, v10
	v_cndmask_b32_e32 v5, v15, v5, vcc
	v_cndmask_b32_e32 v4, v14, v4, vcc
	v_and_b32_e32 v1, v5, v1
	v_and_b32_e32 v0, v4, v0
	v_mul_lo_u32 v1, v1, 24
	v_mul_hi_u32 v7, v0, 24
	v_mul_lo_u32 v0, v0, 24
	v_add_u32_e32 v1, v7, v1
	s_waitcnt vmcnt(0)
	v_lshl_add_u64 v[0:1], v[12:13], 0, v[0:1]
	global_store_dwordx2 v[0:1], v[10:11], off
	v_mov_b32_e32 v7, v11
	buffer_wbl2 sc0 sc1
	s_waitcnt vmcnt(0)
	global_atomic_cmpswap_x2 v[6:7], v8, v[4:7], s[2:3] offset:24 sc0 sc1
	s_waitcnt vmcnt(0)
	v_cmp_ne_u64_e32 vcc, v[6:7], v[10:11]
	s_and_b64 exec, exec, vcc
	s_cbranch_execz .LBB4_983
.LBB4_982:                              ; =>This Inner Loop Header: Depth=1
	s_sleep 1
	global_store_dwordx2 v[0:1], v[6:7], off
	buffer_wbl2 sc0 sc1
	s_waitcnt vmcnt(0)
	global_atomic_cmpswap_x2 v[10:11], v8, v[4:7], s[2:3] offset:24 sc0 sc1
	s_waitcnt vmcnt(0)
	v_cmp_eq_u64_e32 vcc, v[10:11], v[6:7]
	s_or_b64 s[0:1], vcc, s[0:1]
	v_mov_b64_e32 v[6:7], v[10:11]
	s_andn2_b64 exec, exec, s[0:1]
	s_cbranch_execnz .LBB4_982
.LBB4_983:
	s_or_b64 exec, exec, s[16:17]
.LBB4_984:
	v_readfirstlane_b32 s0, v36
	s_waitcnt vmcnt(0)
	v_mov_b64_e32 v[0:1], 0
	v_cmp_eq_u32_e64 s[0:1], s0, v36
	s_and_saveexec_b64 s[10:11], s[0:1]
	s_cbranch_execz .LBB4_990
; %bb.985:
	v_mov_b32_e32 v4, 0
	global_load_dwordx2 v[8:9], v4, s[2:3] offset:24 sc0 sc1
	s_waitcnt vmcnt(0)
	buffer_inv sc0 sc1
	global_load_dwordx2 v[0:1], v4, s[2:3] offset:40
	global_load_dwordx2 v[6:7], v4, s[2:3]
	s_waitcnt vmcnt(1)
	v_and_b32_e32 v0, v0, v8
	v_and_b32_e32 v1, v1, v9
	v_mul_lo_u32 v1, v1, 24
	v_mul_hi_u32 v5, v0, 24
	v_add_u32_e32 v1, v5, v1
	v_mul_lo_u32 v0, v0, 24
	s_waitcnt vmcnt(0)
	v_lshl_add_u64 v[0:1], v[6:7], 0, v[0:1]
	global_load_dwordx2 v[6:7], v[0:1], off sc0 sc1
	s_waitcnt vmcnt(0)
	global_atomic_cmpswap_x2 v[0:1], v4, v[6:9], s[2:3] offset:24 sc0 sc1
	s_waitcnt vmcnt(0)
	buffer_inv sc0 sc1
	v_cmp_ne_u64_e32 vcc, v[0:1], v[8:9]
	s_and_saveexec_b64 s[16:17], vcc
	s_cbranch_execz .LBB4_989
; %bb.986:
	s_mov_b64 s[18:19], 0
.LBB4_987:                              ; =>This Inner Loop Header: Depth=1
	s_sleep 1
	global_load_dwordx2 v[6:7], v4, s[2:3] offset:40
	global_load_dwordx2 v[10:11], v4, s[2:3]
	v_mov_b64_e32 v[8:9], v[0:1]
	s_waitcnt vmcnt(1)
	v_and_b32_e32 v0, v6, v8
	s_waitcnt vmcnt(0)
	v_mad_u64_u32 v[0:1], s[20:21], v0, 24, v[10:11]
	v_and_b32_e32 v5, v7, v9
	v_mov_b32_e32 v6, v1
	v_mad_u64_u32 v[6:7], s[20:21], v5, 24, v[6:7]
	v_mov_b32_e32 v1, v6
	global_load_dwordx2 v[6:7], v[0:1], off sc0 sc1
	s_waitcnt vmcnt(0)
	global_atomic_cmpswap_x2 v[0:1], v4, v[6:9], s[2:3] offset:24 sc0 sc1
	s_waitcnt vmcnt(0)
	buffer_inv sc0 sc1
	v_cmp_eq_u64_e32 vcc, v[0:1], v[8:9]
	s_or_b64 s[18:19], vcc, s[18:19]
	s_andn2_b64 exec, exec, s[18:19]
	s_cbranch_execnz .LBB4_987
; %bb.988:
	s_or_b64 exec, exec, s[18:19]
.LBB4_989:
	s_or_b64 exec, exec, s[16:17]
.LBB4_990:
	s_or_b64 exec, exec, s[10:11]
	v_mov_b32_e32 v5, 0
	global_load_dwordx2 v[10:11], v5, s[2:3] offset:40
	global_load_dwordx4 v[6:9], v5, s[2:3]
	v_readfirstlane_b32 s10, v0
	v_readfirstlane_b32 s11, v1
	s_mov_b64 s[16:17], exec
	s_waitcnt vmcnt(1)
	v_readfirstlane_b32 s18, v10
	v_readfirstlane_b32 s19, v11
	s_and_b64 s[18:19], s[10:11], s[18:19]
	s_mul_i32 s15, s19, 24
	s_mul_hi_u32 s20, s18, 24
	s_add_i32 s21, s20, s15
	s_mul_i32 s20, s18, 24
	s_waitcnt vmcnt(0)
	v_lshl_add_u64 v[10:11], v[6:7], 0, s[20:21]
	s_and_saveexec_b64 s[20:21], s[0:1]
	s_cbranch_execz .LBB4_992
; %bb.991:
	v_mov_b64_e32 v[12:13], s[16:17]
	v_mov_b32_e32 v14, 2
	v_mov_b32_e32 v15, 1
	global_store_dwordx4 v[10:11], v[12:15], off offset:8
.LBB4_992:
	s_or_b64 exec, exec, s[20:21]
	s_lshl_b64 s[16:17], s[18:19], 12
	v_lshl_add_u64 v[0:1], v[8:9], 0, s[16:17]
	s_movk_i32 s15, 0xff1d
	s_mov_b32 s16, 0
	v_and_or_b32 v2, v2, s15, 34
	v_mov_b32_e32 v4, 0x414
	v_readfirstlane_b32 s20, v0
	v_readfirstlane_b32 s21, v1
	s_mov_b32 s17, s16
	s_mov_b32 s18, s16
	;; [unrolled: 1-line block ×3, first 2 shown]
	s_nop 1
	global_store_dwordx4 v28, v[2:5], s[20:21]
	v_mov_b64_e32 v[0:1], s[16:17]
	s_nop 0
	v_mov_b64_e32 v[2:3], s[18:19]
	global_store_dwordx4 v28, v[0:3], s[20:21] offset:16
	global_store_dwordx4 v28, v[0:3], s[20:21] offset:32
	;; [unrolled: 1-line block ×3, first 2 shown]
	s_and_saveexec_b64 s[16:17], s[0:1]
	s_cbranch_execz .LBB4_1000
; %bb.993:
	v_mov_b32_e32 v8, 0
	global_load_dwordx2 v[14:15], v8, s[2:3] offset:32 sc0 sc1
	global_load_dwordx2 v[0:1], v8, s[2:3] offset:40
	v_mov_b32_e32 v12, s10
	v_mov_b32_e32 v13, s11
	s_waitcnt vmcnt(0)
	v_readfirstlane_b32 s18, v0
	v_readfirstlane_b32 s19, v1
	s_and_b64 s[18:19], s[18:19], s[10:11]
	s_mul_i32 s15, s19, 24
	s_mul_hi_u32 s19, s18, 24
	s_mul_i32 s18, s18, 24
	s_add_i32 s19, s19, s15
	v_lshl_add_u64 v[4:5], v[6:7], 0, s[18:19]
	global_store_dwordx2 v[4:5], v[14:15], off
	buffer_wbl2 sc0 sc1
	s_waitcnt vmcnt(0)
	global_atomic_cmpswap_x2 v[2:3], v8, v[12:15], s[2:3] offset:32 sc0 sc1
	s_waitcnt vmcnt(0)
	v_cmp_ne_u64_e32 vcc, v[2:3], v[14:15]
	s_and_saveexec_b64 s[18:19], vcc
	s_cbranch_execz .LBB4_996
; %bb.994:
	s_mov_b64 s[20:21], 0
.LBB4_995:                              ; =>This Inner Loop Header: Depth=1
	s_sleep 1
	global_store_dwordx2 v[4:5], v[2:3], off
	v_mov_b32_e32 v0, s10
	v_mov_b32_e32 v1, s11
	buffer_wbl2 sc0 sc1
	s_waitcnt vmcnt(0)
	global_atomic_cmpswap_x2 v[0:1], v8, v[0:3], s[2:3] offset:32 sc0 sc1
	s_waitcnt vmcnt(0)
	v_cmp_eq_u64_e32 vcc, v[0:1], v[2:3]
	s_or_b64 s[20:21], vcc, s[20:21]
	v_mov_b64_e32 v[2:3], v[0:1]
	s_andn2_b64 exec, exec, s[20:21]
	s_cbranch_execnz .LBB4_995
.LBB4_996:
	s_or_b64 exec, exec, s[18:19]
	v_mov_b32_e32 v3, 0
	global_load_dwordx2 v[0:1], v3, s[2:3] offset:16
	s_mov_b64 s[18:19], exec
	v_mbcnt_lo_u32_b32 v2, s18, 0
	v_mbcnt_hi_u32_b32 v2, s19, v2
	v_cmp_eq_u32_e32 vcc, 0, v2
	s_and_saveexec_b64 s[20:21], vcc
	s_cbranch_execz .LBB4_998
; %bb.997:
	s_bcnt1_i32_b64 s15, s[18:19]
	v_mov_b32_e32 v2, s15
	buffer_wbl2 sc0 sc1
	s_waitcnt vmcnt(0)
	global_atomic_add_x2 v[0:1], v[2:3], off offset:8 sc1
.LBB4_998:
	s_or_b64 exec, exec, s[20:21]
	s_waitcnt vmcnt(0)
	global_load_dwordx2 v[2:3], v[0:1], off offset:16
	s_waitcnt vmcnt(0)
	v_cmp_eq_u64_e32 vcc, 0, v[2:3]
	s_cbranch_vccnz .LBB4_1000
; %bb.999:
	global_load_dword v0, v[0:1], off offset:24
	v_mov_b32_e32 v1, 0
	buffer_wbl2 sc0 sc1
	s_waitcnt vmcnt(0)
	global_store_dwordx2 v[2:3], v[0:1], off sc0 sc1
	v_and_b32_e32 v0, 0xffffff, v0
	s_nop 0
	v_readfirstlane_b32 m0, v0
	s_sendmsg sendmsg(MSG_INTERRUPT)
.LBB4_1000:
	s_or_b64 exec, exec, s[16:17]
	s_branch .LBB4_1004
.LBB4_1001:                             ;   in Loop: Header=BB4_1004 Depth=1
	s_or_b64 exec, exec, s[16:17]
	v_readfirstlane_b32 s15, v0
	s_cmp_eq_u32 s15, 0
	s_cbranch_scc1 .LBB4_1003
; %bb.1002:                             ;   in Loop: Header=BB4_1004 Depth=1
	s_sleep 1
	s_cbranch_execnz .LBB4_1004
	s_branch .LBB4_1006
.LBB4_1003:
	s_branch .LBB4_1006
.LBB4_1004:                             ; =>This Inner Loop Header: Depth=1
	v_mov_b32_e32 v0, 1
	s_and_saveexec_b64 s[16:17], s[0:1]
	s_cbranch_execz .LBB4_1001
; %bb.1005:                             ;   in Loop: Header=BB4_1004 Depth=1
	global_load_dword v0, v[10:11], off offset:20 sc0 sc1
	s_waitcnt vmcnt(0)
	buffer_inv sc0 sc1
	v_and_b32_e32 v0, 1, v0
	s_branch .LBB4_1001
.LBB4_1006:
	s_and_saveexec_b64 s[16:17], s[0:1]
	s_cbranch_execz .LBB4_1009
; %bb.1007:
	v_mov_b32_e32 v6, 0
	global_load_dwordx2 v[4:5], v6, s[2:3] offset:40
	global_load_dwordx2 v[8:9], v6, s[2:3] offset:24 sc0 sc1
	global_load_dwordx2 v[10:11], v6, s[2:3]
	s_mov_b64 s[0:1], 0
	s_waitcnt vmcnt(2)
	v_lshl_add_u64 v[0:1], v[4:5], 0, 1
	v_lshl_add_u64 v[12:13], v[0:1], 0, s[10:11]
	v_cmp_eq_u64_e32 vcc, 0, v[12:13]
	s_waitcnt vmcnt(1)
	v_mov_b32_e32 v2, v8
	v_cndmask_b32_e32 v1, v13, v1, vcc
	v_cndmask_b32_e32 v0, v12, v0, vcc
	v_and_b32_e32 v3, v1, v5
	v_and_b32_e32 v4, v0, v4
	v_mul_lo_u32 v3, v3, 24
	v_mul_hi_u32 v5, v4, 24
	v_mul_lo_u32 v4, v4, 24
	v_add_u32_e32 v5, v5, v3
	s_waitcnt vmcnt(0)
	v_lshl_add_u64 v[4:5], v[10:11], 0, v[4:5]
	global_store_dwordx2 v[4:5], v[8:9], off
	v_mov_b32_e32 v3, v9
	buffer_wbl2 sc0 sc1
	s_waitcnt vmcnt(0)
	global_atomic_cmpswap_x2 v[2:3], v6, v[0:3], s[2:3] offset:24 sc0 sc1
	s_waitcnt vmcnt(0)
	v_cmp_ne_u64_e32 vcc, v[2:3], v[8:9]
	s_and_b64 exec, exec, vcc
	s_cbranch_execz .LBB4_1009
.LBB4_1008:                             ; =>This Inner Loop Header: Depth=1
	s_sleep 1
	global_store_dwordx2 v[4:5], v[2:3], off
	buffer_wbl2 sc0 sc1
	s_waitcnt vmcnt(0)
	global_atomic_cmpswap_x2 v[8:9], v6, v[0:3], s[2:3] offset:24 sc0 sc1
	s_waitcnt vmcnt(0)
	v_cmp_eq_u64_e32 vcc, v[8:9], v[2:3]
	s_or_b64 s[0:1], vcc, s[0:1]
	v_mov_b64_e32 v[2:3], v[8:9]
	s_andn2_b64 exec, exec, s[0:1]
	s_cbranch_execnz .LBB4_1008
.LBB4_1009:
	s_or_b64 exec, exec, s[16:17]
	v_readfirstlane_b32 s0, v36
	v_mov_b64_e32 v[4:5], 0
	s_nop 0
	v_cmp_eq_u32_e64 s[0:1], s0, v36
	s_and_saveexec_b64 s[10:11], s[0:1]
	s_cbranch_execz .LBB4_1015
; %bb.1010:
	v_mov_b32_e32 v0, 0
	global_load_dwordx2 v[6:7], v0, s[2:3] offset:24 sc0 sc1
	s_waitcnt vmcnt(0)
	buffer_inv sc0 sc1
	global_load_dwordx2 v[2:3], v0, s[2:3] offset:40
	global_load_dwordx2 v[4:5], v0, s[2:3]
	s_waitcnt vmcnt(1)
	v_and_b32_e32 v1, v2, v6
	v_and_b32_e32 v2, v3, v7
	v_mul_lo_u32 v2, v2, 24
	v_mul_hi_u32 v3, v1, 24
	v_add_u32_e32 v3, v3, v2
	v_mul_lo_u32 v2, v1, 24
	s_waitcnt vmcnt(0)
	v_lshl_add_u64 v[2:3], v[4:5], 0, v[2:3]
	global_load_dwordx2 v[4:5], v[2:3], off sc0 sc1
	s_waitcnt vmcnt(0)
	global_atomic_cmpswap_x2 v[4:5], v0, v[4:7], s[2:3] offset:24 sc0 sc1
	s_waitcnt vmcnt(0)
	buffer_inv sc0 sc1
	v_cmp_ne_u64_e32 vcc, v[4:5], v[6:7]
	s_and_saveexec_b64 s[16:17], vcc
	s_cbranch_execz .LBB4_1014
; %bb.1011:
	s_mov_b64 s[18:19], 0
.LBB4_1012:                             ; =>This Inner Loop Header: Depth=1
	s_sleep 1
	global_load_dwordx2 v[2:3], v0, s[2:3] offset:40
	global_load_dwordx2 v[8:9], v0, s[2:3]
	v_mov_b64_e32 v[6:7], v[4:5]
	s_waitcnt vmcnt(1)
	v_and_b32_e32 v2, v2, v6
	v_and_b32_e32 v1, v3, v7
	s_waitcnt vmcnt(0)
	v_mad_u64_u32 v[2:3], s[20:21], v2, 24, v[8:9]
	v_mov_b32_e32 v4, v3
	v_mad_u64_u32 v[4:5], s[20:21], v1, 24, v[4:5]
	v_mov_b32_e32 v3, v4
	global_load_dwordx2 v[4:5], v[2:3], off sc0 sc1
	s_waitcnt vmcnt(0)
	global_atomic_cmpswap_x2 v[4:5], v0, v[4:7], s[2:3] offset:24 sc0 sc1
	s_waitcnt vmcnt(0)
	buffer_inv sc0 sc1
	v_cmp_eq_u64_e32 vcc, v[4:5], v[6:7]
	s_or_b64 s[18:19], vcc, s[18:19]
	s_andn2_b64 exec, exec, s[18:19]
	s_cbranch_execnz .LBB4_1012
; %bb.1013:
	s_or_b64 exec, exec, s[18:19]
.LBB4_1014:
	s_or_b64 exec, exec, s[16:17]
.LBB4_1015:
	s_or_b64 exec, exec, s[10:11]
	v_mov_b32_e32 v29, 0
	global_load_dwordx2 v[6:7], v29, s[2:3] offset:40
	global_load_dwordx4 v[0:3], v29, s[2:3]
	v_readfirstlane_b32 s10, v4
	v_readfirstlane_b32 s11, v5
	s_mov_b64 s[16:17], exec
	s_waitcnt vmcnt(1)
	v_readfirstlane_b32 s18, v6
	v_readfirstlane_b32 s19, v7
	s_and_b64 s[18:19], s[10:11], s[18:19]
	s_mul_i32 s15, s19, 24
	s_mul_hi_u32 s20, s18, 24
	s_add_i32 s21, s20, s15
	s_mul_i32 s20, s18, 24
	s_waitcnt vmcnt(0)
	v_lshl_add_u64 v[4:5], v[0:1], 0, s[20:21]
	s_and_saveexec_b64 s[20:21], s[0:1]
	s_cbranch_execz .LBB4_1017
; %bb.1016:
	v_mov_b64_e32 v[6:7], s[16:17]
	v_mov_b32_e32 v8, 2
	v_mov_b32_e32 v9, 1
	global_store_dwordx4 v[4:5], v[6:9], off offset:8
.LBB4_1017:
	s_or_b64 exec, exec, s[20:21]
	s_lshl_b64 s[16:17], s[18:19], 12
	v_lshl_add_u64 v[6:7], v[2:3], 0, s[16:17]
	s_mov_b32 s16, 0
	v_mov_b32_e32 v8, 33
	v_mov_b32_e32 v9, v29
	;; [unrolled: 1-line block ×4, first 2 shown]
	v_readfirstlane_b32 s20, v6
	v_readfirstlane_b32 s21, v7
	s_mov_b32 s17, s16
	s_mov_b32 s18, s16
	s_mov_b32 s19, s16
	s_nop 1
	global_store_dwordx4 v28, v[8:11], s[20:21]
	s_nop 1
	v_mov_b64_e32 v[8:9], s[16:17]
	v_mov_b64_e32 v[10:11], s[18:19]
	global_store_dwordx4 v28, v[8:11], s[20:21] offset:16
	global_store_dwordx4 v28, v[8:11], s[20:21] offset:32
	;; [unrolled: 1-line block ×3, first 2 shown]
	s_and_saveexec_b64 s[16:17], s[0:1]
	s_cbranch_execz .LBB4_1025
; %bb.1018:
	v_mov_b32_e32 v10, 0
	global_load_dwordx2 v[14:15], v10, s[2:3] offset:32 sc0 sc1
	global_load_dwordx2 v[2:3], v10, s[2:3] offset:40
	v_mov_b32_e32 v12, s10
	v_mov_b32_e32 v13, s11
	s_waitcnt vmcnt(0)
	v_readfirstlane_b32 s18, v2
	v_readfirstlane_b32 s19, v3
	s_and_b64 s[18:19], s[18:19], s[10:11]
	s_mul_i32 s15, s19, 24
	s_mul_hi_u32 s19, s18, 24
	s_mul_i32 s18, s18, 24
	s_add_i32 s19, s19, s15
	v_lshl_add_u64 v[8:9], v[0:1], 0, s[18:19]
	global_store_dwordx2 v[8:9], v[14:15], off
	buffer_wbl2 sc0 sc1
	s_waitcnt vmcnt(0)
	global_atomic_cmpswap_x2 v[2:3], v10, v[12:15], s[2:3] offset:32 sc0 sc1
	s_waitcnt vmcnt(0)
	v_cmp_ne_u64_e32 vcc, v[2:3], v[14:15]
	s_and_saveexec_b64 s[18:19], vcc
	s_cbranch_execz .LBB4_1021
; %bb.1019:
	s_mov_b64 s[20:21], 0
.LBB4_1020:                             ; =>This Inner Loop Header: Depth=1
	s_sleep 1
	global_store_dwordx2 v[8:9], v[2:3], off
	v_mov_b32_e32 v0, s10
	v_mov_b32_e32 v1, s11
	buffer_wbl2 sc0 sc1
	s_waitcnt vmcnt(0)
	global_atomic_cmpswap_x2 v[0:1], v10, v[0:3], s[2:3] offset:32 sc0 sc1
	s_waitcnt vmcnt(0)
	v_cmp_eq_u64_e32 vcc, v[0:1], v[2:3]
	s_or_b64 s[20:21], vcc, s[20:21]
	v_mov_b64_e32 v[2:3], v[0:1]
	s_andn2_b64 exec, exec, s[20:21]
	s_cbranch_execnz .LBB4_1020
.LBB4_1021:
	s_or_b64 exec, exec, s[18:19]
	v_mov_b32_e32 v3, 0
	global_load_dwordx2 v[0:1], v3, s[2:3] offset:16
	s_mov_b64 s[18:19], exec
	v_mbcnt_lo_u32_b32 v2, s18, 0
	v_mbcnt_hi_u32_b32 v2, s19, v2
	v_cmp_eq_u32_e32 vcc, 0, v2
	s_and_saveexec_b64 s[20:21], vcc
	s_cbranch_execz .LBB4_1023
; %bb.1022:
	s_bcnt1_i32_b64 s15, s[18:19]
	v_mov_b32_e32 v2, s15
	buffer_wbl2 sc0 sc1
	s_waitcnt vmcnt(0)
	global_atomic_add_x2 v[0:1], v[2:3], off offset:8 sc1
.LBB4_1023:
	s_or_b64 exec, exec, s[20:21]
	s_waitcnt vmcnt(0)
	global_load_dwordx2 v[2:3], v[0:1], off offset:16
	s_waitcnt vmcnt(0)
	v_cmp_eq_u64_e32 vcc, 0, v[2:3]
	s_cbranch_vccnz .LBB4_1025
; %bb.1024:
	global_load_dword v0, v[0:1], off offset:24
	v_mov_b32_e32 v1, 0
	buffer_wbl2 sc0 sc1
	s_waitcnt vmcnt(0)
	global_store_dwordx2 v[2:3], v[0:1], off sc0 sc1
	v_and_b32_e32 v0, 0xffffff, v0
	s_nop 0
	v_readfirstlane_b32 m0, v0
	s_sendmsg sendmsg(MSG_INTERRUPT)
.LBB4_1025:
	s_or_b64 exec, exec, s[16:17]
	v_lshl_add_u64 v[0:1], v[6:7], 0, v[28:29]
	s_branch .LBB4_1029
.LBB4_1026:                             ;   in Loop: Header=BB4_1029 Depth=1
	s_or_b64 exec, exec, s[16:17]
	v_readfirstlane_b32 s15, v2
	s_cmp_eq_u32 s15, 0
	s_cbranch_scc1 .LBB4_1028
; %bb.1027:                             ;   in Loop: Header=BB4_1029 Depth=1
	s_sleep 1
	s_cbranch_execnz .LBB4_1029
	s_branch .LBB4_1031
.LBB4_1028:
	s_branch .LBB4_1031
.LBB4_1029:                             ; =>This Inner Loop Header: Depth=1
	v_mov_b32_e32 v2, 1
	s_and_saveexec_b64 s[16:17], s[0:1]
	s_cbranch_execz .LBB4_1026
; %bb.1030:                             ;   in Loop: Header=BB4_1029 Depth=1
	global_load_dword v2, v[4:5], off offset:20 sc0 sc1
	s_waitcnt vmcnt(0)
	buffer_inv sc0 sc1
	v_and_b32_e32 v2, 1, v2
	s_branch .LBB4_1026
.LBB4_1031:
	global_load_dwordx2 v[0:1], v[0:1], off
	s_and_saveexec_b64 s[16:17], s[0:1]
	s_cbranch_execz .LBB4_1034
; %bb.1032:
	v_mov_b32_e32 v8, 0
	global_load_dwordx2 v[6:7], v8, s[2:3] offset:40
	global_load_dwordx2 v[10:11], v8, s[2:3] offset:24 sc0 sc1
	global_load_dwordx2 v[12:13], v8, s[2:3]
	s_mov_b64 s[0:1], 0
	s_waitcnt vmcnt(2)
	v_lshl_add_u64 v[2:3], v[6:7], 0, 1
	v_lshl_add_u64 v[14:15], v[2:3], 0, s[10:11]
	v_cmp_eq_u64_e32 vcc, 0, v[14:15]
	s_waitcnt vmcnt(1)
	v_mov_b32_e32 v4, v10
	v_cndmask_b32_e32 v3, v15, v3, vcc
	v_cndmask_b32_e32 v2, v14, v2, vcc
	v_and_b32_e32 v5, v3, v7
	v_and_b32_e32 v6, v2, v6
	v_mul_lo_u32 v5, v5, 24
	v_mul_hi_u32 v7, v6, 24
	v_mul_lo_u32 v6, v6, 24
	v_add_u32_e32 v7, v7, v5
	s_waitcnt vmcnt(0)
	v_lshl_add_u64 v[6:7], v[12:13], 0, v[6:7]
	global_store_dwordx2 v[6:7], v[10:11], off
	v_mov_b32_e32 v5, v11
	buffer_wbl2 sc0 sc1
	s_waitcnt vmcnt(0)
	global_atomic_cmpswap_x2 v[4:5], v8, v[2:5], s[2:3] offset:24 sc0 sc1
	s_waitcnt vmcnt(0)
	v_cmp_ne_u64_e32 vcc, v[4:5], v[10:11]
	s_and_b64 exec, exec, vcc
	s_cbranch_execz .LBB4_1034
.LBB4_1033:                             ; =>This Inner Loop Header: Depth=1
	s_sleep 1
	global_store_dwordx2 v[6:7], v[4:5], off
	buffer_wbl2 sc0 sc1
	s_waitcnt vmcnt(0)
	global_atomic_cmpswap_x2 v[10:11], v8, v[2:5], s[2:3] offset:24 sc0 sc1
	s_waitcnt vmcnt(0)
	v_cmp_eq_u64_e32 vcc, v[10:11], v[4:5]
	s_or_b64 s[0:1], vcc, s[0:1]
	v_mov_b64_e32 v[4:5], v[10:11]
	s_andn2_b64 exec, exec, s[0:1]
	s_cbranch_execnz .LBB4_1033
.LBB4_1034:
	s_or_b64 exec, exec, s[16:17]
	s_and_b64 vcc, exec, s[6:7]
	s_cbranch_vccz .LBB4_1119
; %bb.1035:
	s_waitcnt vmcnt(0)
	v_and_b32_e32 v30, 2, v0
	v_mov_b32_e32 v33, 0
	v_and_b32_e32 v2, -3, v0
	v_mov_b32_e32 v3, v1
	s_mov_b64 s[16:17], 3
	v_mov_b32_e32 v6, 2
	v_mov_b32_e32 v7, 1
	s_getpc_b64 s[10:11]
	s_add_u32 s10, s10, .str.6@rel32@lo+4
	s_addc_u32 s11, s11, .str.6@rel32@hi+12
	s_branch .LBB4_1037
.LBB4_1036:                             ;   in Loop: Header=BB4_1037 Depth=1
	s_or_b64 exec, exec, s[22:23]
	s_sub_u32 s16, s16, s18
	s_subb_u32 s17, s17, s19
	s_add_u32 s10, s10, s18
	s_addc_u32 s11, s11, s19
	s_cmp_lg_u64 s[16:17], 0
	s_cbranch_scc0 .LBB4_1118
.LBB4_1037:                             ; =>This Loop Header: Depth=1
                                        ;     Child Loop BB4_1040 Depth 2
                                        ;     Child Loop BB4_1047 Depth 2
	;; [unrolled: 1-line block ×11, first 2 shown]
	v_cmp_lt_u64_e64 s[0:1], s[16:17], 56
	s_and_b64 s[0:1], s[0:1], exec
	v_cmp_gt_u64_e64 s[0:1], s[16:17], 7
	s_cselect_b32 s19, s17, 0
	s_cselect_b32 s18, s16, 56
	s_and_b64 vcc, exec, s[0:1]
	s_cbranch_vccnz .LBB4_1042
; %bb.1038:                             ;   in Loop: Header=BB4_1037 Depth=1
	s_mov_b64 s[0:1], 0
	s_cmp_eq_u64 s[16:17], 0
	v_mov_b64_e32 v[10:11], 0
	s_cbranch_scc1 .LBB4_1041
; %bb.1039:                             ;   in Loop: Header=BB4_1037 Depth=1
	s_lshl_b64 s[20:21], s[18:19], 3
	s_mov_b64 s[22:23], 0
	v_mov_b64_e32 v[10:11], 0
	s_mov_b64 s[24:25], s[10:11]
.LBB4_1040:                             ;   Parent Loop BB4_1037 Depth=1
                                        ; =>  This Inner Loop Header: Depth=2
	global_load_ubyte v4, v33, s[24:25]
	s_waitcnt vmcnt(0)
	v_and_b32_e32 v32, 0xffff, v4
	v_lshlrev_b64 v[4:5], s22, v[32:33]
	s_add_u32 s22, s22, 8
	s_addc_u32 s23, s23, 0
	s_add_u32 s24, s24, 1
	s_addc_u32 s25, s25, 0
	v_or_b32_e32 v10, v4, v10
	s_cmp_lg_u32 s20, s22
	v_or_b32_e32 v11, v5, v11
	s_cbranch_scc1 .LBB4_1040
.LBB4_1041:                             ;   in Loop: Header=BB4_1037 Depth=1
	s_mov_b32 s15, 0
	s_andn2_b64 vcc, exec, s[0:1]
	s_mov_b64 s[0:1], s[10:11]
	s_cbranch_vccz .LBB4_1043
	s_branch .LBB4_1044
.LBB4_1042:                             ;   in Loop: Header=BB4_1037 Depth=1
                                        ; implicit-def: $vgpr10_vgpr11
                                        ; implicit-def: $sgpr15
	s_mov_b64 s[0:1], s[10:11]
.LBB4_1043:                             ;   in Loop: Header=BB4_1037 Depth=1
	global_load_dwordx2 v[10:11], v33, s[10:11]
	s_add_i32 s15, s18, -8
	s_add_u32 s0, s10, 8
	s_addc_u32 s1, s11, 0
.LBB4_1044:                             ;   in Loop: Header=BB4_1037 Depth=1
	s_cmp_gt_u32 s15, 7
	s_cbranch_scc1 .LBB4_1048
; %bb.1045:                             ;   in Loop: Header=BB4_1037 Depth=1
	s_cmp_eq_u32 s15, 0
	s_cbranch_scc1 .LBB4_1049
; %bb.1046:                             ;   in Loop: Header=BB4_1037 Depth=1
	s_mov_b64 s[20:21], 0
	v_mov_b64_e32 v[12:13], 0
	s_mov_b64 s[22:23], 0
.LBB4_1047:                             ;   Parent Loop BB4_1037 Depth=1
                                        ; =>  This Inner Loop Header: Depth=2
	s_add_u32 s24, s0, s22
	s_addc_u32 s25, s1, s23
	global_load_ubyte v4, v33, s[24:25]
	s_add_u32 s22, s22, 1
	s_addc_u32 s23, s23, 0
	s_waitcnt vmcnt(0)
	v_and_b32_e32 v32, 0xffff, v4
	v_lshlrev_b64 v[4:5], s20, v[32:33]
	s_add_u32 s20, s20, 8
	s_addc_u32 s21, s21, 0
	v_or_b32_e32 v12, v4, v12
	s_cmp_lg_u32 s15, s22
	v_or_b32_e32 v13, v5, v13
	s_cbranch_scc1 .LBB4_1047
	s_branch .LBB4_1050
.LBB4_1048:                             ;   in Loop: Header=BB4_1037 Depth=1
                                        ; implicit-def: $vgpr12_vgpr13
                                        ; implicit-def: $sgpr24
	s_branch .LBB4_1051
.LBB4_1049:                             ;   in Loop: Header=BB4_1037 Depth=1
	v_mov_b64_e32 v[12:13], 0
.LBB4_1050:                             ;   in Loop: Header=BB4_1037 Depth=1
	s_mov_b32 s24, 0
	s_cbranch_execnz .LBB4_1052
.LBB4_1051:                             ;   in Loop: Header=BB4_1037 Depth=1
	global_load_dwordx2 v[12:13], v33, s[0:1]
	s_add_i32 s24, s15, -8
	s_add_u32 s0, s0, 8
	s_addc_u32 s1, s1, 0
.LBB4_1052:                             ;   in Loop: Header=BB4_1037 Depth=1
	s_cmp_gt_u32 s24, 7
	s_cbranch_scc1 .LBB4_1056
; %bb.1053:                             ;   in Loop: Header=BB4_1037 Depth=1
	s_cmp_eq_u32 s24, 0
	s_cbranch_scc1 .LBB4_1057
; %bb.1054:                             ;   in Loop: Header=BB4_1037 Depth=1
	s_mov_b64 s[20:21], 0
	v_mov_b64_e32 v[14:15], 0
	s_mov_b64 s[22:23], 0
.LBB4_1055:                             ;   Parent Loop BB4_1037 Depth=1
                                        ; =>  This Inner Loop Header: Depth=2
	s_add_u32 s26, s0, s22
	s_addc_u32 s27, s1, s23
	global_load_ubyte v4, v33, s[26:27]
	s_add_u32 s22, s22, 1
	s_addc_u32 s23, s23, 0
	s_waitcnt vmcnt(0)
	v_and_b32_e32 v32, 0xffff, v4
	v_lshlrev_b64 v[4:5], s20, v[32:33]
	s_add_u32 s20, s20, 8
	s_addc_u32 s21, s21, 0
	v_or_b32_e32 v14, v4, v14
	s_cmp_lg_u32 s24, s22
	v_or_b32_e32 v15, v5, v15
	s_cbranch_scc1 .LBB4_1055
	s_branch .LBB4_1058
.LBB4_1056:                             ;   in Loop: Header=BB4_1037 Depth=1
                                        ; implicit-def: $sgpr15
	s_branch .LBB4_1059
.LBB4_1057:                             ;   in Loop: Header=BB4_1037 Depth=1
	v_mov_b64_e32 v[14:15], 0
.LBB4_1058:                             ;   in Loop: Header=BB4_1037 Depth=1
	s_mov_b32 s15, 0
	s_cbranch_execnz .LBB4_1060
.LBB4_1059:                             ;   in Loop: Header=BB4_1037 Depth=1
	global_load_dwordx2 v[14:15], v33, s[0:1]
	s_add_i32 s15, s24, -8
	s_add_u32 s0, s0, 8
	s_addc_u32 s1, s1, 0
.LBB4_1060:                             ;   in Loop: Header=BB4_1037 Depth=1
	s_cmp_gt_u32 s15, 7
	s_cbranch_scc1 .LBB4_1064
; %bb.1061:                             ;   in Loop: Header=BB4_1037 Depth=1
	s_cmp_eq_u32 s15, 0
	s_cbranch_scc1 .LBB4_1065
; %bb.1062:                             ;   in Loop: Header=BB4_1037 Depth=1
	s_mov_b64 s[20:21], 0
	v_mov_b64_e32 v[16:17], 0
	s_mov_b64 s[22:23], 0
.LBB4_1063:                             ;   Parent Loop BB4_1037 Depth=1
                                        ; =>  This Inner Loop Header: Depth=2
	s_add_u32 s24, s0, s22
	s_addc_u32 s25, s1, s23
	global_load_ubyte v4, v33, s[24:25]
	s_add_u32 s22, s22, 1
	s_addc_u32 s23, s23, 0
	s_waitcnt vmcnt(0)
	v_and_b32_e32 v32, 0xffff, v4
	v_lshlrev_b64 v[4:5], s20, v[32:33]
	s_add_u32 s20, s20, 8
	s_addc_u32 s21, s21, 0
	v_or_b32_e32 v16, v4, v16
	s_cmp_lg_u32 s15, s22
	v_or_b32_e32 v17, v5, v17
	s_cbranch_scc1 .LBB4_1063
	s_branch .LBB4_1066
.LBB4_1064:                             ;   in Loop: Header=BB4_1037 Depth=1
                                        ; implicit-def: $vgpr16_vgpr17
                                        ; implicit-def: $sgpr24
	s_branch .LBB4_1067
.LBB4_1065:                             ;   in Loop: Header=BB4_1037 Depth=1
	v_mov_b64_e32 v[16:17], 0
.LBB4_1066:                             ;   in Loop: Header=BB4_1037 Depth=1
	s_mov_b32 s24, 0
	s_cbranch_execnz .LBB4_1068
.LBB4_1067:                             ;   in Loop: Header=BB4_1037 Depth=1
	global_load_dwordx2 v[16:17], v33, s[0:1]
	s_add_i32 s24, s15, -8
	s_add_u32 s0, s0, 8
	s_addc_u32 s1, s1, 0
.LBB4_1068:                             ;   in Loop: Header=BB4_1037 Depth=1
	s_cmp_gt_u32 s24, 7
	s_cbranch_scc1 .LBB4_1072
; %bb.1069:                             ;   in Loop: Header=BB4_1037 Depth=1
	s_cmp_eq_u32 s24, 0
	s_cbranch_scc1 .LBB4_1073
; %bb.1070:                             ;   in Loop: Header=BB4_1037 Depth=1
	s_mov_b64 s[20:21], 0
	v_mov_b64_e32 v[18:19], 0
	s_mov_b64 s[22:23], 0
.LBB4_1071:                             ;   Parent Loop BB4_1037 Depth=1
                                        ; =>  This Inner Loop Header: Depth=2
	s_add_u32 s26, s0, s22
	s_addc_u32 s27, s1, s23
	global_load_ubyte v4, v33, s[26:27]
	s_add_u32 s22, s22, 1
	s_addc_u32 s23, s23, 0
	s_waitcnt vmcnt(0)
	v_and_b32_e32 v32, 0xffff, v4
	v_lshlrev_b64 v[4:5], s20, v[32:33]
	s_add_u32 s20, s20, 8
	s_addc_u32 s21, s21, 0
	v_or_b32_e32 v18, v4, v18
	s_cmp_lg_u32 s24, s22
	v_or_b32_e32 v19, v5, v19
	s_cbranch_scc1 .LBB4_1071
	s_branch .LBB4_1074
.LBB4_1072:                             ;   in Loop: Header=BB4_1037 Depth=1
                                        ; implicit-def: $sgpr15
	s_branch .LBB4_1075
.LBB4_1073:                             ;   in Loop: Header=BB4_1037 Depth=1
	v_mov_b64_e32 v[18:19], 0
.LBB4_1074:                             ;   in Loop: Header=BB4_1037 Depth=1
	s_mov_b32 s15, 0
	s_cbranch_execnz .LBB4_1076
.LBB4_1075:                             ;   in Loop: Header=BB4_1037 Depth=1
	global_load_dwordx2 v[18:19], v33, s[0:1]
	s_add_i32 s15, s24, -8
	s_add_u32 s0, s0, 8
	s_addc_u32 s1, s1, 0
.LBB4_1076:                             ;   in Loop: Header=BB4_1037 Depth=1
	s_cmp_gt_u32 s15, 7
	s_cbranch_scc1 .LBB4_1080
; %bb.1077:                             ;   in Loop: Header=BB4_1037 Depth=1
	s_cmp_eq_u32 s15, 0
	s_cbranch_scc1 .LBB4_1081
; %bb.1078:                             ;   in Loop: Header=BB4_1037 Depth=1
	s_mov_b64 s[20:21], 0
	v_mov_b64_e32 v[20:21], 0
	s_mov_b64 s[22:23], 0
.LBB4_1079:                             ;   Parent Loop BB4_1037 Depth=1
                                        ; =>  This Inner Loop Header: Depth=2
	s_add_u32 s24, s0, s22
	s_addc_u32 s25, s1, s23
	global_load_ubyte v4, v33, s[24:25]
	s_add_u32 s22, s22, 1
	s_addc_u32 s23, s23, 0
	s_waitcnt vmcnt(0)
	v_and_b32_e32 v32, 0xffff, v4
	v_lshlrev_b64 v[4:5], s20, v[32:33]
	s_add_u32 s20, s20, 8
	s_addc_u32 s21, s21, 0
	v_or_b32_e32 v20, v4, v20
	s_cmp_lg_u32 s15, s22
	v_or_b32_e32 v21, v5, v21
	s_cbranch_scc1 .LBB4_1079
	s_branch .LBB4_1082
.LBB4_1080:                             ;   in Loop: Header=BB4_1037 Depth=1
                                        ; implicit-def: $vgpr20_vgpr21
                                        ; implicit-def: $sgpr24
	s_branch .LBB4_1083
.LBB4_1081:                             ;   in Loop: Header=BB4_1037 Depth=1
	v_mov_b64_e32 v[20:21], 0
.LBB4_1082:                             ;   in Loop: Header=BB4_1037 Depth=1
	s_mov_b32 s24, 0
	s_cbranch_execnz .LBB4_1084
.LBB4_1083:                             ;   in Loop: Header=BB4_1037 Depth=1
	global_load_dwordx2 v[20:21], v33, s[0:1]
	s_add_i32 s24, s15, -8
	s_add_u32 s0, s0, 8
	s_addc_u32 s1, s1, 0
.LBB4_1084:                             ;   in Loop: Header=BB4_1037 Depth=1
	s_cmp_gt_u32 s24, 7
	s_cbranch_scc1 .LBB4_1088
; %bb.1085:                             ;   in Loop: Header=BB4_1037 Depth=1
	s_cmp_eq_u32 s24, 0
	s_cbranch_scc1 .LBB4_1089
; %bb.1086:                             ;   in Loop: Header=BB4_1037 Depth=1
	s_mov_b64 s[20:21], 0
	v_mov_b64_e32 v[22:23], 0
	s_mov_b64 s[22:23], s[0:1]
.LBB4_1087:                             ;   Parent Loop BB4_1037 Depth=1
                                        ; =>  This Inner Loop Header: Depth=2
	global_load_ubyte v4, v33, s[22:23]
	s_add_i32 s24, s24, -1
	s_waitcnt vmcnt(0)
	v_and_b32_e32 v32, 0xffff, v4
	v_lshlrev_b64 v[4:5], s20, v[32:33]
	s_add_u32 s20, s20, 8
	s_addc_u32 s21, s21, 0
	s_add_u32 s22, s22, 1
	s_addc_u32 s23, s23, 0
	v_or_b32_e32 v22, v4, v22
	s_cmp_lg_u32 s24, 0
	v_or_b32_e32 v23, v5, v23
	s_cbranch_scc1 .LBB4_1087
	s_branch .LBB4_1090
.LBB4_1088:                             ;   in Loop: Header=BB4_1037 Depth=1
	s_branch .LBB4_1091
.LBB4_1089:                             ;   in Loop: Header=BB4_1037 Depth=1
	v_mov_b64_e32 v[22:23], 0
.LBB4_1090:                             ;   in Loop: Header=BB4_1037 Depth=1
	s_cbranch_execnz .LBB4_1092
.LBB4_1091:                             ;   in Loop: Header=BB4_1037 Depth=1
	global_load_dwordx2 v[22:23], v33, s[0:1]
.LBB4_1092:                             ;   in Loop: Header=BB4_1037 Depth=1
	v_readfirstlane_b32 s0, v36
	s_waitcnt vmcnt(0)
	v_mov_b64_e32 v[4:5], 0
	v_cmp_eq_u32_e64 s[0:1], s0, v36
	s_and_saveexec_b64 s[20:21], s[0:1]
	s_cbranch_execz .LBB4_1098
; %bb.1093:                             ;   in Loop: Header=BB4_1037 Depth=1
	global_load_dwordx2 v[26:27], v33, s[2:3] offset:24 sc0 sc1
	s_waitcnt vmcnt(0)
	buffer_inv sc0 sc1
	global_load_dwordx2 v[4:5], v33, s[2:3] offset:40
	global_load_dwordx2 v[8:9], v33, s[2:3]
	s_waitcnt vmcnt(1)
	v_and_b32_e32 v4, v4, v26
	v_and_b32_e32 v5, v5, v27
	v_mul_lo_u32 v5, v5, 24
	v_mul_hi_u32 v24, v4, 24
	v_add_u32_e32 v5, v24, v5
	v_mul_lo_u32 v4, v4, 24
	s_waitcnt vmcnt(0)
	v_lshl_add_u64 v[4:5], v[8:9], 0, v[4:5]
	global_load_dwordx2 v[24:25], v[4:5], off sc0 sc1
	s_waitcnt vmcnt(0)
	global_atomic_cmpswap_x2 v[4:5], v33, v[24:27], s[2:3] offset:24 sc0 sc1
	s_waitcnt vmcnt(0)
	buffer_inv sc0 sc1
	v_cmp_ne_u64_e32 vcc, v[4:5], v[26:27]
	s_and_saveexec_b64 s[22:23], vcc
	s_cbranch_execz .LBB4_1097
; %bb.1094:                             ;   in Loop: Header=BB4_1037 Depth=1
	s_mov_b64 s[24:25], 0
.LBB4_1095:                             ;   Parent Loop BB4_1037 Depth=1
                                        ; =>  This Inner Loop Header: Depth=2
	s_sleep 1
	global_load_dwordx2 v[8:9], v33, s[2:3] offset:40
	global_load_dwordx2 v[24:25], v33, s[2:3]
	v_mov_b64_e32 v[26:27], v[4:5]
	s_waitcnt vmcnt(1)
	v_and_b32_e32 v4, v8, v26
	s_waitcnt vmcnt(0)
	v_mad_u64_u32 v[4:5], s[26:27], v4, 24, v[24:25]
	v_and_b32_e32 v9, v9, v27
	v_mov_b32_e32 v8, v5
	v_mad_u64_u32 v[8:9], s[26:27], v9, 24, v[8:9]
	v_mov_b32_e32 v5, v8
	global_load_dwordx2 v[24:25], v[4:5], off sc0 sc1
	s_waitcnt vmcnt(0)
	global_atomic_cmpswap_x2 v[4:5], v33, v[24:27], s[2:3] offset:24 sc0 sc1
	s_waitcnt vmcnt(0)
	buffer_inv sc0 sc1
	v_cmp_eq_u64_e32 vcc, v[4:5], v[26:27]
	s_or_b64 s[24:25], vcc, s[24:25]
	s_andn2_b64 exec, exec, s[24:25]
	s_cbranch_execnz .LBB4_1095
; %bb.1096:                             ;   in Loop: Header=BB4_1037 Depth=1
	s_or_b64 exec, exec, s[24:25]
.LBB4_1097:                             ;   in Loop: Header=BB4_1037 Depth=1
	s_or_b64 exec, exec, s[22:23]
.LBB4_1098:                             ;   in Loop: Header=BB4_1037 Depth=1
	s_or_b64 exec, exec, s[20:21]
	global_load_dwordx2 v[8:9], v33, s[2:3] offset:40
	global_load_dwordx4 v[24:27], v33, s[2:3]
	v_readfirstlane_b32 s20, v4
	v_readfirstlane_b32 s21, v5
	s_mov_b64 s[22:23], exec
	s_waitcnt vmcnt(1)
	v_readfirstlane_b32 s24, v8
	v_readfirstlane_b32 s25, v9
	s_and_b64 s[24:25], s[20:21], s[24:25]
	s_mul_i32 s15, s25, 24
	s_mul_hi_u32 s26, s24, 24
	s_add_i32 s27, s26, s15
	s_mul_i32 s26, s24, 24
	s_waitcnt vmcnt(0)
	v_lshl_add_u64 v[34:35], v[24:25], 0, s[26:27]
	s_and_saveexec_b64 s[26:27], s[0:1]
	s_cbranch_execz .LBB4_1100
; %bb.1099:                             ;   in Loop: Header=BB4_1037 Depth=1
	v_mov_b64_e32 v[4:5], s[22:23]
	global_store_dwordx4 v[34:35], v[4:7], off offset:8
.LBB4_1100:                             ;   in Loop: Header=BB4_1037 Depth=1
	s_or_b64 exec, exec, s[26:27]
	s_nop 0
	v_or_b32_e32 v5, v2, v30
	v_cmp_gt_u64_e64 vcc, s[16:17], 56
	s_lshl_b32 s15, s18, 2
	s_lshl_b64 s[22:23], s[24:25], 12
	v_cndmask_b32_e32 v2, v5, v2, vcc
	s_add_i32 s15, s15, 28
	v_lshl_add_u64 v[26:27], v[26:27], 0, s[22:23]
	v_or_b32_e32 v4, 0, v3
	s_and_b32 s15, s15, 0x1e0
	v_and_b32_e32 v2, 0xffffff1f, v2
	v_cndmask_b32_e32 v9, v4, v3, vcc
	v_or_b32_e32 v8, s15, v2
	v_readfirstlane_b32 s22, v26
	v_readfirstlane_b32 s23, v27
	s_nop 4
	global_store_dwordx4 v28, v[8:11], s[22:23]
	global_store_dwordx4 v28, v[12:15], s[22:23] offset:16
	global_store_dwordx4 v28, v[16:19], s[22:23] offset:32
	;; [unrolled: 1-line block ×3, first 2 shown]
	s_and_saveexec_b64 s[22:23], s[0:1]
	s_cbranch_execz .LBB4_1108
; %bb.1101:                             ;   in Loop: Header=BB4_1037 Depth=1
	global_load_dwordx2 v[12:13], v33, s[2:3] offset:32 sc0 sc1
	global_load_dwordx2 v[2:3], v33, s[2:3] offset:40
	v_mov_b32_e32 v10, s20
	v_mov_b32_e32 v11, s21
	s_waitcnt vmcnt(0)
	v_readfirstlane_b32 s24, v2
	v_readfirstlane_b32 s25, v3
	s_and_b64 s[24:25], s[24:25], s[20:21]
	s_mul_i32 s15, s25, 24
	s_mul_hi_u32 s25, s24, 24
	s_mul_i32 s24, s24, 24
	s_add_i32 s25, s25, s15
	v_lshl_add_u64 v[8:9], v[24:25], 0, s[24:25]
	global_store_dwordx2 v[8:9], v[12:13], off
	buffer_wbl2 sc0 sc1
	s_waitcnt vmcnt(0)
	global_atomic_cmpswap_x2 v[4:5], v33, v[10:13], s[2:3] offset:32 sc0 sc1
	s_waitcnt vmcnt(0)
	v_cmp_ne_u64_e32 vcc, v[4:5], v[12:13]
	s_and_saveexec_b64 s[24:25], vcc
	s_cbranch_execz .LBB4_1104
; %bb.1102:                             ;   in Loop: Header=BB4_1037 Depth=1
	s_mov_b64 s[26:27], 0
.LBB4_1103:                             ;   Parent Loop BB4_1037 Depth=1
                                        ; =>  This Inner Loop Header: Depth=2
	s_sleep 1
	global_store_dwordx2 v[8:9], v[4:5], off
	v_mov_b32_e32 v2, s20
	v_mov_b32_e32 v3, s21
	buffer_wbl2 sc0 sc1
	s_waitcnt vmcnt(0)
	global_atomic_cmpswap_x2 v[2:3], v33, v[2:5], s[2:3] offset:32 sc0 sc1
	s_waitcnt vmcnt(0)
	v_cmp_eq_u64_e32 vcc, v[2:3], v[4:5]
	s_or_b64 s[26:27], vcc, s[26:27]
	v_mov_b64_e32 v[4:5], v[2:3]
	s_andn2_b64 exec, exec, s[26:27]
	s_cbranch_execnz .LBB4_1103
.LBB4_1104:                             ;   in Loop: Header=BB4_1037 Depth=1
	s_or_b64 exec, exec, s[24:25]
	global_load_dwordx2 v[2:3], v33, s[2:3] offset:16
	s_mov_b64 s[26:27], exec
	v_mbcnt_lo_u32_b32 v4, s26, 0
	v_mbcnt_hi_u32_b32 v4, s27, v4
	v_cmp_eq_u32_e32 vcc, 0, v4
	s_and_saveexec_b64 s[24:25], vcc
	s_cbranch_execz .LBB4_1106
; %bb.1105:                             ;   in Loop: Header=BB4_1037 Depth=1
	s_bcnt1_i32_b64 s15, s[26:27]
	v_mov_b32_e32 v32, s15
	buffer_wbl2 sc0 sc1
	s_waitcnt vmcnt(0)
	global_atomic_add_x2 v[2:3], v[32:33], off offset:8 sc1
.LBB4_1106:                             ;   in Loop: Header=BB4_1037 Depth=1
	s_or_b64 exec, exec, s[24:25]
	s_waitcnt vmcnt(0)
	global_load_dwordx2 v[4:5], v[2:3], off offset:16
	s_waitcnt vmcnt(0)
	v_cmp_eq_u64_e32 vcc, 0, v[4:5]
	s_cbranch_vccnz .LBB4_1108
; %bb.1107:                             ;   in Loop: Header=BB4_1037 Depth=1
	global_load_dword v32, v[2:3], off offset:24
	s_waitcnt vmcnt(0)
	v_and_b32_e32 v2, 0xffffff, v32
	s_nop 0
	v_readfirstlane_b32 m0, v2
	buffer_wbl2 sc0 sc1
	global_store_dwordx2 v[4:5], v[32:33], off sc0 sc1
	s_sendmsg sendmsg(MSG_INTERRUPT)
.LBB4_1108:                             ;   in Loop: Header=BB4_1037 Depth=1
	s_or_b64 exec, exec, s[22:23]
	v_mov_b32_e32 v29, v33
	v_lshl_add_u64 v[2:3], v[26:27], 0, v[28:29]
	s_branch .LBB4_1112
.LBB4_1109:                             ;   in Loop: Header=BB4_1112 Depth=2
	s_or_b64 exec, exec, s[22:23]
	v_readfirstlane_b32 s15, v4
	s_cmp_eq_u32 s15, 0
	s_cbranch_scc1 .LBB4_1111
; %bb.1110:                             ;   in Loop: Header=BB4_1112 Depth=2
	s_sleep 1
	s_cbranch_execnz .LBB4_1112
	s_branch .LBB4_1114
.LBB4_1111:                             ;   in Loop: Header=BB4_1037 Depth=1
	s_branch .LBB4_1114
.LBB4_1112:                             ;   Parent Loop BB4_1037 Depth=1
                                        ; =>  This Inner Loop Header: Depth=2
	v_mov_b32_e32 v4, 1
	s_and_saveexec_b64 s[22:23], s[0:1]
	s_cbranch_execz .LBB4_1109
; %bb.1113:                             ;   in Loop: Header=BB4_1112 Depth=2
	global_load_dword v4, v[34:35], off offset:20 sc0 sc1
	s_waitcnt vmcnt(0)
	buffer_inv sc0 sc1
	v_and_b32_e32 v4, 1, v4
	s_branch .LBB4_1109
.LBB4_1114:                             ;   in Loop: Header=BB4_1037 Depth=1
	global_load_dwordx4 v[2:5], v[2:3], off
	s_and_saveexec_b64 s[22:23], s[0:1]
	s_cbranch_execz .LBB4_1036
; %bb.1115:                             ;   in Loop: Header=BB4_1037 Depth=1
	global_load_dwordx2 v[4:5], v33, s[2:3] offset:40
	global_load_dwordx2 v[12:13], v33, s[2:3] offset:24 sc0 sc1
	global_load_dwordx2 v[14:15], v33, s[2:3]
	s_waitcnt vmcnt(2)
	v_lshl_add_u64 v[8:9], v[4:5], 0, 1
	v_lshl_add_u64 v[16:17], v[8:9], 0, s[20:21]
	v_cmp_eq_u64_e32 vcc, 0, v[16:17]
	s_waitcnt vmcnt(1)
	v_mov_b32_e32 v10, v12
	v_cndmask_b32_e32 v9, v17, v9, vcc
	v_cndmask_b32_e32 v8, v16, v8, vcc
	v_and_b32_e32 v5, v9, v5
	v_and_b32_e32 v4, v8, v4
	v_mul_lo_u32 v5, v5, 24
	v_mul_hi_u32 v11, v4, 24
	v_mul_lo_u32 v4, v4, 24
	v_add_u32_e32 v5, v11, v5
	s_waitcnt vmcnt(0)
	v_lshl_add_u64 v[4:5], v[14:15], 0, v[4:5]
	global_store_dwordx2 v[4:5], v[12:13], off
	v_mov_b32_e32 v11, v13
	buffer_wbl2 sc0 sc1
	s_waitcnt vmcnt(0)
	global_atomic_cmpswap_x2 v[10:11], v33, v[8:11], s[2:3] offset:24 sc0 sc1
	s_waitcnt vmcnt(0)
	v_cmp_ne_u64_e32 vcc, v[10:11], v[12:13]
	s_and_b64 exec, exec, vcc
	s_cbranch_execz .LBB4_1036
; %bb.1116:                             ;   in Loop: Header=BB4_1037 Depth=1
	s_mov_b64 s[0:1], 0
.LBB4_1117:                             ;   Parent Loop BB4_1037 Depth=1
                                        ; =>  This Inner Loop Header: Depth=2
	s_sleep 1
	global_store_dwordx2 v[4:5], v[10:11], off
	buffer_wbl2 sc0 sc1
	s_waitcnt vmcnt(0)
	global_atomic_cmpswap_x2 v[12:13], v33, v[8:11], s[2:3] offset:24 sc0 sc1
	s_waitcnt vmcnt(0)
	v_cmp_eq_u64_e32 vcc, v[12:13], v[10:11]
	s_or_b64 s[0:1], vcc, s[0:1]
	v_mov_b64_e32 v[10:11], v[12:13]
	s_andn2_b64 exec, exec, s[0:1]
	s_cbranch_execnz .LBB4_1117
	s_branch .LBB4_1036
.LBB4_1118:
	s_branch .LBB4_1146
.LBB4_1119:
                                        ; implicit-def: $vgpr2_vgpr3
	s_cbranch_execz .LBB4_1146
; %bb.1120:
	v_readfirstlane_b32 s0, v36
	s_waitcnt vmcnt(0)
	v_mov_b64_e32 v[2:3], 0
	v_cmp_eq_u32_e64 s[0:1], s0, v36
	s_and_saveexec_b64 s[10:11], s[0:1]
	s_cbranch_execz .LBB4_1126
; %bb.1121:
	v_mov_b32_e32 v4, 0
	global_load_dwordx2 v[8:9], v4, s[2:3] offset:24 sc0 sc1
	s_waitcnt vmcnt(0)
	buffer_inv sc0 sc1
	global_load_dwordx2 v[2:3], v4, s[2:3] offset:40
	global_load_dwordx2 v[6:7], v4, s[2:3]
	s_waitcnt vmcnt(1)
	v_and_b32_e32 v2, v2, v8
	v_and_b32_e32 v3, v3, v9
	v_mul_lo_u32 v3, v3, 24
	v_mul_hi_u32 v5, v2, 24
	v_add_u32_e32 v3, v5, v3
	v_mul_lo_u32 v2, v2, 24
	s_waitcnt vmcnt(0)
	v_lshl_add_u64 v[2:3], v[6:7], 0, v[2:3]
	global_load_dwordx2 v[6:7], v[2:3], off sc0 sc1
	s_waitcnt vmcnt(0)
	global_atomic_cmpswap_x2 v[2:3], v4, v[6:9], s[2:3] offset:24 sc0 sc1
	s_waitcnt vmcnt(0)
	buffer_inv sc0 sc1
	v_cmp_ne_u64_e32 vcc, v[2:3], v[8:9]
	s_and_saveexec_b64 s[16:17], vcc
	s_cbranch_execz .LBB4_1125
; %bb.1122:
	s_mov_b64 s[18:19], 0
.LBB4_1123:                             ; =>This Inner Loop Header: Depth=1
	s_sleep 1
	global_load_dwordx2 v[6:7], v4, s[2:3] offset:40
	global_load_dwordx2 v[10:11], v4, s[2:3]
	v_mov_b64_e32 v[8:9], v[2:3]
	s_waitcnt vmcnt(1)
	v_and_b32_e32 v2, v6, v8
	s_waitcnt vmcnt(0)
	v_mad_u64_u32 v[2:3], s[20:21], v2, 24, v[10:11]
	v_and_b32_e32 v5, v7, v9
	v_mov_b32_e32 v6, v3
	v_mad_u64_u32 v[6:7], s[20:21], v5, 24, v[6:7]
	v_mov_b32_e32 v3, v6
	global_load_dwordx2 v[6:7], v[2:3], off sc0 sc1
	s_waitcnt vmcnt(0)
	global_atomic_cmpswap_x2 v[2:3], v4, v[6:9], s[2:3] offset:24 sc0 sc1
	s_waitcnt vmcnt(0)
	buffer_inv sc0 sc1
	v_cmp_eq_u64_e32 vcc, v[2:3], v[8:9]
	s_or_b64 s[18:19], vcc, s[18:19]
	s_andn2_b64 exec, exec, s[18:19]
	s_cbranch_execnz .LBB4_1123
; %bb.1124:
	s_or_b64 exec, exec, s[18:19]
.LBB4_1125:
	s_or_b64 exec, exec, s[16:17]
.LBB4_1126:
	s_or_b64 exec, exec, s[10:11]
	v_mov_b32_e32 v29, 0
	global_load_dwordx2 v[8:9], v29, s[2:3] offset:40
	global_load_dwordx4 v[4:7], v29, s[2:3]
	v_readfirstlane_b32 s10, v2
	v_readfirstlane_b32 s11, v3
	s_mov_b64 s[16:17], exec
	s_waitcnt vmcnt(1)
	v_readfirstlane_b32 s18, v8
	v_readfirstlane_b32 s19, v9
	s_and_b64 s[18:19], s[10:11], s[18:19]
	s_mul_i32 s15, s19, 24
	s_mul_hi_u32 s20, s18, 24
	s_add_i32 s21, s20, s15
	s_mul_i32 s20, s18, 24
	s_waitcnt vmcnt(0)
	v_lshl_add_u64 v[8:9], v[4:5], 0, s[20:21]
	s_and_saveexec_b64 s[20:21], s[0:1]
	s_cbranch_execz .LBB4_1128
; %bb.1127:
	v_mov_b64_e32 v[10:11], s[16:17]
	v_mov_b32_e32 v12, 2
	v_mov_b32_e32 v13, 1
	global_store_dwordx4 v[8:9], v[10:13], off offset:8
.LBB4_1128:
	s_or_b64 exec, exec, s[20:21]
	s_lshl_b64 s[16:17], s[18:19], 12
	v_lshl_add_u64 v[6:7], v[6:7], 0, s[16:17]
	s_movk_i32 s15, 0xff1f
	s_mov_b32 s16, 0
	v_and_or_b32 v0, v0, s15, 32
	v_mov_b32_e32 v2, v29
	v_mov_b32_e32 v3, v29
	v_readfirstlane_b32 s20, v6
	v_readfirstlane_b32 s21, v7
	s_mov_b32 s17, s16
	s_mov_b32 s18, s16
	s_mov_b32 s19, s16
	s_nop 1
	global_store_dwordx4 v28, v[0:3], s[20:21]
	s_nop 1
	v_mov_b64_e32 v[0:1], s[16:17]
	v_mov_b64_e32 v[2:3], s[18:19]
	global_store_dwordx4 v28, v[0:3], s[20:21] offset:16
	global_store_dwordx4 v28, v[0:3], s[20:21] offset:32
	;; [unrolled: 1-line block ×3, first 2 shown]
	s_and_saveexec_b64 s[16:17], s[0:1]
	s_cbranch_execz .LBB4_1136
; %bb.1129:
	v_mov_b32_e32 v10, 0
	global_load_dwordx2 v[14:15], v10, s[2:3] offset:32 sc0 sc1
	global_load_dwordx2 v[0:1], v10, s[2:3] offset:40
	v_mov_b32_e32 v12, s10
	v_mov_b32_e32 v13, s11
	s_waitcnt vmcnt(0)
	v_readfirstlane_b32 s18, v0
	v_readfirstlane_b32 s19, v1
	s_and_b64 s[18:19], s[18:19], s[10:11]
	s_mul_i32 s15, s19, 24
	s_mul_hi_u32 s19, s18, 24
	s_mul_i32 s18, s18, 24
	s_add_i32 s19, s19, s15
	v_lshl_add_u64 v[4:5], v[4:5], 0, s[18:19]
	global_store_dwordx2 v[4:5], v[14:15], off
	buffer_wbl2 sc0 sc1
	s_waitcnt vmcnt(0)
	global_atomic_cmpswap_x2 v[2:3], v10, v[12:15], s[2:3] offset:32 sc0 sc1
	s_waitcnt vmcnt(0)
	v_cmp_ne_u64_e32 vcc, v[2:3], v[14:15]
	s_and_saveexec_b64 s[18:19], vcc
	s_cbranch_execz .LBB4_1132
; %bb.1130:
	s_mov_b64 s[20:21], 0
.LBB4_1131:                             ; =>This Inner Loop Header: Depth=1
	s_sleep 1
	global_store_dwordx2 v[4:5], v[2:3], off
	v_mov_b32_e32 v0, s10
	v_mov_b32_e32 v1, s11
	buffer_wbl2 sc0 sc1
	s_waitcnt vmcnt(0)
	global_atomic_cmpswap_x2 v[0:1], v10, v[0:3], s[2:3] offset:32 sc0 sc1
	s_waitcnt vmcnt(0)
	v_cmp_eq_u64_e32 vcc, v[0:1], v[2:3]
	s_or_b64 s[20:21], vcc, s[20:21]
	v_mov_b64_e32 v[2:3], v[0:1]
	s_andn2_b64 exec, exec, s[20:21]
	s_cbranch_execnz .LBB4_1131
.LBB4_1132:
	s_or_b64 exec, exec, s[18:19]
	v_mov_b32_e32 v3, 0
	global_load_dwordx2 v[0:1], v3, s[2:3] offset:16
	s_mov_b64 s[18:19], exec
	v_mbcnt_lo_u32_b32 v2, s18, 0
	v_mbcnt_hi_u32_b32 v2, s19, v2
	v_cmp_eq_u32_e32 vcc, 0, v2
	s_and_saveexec_b64 s[20:21], vcc
	s_cbranch_execz .LBB4_1134
; %bb.1133:
	s_bcnt1_i32_b64 s15, s[18:19]
	v_mov_b32_e32 v2, s15
	buffer_wbl2 sc0 sc1
	s_waitcnt vmcnt(0)
	global_atomic_add_x2 v[0:1], v[2:3], off offset:8 sc1
.LBB4_1134:
	s_or_b64 exec, exec, s[20:21]
	s_waitcnt vmcnt(0)
	global_load_dwordx2 v[2:3], v[0:1], off offset:16
	s_waitcnt vmcnt(0)
	v_cmp_eq_u64_e32 vcc, 0, v[2:3]
	s_cbranch_vccnz .LBB4_1136
; %bb.1135:
	global_load_dword v0, v[0:1], off offset:24
	v_mov_b32_e32 v1, 0
	buffer_wbl2 sc0 sc1
	s_waitcnt vmcnt(0)
	global_store_dwordx2 v[2:3], v[0:1], off sc0 sc1
	v_and_b32_e32 v0, 0xffffff, v0
	s_nop 0
	v_readfirstlane_b32 m0, v0
	s_sendmsg sendmsg(MSG_INTERRUPT)
.LBB4_1136:
	s_or_b64 exec, exec, s[16:17]
	v_lshl_add_u64 v[0:1], v[6:7], 0, v[28:29]
	s_branch .LBB4_1140
.LBB4_1137:                             ;   in Loop: Header=BB4_1140 Depth=1
	s_or_b64 exec, exec, s[16:17]
	v_readfirstlane_b32 s15, v2
	s_cmp_eq_u32 s15, 0
	s_cbranch_scc1 .LBB4_1139
; %bb.1138:                             ;   in Loop: Header=BB4_1140 Depth=1
	s_sleep 1
	s_cbranch_execnz .LBB4_1140
	s_branch .LBB4_1142
.LBB4_1139:
	s_branch .LBB4_1142
.LBB4_1140:                             ; =>This Inner Loop Header: Depth=1
	v_mov_b32_e32 v2, 1
	s_and_saveexec_b64 s[16:17], s[0:1]
	s_cbranch_execz .LBB4_1137
; %bb.1141:                             ;   in Loop: Header=BB4_1140 Depth=1
	global_load_dword v2, v[8:9], off offset:20 sc0 sc1
	s_waitcnt vmcnt(0)
	buffer_inv sc0 sc1
	v_and_b32_e32 v2, 1, v2
	s_branch .LBB4_1137
.LBB4_1142:
	global_load_dwordx2 v[2:3], v[0:1], off
	s_and_saveexec_b64 s[16:17], s[0:1]
	s_cbranch_execz .LBB4_1145
; %bb.1143:
	v_mov_b32_e32 v8, 0
	global_load_dwordx2 v[0:1], v8, s[2:3] offset:40
	global_load_dwordx2 v[10:11], v8, s[2:3] offset:24 sc0 sc1
	global_load_dwordx2 v[12:13], v8, s[2:3]
	s_mov_b64 s[0:1], 0
	s_waitcnt vmcnt(2)
	v_lshl_add_u64 v[4:5], v[0:1], 0, 1
	v_lshl_add_u64 v[14:15], v[4:5], 0, s[10:11]
	v_cmp_eq_u64_e32 vcc, 0, v[14:15]
	s_waitcnt vmcnt(1)
	v_mov_b32_e32 v6, v10
	v_cndmask_b32_e32 v5, v15, v5, vcc
	v_cndmask_b32_e32 v4, v14, v4, vcc
	v_and_b32_e32 v1, v5, v1
	v_and_b32_e32 v0, v4, v0
	v_mul_lo_u32 v1, v1, 24
	v_mul_hi_u32 v7, v0, 24
	v_mul_lo_u32 v0, v0, 24
	v_add_u32_e32 v1, v7, v1
	s_waitcnt vmcnt(0)
	v_lshl_add_u64 v[0:1], v[12:13], 0, v[0:1]
	global_store_dwordx2 v[0:1], v[10:11], off
	v_mov_b32_e32 v7, v11
	buffer_wbl2 sc0 sc1
	s_waitcnt vmcnt(0)
	global_atomic_cmpswap_x2 v[6:7], v8, v[4:7], s[2:3] offset:24 sc0 sc1
	s_waitcnt vmcnt(0)
	v_cmp_ne_u64_e32 vcc, v[6:7], v[10:11]
	s_and_b64 exec, exec, vcc
	s_cbranch_execz .LBB4_1145
.LBB4_1144:                             ; =>This Inner Loop Header: Depth=1
	s_sleep 1
	global_store_dwordx2 v[0:1], v[6:7], off
	buffer_wbl2 sc0 sc1
	s_waitcnt vmcnt(0)
	global_atomic_cmpswap_x2 v[10:11], v8, v[4:7], s[2:3] offset:24 sc0 sc1
	s_waitcnt vmcnt(0)
	v_cmp_eq_u64_e32 vcc, v[10:11], v[6:7]
	s_or_b64 s[0:1], vcc, s[0:1]
	v_mov_b64_e32 v[6:7], v[10:11]
	s_andn2_b64 exec, exec, s[0:1]
	s_cbranch_execnz .LBB4_1144
.LBB4_1145:
	s_or_b64 exec, exec, s[16:17]
.LBB4_1146:
	v_readfirstlane_b32 s0, v36
	s_waitcnt vmcnt(0)
	v_mov_b64_e32 v[0:1], 0
	v_cmp_eq_u32_e64 s[0:1], s0, v36
	s_and_saveexec_b64 s[10:11], s[0:1]
	s_cbranch_execz .LBB4_1152
; %bb.1147:
	v_mov_b32_e32 v4, 0
	global_load_dwordx2 v[8:9], v4, s[2:3] offset:24 sc0 sc1
	s_waitcnt vmcnt(0)
	buffer_inv sc0 sc1
	global_load_dwordx2 v[0:1], v4, s[2:3] offset:40
	global_load_dwordx2 v[6:7], v4, s[2:3]
	s_waitcnt vmcnt(1)
	v_and_b32_e32 v0, v0, v8
	v_and_b32_e32 v1, v1, v9
	v_mul_lo_u32 v1, v1, 24
	v_mul_hi_u32 v5, v0, 24
	v_add_u32_e32 v1, v5, v1
	v_mul_lo_u32 v0, v0, 24
	s_waitcnt vmcnt(0)
	v_lshl_add_u64 v[0:1], v[6:7], 0, v[0:1]
	global_load_dwordx2 v[6:7], v[0:1], off sc0 sc1
	s_waitcnt vmcnt(0)
	global_atomic_cmpswap_x2 v[0:1], v4, v[6:9], s[2:3] offset:24 sc0 sc1
	s_waitcnt vmcnt(0)
	buffer_inv sc0 sc1
	v_cmp_ne_u64_e32 vcc, v[0:1], v[8:9]
	s_and_saveexec_b64 s[16:17], vcc
	s_cbranch_execz .LBB4_1151
; %bb.1148:
	s_mov_b64 s[18:19], 0
.LBB4_1149:                             ; =>This Inner Loop Header: Depth=1
	s_sleep 1
	global_load_dwordx2 v[6:7], v4, s[2:3] offset:40
	global_load_dwordx2 v[10:11], v4, s[2:3]
	v_mov_b64_e32 v[8:9], v[0:1]
	s_waitcnt vmcnt(1)
	v_and_b32_e32 v0, v6, v8
	s_waitcnt vmcnt(0)
	v_mad_u64_u32 v[0:1], s[20:21], v0, 24, v[10:11]
	v_and_b32_e32 v5, v7, v9
	v_mov_b32_e32 v6, v1
	v_mad_u64_u32 v[6:7], s[20:21], v5, 24, v[6:7]
	v_mov_b32_e32 v1, v6
	global_load_dwordx2 v[6:7], v[0:1], off sc0 sc1
	s_waitcnt vmcnt(0)
	global_atomic_cmpswap_x2 v[0:1], v4, v[6:9], s[2:3] offset:24 sc0 sc1
	s_waitcnt vmcnt(0)
	buffer_inv sc0 sc1
	v_cmp_eq_u64_e32 vcc, v[0:1], v[8:9]
	s_or_b64 s[18:19], vcc, s[18:19]
	s_andn2_b64 exec, exec, s[18:19]
	s_cbranch_execnz .LBB4_1149
; %bb.1150:
	s_or_b64 exec, exec, s[18:19]
.LBB4_1151:
	s_or_b64 exec, exec, s[16:17]
.LBB4_1152:
	s_or_b64 exec, exec, s[10:11]
	v_mov_b32_e32 v5, 0
	global_load_dwordx2 v[10:11], v5, s[2:3] offset:40
	global_load_dwordx4 v[6:9], v5, s[2:3]
	v_readfirstlane_b32 s10, v0
	v_readfirstlane_b32 s11, v1
	s_mov_b64 s[16:17], exec
	s_waitcnt vmcnt(1)
	v_readfirstlane_b32 s18, v10
	v_readfirstlane_b32 s19, v11
	s_and_b64 s[18:19], s[10:11], s[18:19]
	s_mul_i32 s15, s19, 24
	s_mul_hi_u32 s20, s18, 24
	s_add_i32 s21, s20, s15
	s_mul_i32 s20, s18, 24
	s_waitcnt vmcnt(0)
	v_lshl_add_u64 v[10:11], v[6:7], 0, s[20:21]
	s_and_saveexec_b64 s[20:21], s[0:1]
	s_cbranch_execz .LBB4_1154
; %bb.1153:
	v_mov_b64_e32 v[12:13], s[16:17]
	v_mov_b32_e32 v14, 2
	v_mov_b32_e32 v15, 1
	global_store_dwordx4 v[10:11], v[12:15], off offset:8
.LBB4_1154:
	s_or_b64 exec, exec, s[20:21]
	s_lshl_b64 s[16:17], s[18:19], 12
	v_lshl_add_u64 v[0:1], v[8:9], 0, s[16:17]
	s_movk_i32 s15, 0xff1d
	s_mov_b32 s16, 0
	v_and_or_b32 v2, v2, s15, 34
	v_mov_b32_e32 v4, 58
	v_readfirstlane_b32 s20, v0
	v_readfirstlane_b32 s21, v1
	s_mov_b32 s17, s16
	s_mov_b32 s18, s16
	;; [unrolled: 1-line block ×3, first 2 shown]
	s_nop 1
	global_store_dwordx4 v28, v[2:5], s[20:21]
	v_mov_b64_e32 v[0:1], s[16:17]
	s_nop 0
	v_mov_b64_e32 v[2:3], s[18:19]
	global_store_dwordx4 v28, v[0:3], s[20:21] offset:16
	global_store_dwordx4 v28, v[0:3], s[20:21] offset:32
	global_store_dwordx4 v28, v[0:3], s[20:21] offset:48
	s_and_saveexec_b64 s[16:17], s[0:1]
	s_cbranch_execz .LBB4_1162
; %bb.1155:
	v_mov_b32_e32 v8, 0
	global_load_dwordx2 v[14:15], v8, s[2:3] offset:32 sc0 sc1
	global_load_dwordx2 v[0:1], v8, s[2:3] offset:40
	v_mov_b32_e32 v12, s10
	v_mov_b32_e32 v13, s11
	s_waitcnt vmcnt(0)
	v_readfirstlane_b32 s18, v0
	v_readfirstlane_b32 s19, v1
	s_and_b64 s[18:19], s[18:19], s[10:11]
	s_mul_i32 s15, s19, 24
	s_mul_hi_u32 s19, s18, 24
	s_mul_i32 s18, s18, 24
	s_add_i32 s19, s19, s15
	v_lshl_add_u64 v[4:5], v[6:7], 0, s[18:19]
	global_store_dwordx2 v[4:5], v[14:15], off
	buffer_wbl2 sc0 sc1
	s_waitcnt vmcnt(0)
	global_atomic_cmpswap_x2 v[2:3], v8, v[12:15], s[2:3] offset:32 sc0 sc1
	s_waitcnt vmcnt(0)
	v_cmp_ne_u64_e32 vcc, v[2:3], v[14:15]
	s_and_saveexec_b64 s[18:19], vcc
	s_cbranch_execz .LBB4_1158
; %bb.1156:
	s_mov_b64 s[20:21], 0
.LBB4_1157:                             ; =>This Inner Loop Header: Depth=1
	s_sleep 1
	global_store_dwordx2 v[4:5], v[2:3], off
	v_mov_b32_e32 v0, s10
	v_mov_b32_e32 v1, s11
	buffer_wbl2 sc0 sc1
	s_waitcnt vmcnt(0)
	global_atomic_cmpswap_x2 v[0:1], v8, v[0:3], s[2:3] offset:32 sc0 sc1
	s_waitcnt vmcnt(0)
	v_cmp_eq_u64_e32 vcc, v[0:1], v[2:3]
	s_or_b64 s[20:21], vcc, s[20:21]
	v_mov_b64_e32 v[2:3], v[0:1]
	s_andn2_b64 exec, exec, s[20:21]
	s_cbranch_execnz .LBB4_1157
.LBB4_1158:
	s_or_b64 exec, exec, s[18:19]
	v_mov_b32_e32 v3, 0
	global_load_dwordx2 v[0:1], v3, s[2:3] offset:16
	s_mov_b64 s[18:19], exec
	v_mbcnt_lo_u32_b32 v2, s18, 0
	v_mbcnt_hi_u32_b32 v2, s19, v2
	v_cmp_eq_u32_e32 vcc, 0, v2
	s_and_saveexec_b64 s[20:21], vcc
	s_cbranch_execz .LBB4_1160
; %bb.1159:
	s_bcnt1_i32_b64 s15, s[18:19]
	v_mov_b32_e32 v2, s15
	buffer_wbl2 sc0 sc1
	s_waitcnt vmcnt(0)
	global_atomic_add_x2 v[0:1], v[2:3], off offset:8 sc1
.LBB4_1160:
	s_or_b64 exec, exec, s[20:21]
	s_waitcnt vmcnt(0)
	global_load_dwordx2 v[2:3], v[0:1], off offset:16
	s_waitcnt vmcnt(0)
	v_cmp_eq_u64_e32 vcc, 0, v[2:3]
	s_cbranch_vccnz .LBB4_1162
; %bb.1161:
	global_load_dword v0, v[0:1], off offset:24
	v_mov_b32_e32 v1, 0
	buffer_wbl2 sc0 sc1
	s_waitcnt vmcnt(0)
	global_store_dwordx2 v[2:3], v[0:1], off sc0 sc1
	v_and_b32_e32 v0, 0xffffff, v0
	s_nop 0
	v_readfirstlane_b32 m0, v0
	s_sendmsg sendmsg(MSG_INTERRUPT)
.LBB4_1162:
	s_or_b64 exec, exec, s[16:17]
	s_branch .LBB4_1166
.LBB4_1163:                             ;   in Loop: Header=BB4_1166 Depth=1
	s_or_b64 exec, exec, s[16:17]
	v_readfirstlane_b32 s15, v0
	s_cmp_eq_u32 s15, 0
	s_cbranch_scc1 .LBB4_1165
; %bb.1164:                             ;   in Loop: Header=BB4_1166 Depth=1
	s_sleep 1
	s_cbranch_execnz .LBB4_1166
	s_branch .LBB4_1168
.LBB4_1165:
	s_branch .LBB4_1168
.LBB4_1166:                             ; =>This Inner Loop Header: Depth=1
	v_mov_b32_e32 v0, 1
	s_and_saveexec_b64 s[16:17], s[0:1]
	s_cbranch_execz .LBB4_1163
; %bb.1167:                             ;   in Loop: Header=BB4_1166 Depth=1
	global_load_dword v0, v[10:11], off offset:20 sc0 sc1
	s_waitcnt vmcnt(0)
	buffer_inv sc0 sc1
	v_and_b32_e32 v0, 1, v0
	s_branch .LBB4_1163
.LBB4_1168:
	s_and_saveexec_b64 s[16:17], s[0:1]
	s_cbranch_execz .LBB4_1171
; %bb.1169:
	v_mov_b32_e32 v6, 0
	global_load_dwordx2 v[4:5], v6, s[2:3] offset:40
	global_load_dwordx2 v[8:9], v6, s[2:3] offset:24 sc0 sc1
	global_load_dwordx2 v[10:11], v6, s[2:3]
	s_mov_b64 s[0:1], 0
	s_waitcnt vmcnt(2)
	v_lshl_add_u64 v[0:1], v[4:5], 0, 1
	v_lshl_add_u64 v[12:13], v[0:1], 0, s[10:11]
	v_cmp_eq_u64_e32 vcc, 0, v[12:13]
	s_waitcnt vmcnt(1)
	v_mov_b32_e32 v2, v8
	v_cndmask_b32_e32 v1, v13, v1, vcc
	v_cndmask_b32_e32 v0, v12, v0, vcc
	v_and_b32_e32 v3, v1, v5
	v_and_b32_e32 v4, v0, v4
	v_mul_lo_u32 v3, v3, 24
	v_mul_hi_u32 v5, v4, 24
	v_mul_lo_u32 v4, v4, 24
	v_add_u32_e32 v5, v5, v3
	s_waitcnt vmcnt(0)
	v_lshl_add_u64 v[4:5], v[10:11], 0, v[4:5]
	global_store_dwordx2 v[4:5], v[8:9], off
	v_mov_b32_e32 v3, v9
	buffer_wbl2 sc0 sc1
	s_waitcnt vmcnt(0)
	global_atomic_cmpswap_x2 v[2:3], v6, v[0:3], s[2:3] offset:24 sc0 sc1
	s_waitcnt vmcnt(0)
	v_cmp_ne_u64_e32 vcc, v[2:3], v[8:9]
	s_and_b64 exec, exec, vcc
	s_cbranch_execz .LBB4_1171
.LBB4_1170:                             ; =>This Inner Loop Header: Depth=1
	s_sleep 1
	global_store_dwordx2 v[4:5], v[2:3], off
	buffer_wbl2 sc0 sc1
	s_waitcnt vmcnt(0)
	global_atomic_cmpswap_x2 v[8:9], v6, v[0:3], s[2:3] offset:24 sc0 sc1
	s_waitcnt vmcnt(0)
	v_cmp_eq_u64_e32 vcc, v[8:9], v[2:3]
	s_or_b64 s[0:1], vcc, s[0:1]
	v_mov_b64_e32 v[2:3], v[8:9]
	s_andn2_b64 exec, exec, s[0:1]
	s_cbranch_execnz .LBB4_1170
.LBB4_1171:
	s_or_b64 exec, exec, s[16:17]
	v_readfirstlane_b32 s0, v36
	v_mov_b64_e32 v[4:5], 0
	s_nop 0
	v_cmp_eq_u32_e64 s[0:1], s0, v36
	s_and_saveexec_b64 s[10:11], s[0:1]
	s_cbranch_execz .LBB4_1177
; %bb.1172:
	v_mov_b32_e32 v0, 0
	global_load_dwordx2 v[6:7], v0, s[2:3] offset:24 sc0 sc1
	s_waitcnt vmcnt(0)
	buffer_inv sc0 sc1
	global_load_dwordx2 v[2:3], v0, s[2:3] offset:40
	global_load_dwordx2 v[4:5], v0, s[2:3]
	s_waitcnt vmcnt(1)
	v_and_b32_e32 v1, v2, v6
	v_and_b32_e32 v2, v3, v7
	v_mul_lo_u32 v2, v2, 24
	v_mul_hi_u32 v3, v1, 24
	v_add_u32_e32 v3, v3, v2
	v_mul_lo_u32 v2, v1, 24
	s_waitcnt vmcnt(0)
	v_lshl_add_u64 v[2:3], v[4:5], 0, v[2:3]
	global_load_dwordx2 v[4:5], v[2:3], off sc0 sc1
	s_waitcnt vmcnt(0)
	global_atomic_cmpswap_x2 v[4:5], v0, v[4:7], s[2:3] offset:24 sc0 sc1
	s_waitcnt vmcnt(0)
	buffer_inv sc0 sc1
	v_cmp_ne_u64_e32 vcc, v[4:5], v[6:7]
	s_and_saveexec_b64 s[16:17], vcc
	s_cbranch_execz .LBB4_1176
; %bb.1173:
	s_mov_b64 s[18:19], 0
.LBB4_1174:                             ; =>This Inner Loop Header: Depth=1
	s_sleep 1
	global_load_dwordx2 v[2:3], v0, s[2:3] offset:40
	global_load_dwordx2 v[8:9], v0, s[2:3]
	v_mov_b64_e32 v[6:7], v[4:5]
	s_waitcnt vmcnt(1)
	v_and_b32_e32 v2, v2, v6
	v_and_b32_e32 v1, v3, v7
	s_waitcnt vmcnt(0)
	v_mad_u64_u32 v[2:3], s[20:21], v2, 24, v[8:9]
	v_mov_b32_e32 v4, v3
	v_mad_u64_u32 v[4:5], s[20:21], v1, 24, v[4:5]
	v_mov_b32_e32 v3, v4
	global_load_dwordx2 v[4:5], v[2:3], off sc0 sc1
	s_waitcnt vmcnt(0)
	global_atomic_cmpswap_x2 v[4:5], v0, v[4:7], s[2:3] offset:24 sc0 sc1
	s_waitcnt vmcnt(0)
	buffer_inv sc0 sc1
	v_cmp_eq_u64_e32 vcc, v[4:5], v[6:7]
	s_or_b64 s[18:19], vcc, s[18:19]
	s_andn2_b64 exec, exec, s[18:19]
	s_cbranch_execnz .LBB4_1174
; %bb.1175:
	s_or_b64 exec, exec, s[18:19]
.LBB4_1176:
	s_or_b64 exec, exec, s[16:17]
.LBB4_1177:
	s_or_b64 exec, exec, s[10:11]
	v_mov_b32_e32 v29, 0
	global_load_dwordx2 v[6:7], v29, s[2:3] offset:40
	global_load_dwordx4 v[0:3], v29, s[2:3]
	v_readfirstlane_b32 s10, v4
	v_readfirstlane_b32 s11, v5
	s_mov_b64 s[16:17], exec
	s_waitcnt vmcnt(1)
	v_readfirstlane_b32 s18, v6
	v_readfirstlane_b32 s19, v7
	s_and_b64 s[18:19], s[10:11], s[18:19]
	s_mul_i32 s15, s19, 24
	s_mul_hi_u32 s20, s18, 24
	s_add_i32 s21, s20, s15
	s_mul_i32 s20, s18, 24
	s_waitcnt vmcnt(0)
	v_lshl_add_u64 v[4:5], v[0:1], 0, s[20:21]
	s_and_saveexec_b64 s[20:21], s[0:1]
	s_cbranch_execz .LBB4_1179
; %bb.1178:
	v_mov_b64_e32 v[6:7], s[16:17]
	v_mov_b32_e32 v8, 2
	v_mov_b32_e32 v9, 1
	global_store_dwordx4 v[4:5], v[6:9], off offset:8
.LBB4_1179:
	s_or_b64 exec, exec, s[20:21]
	s_lshl_b64 s[16:17], s[18:19], 12
	v_lshl_add_u64 v[6:7], v[2:3], 0, s[16:17]
	s_mov_b32 s16, 0
	v_mov_b32_e32 v8, 33
	v_mov_b32_e32 v9, v29
	v_mov_b32_e32 v10, v29
	v_mov_b32_e32 v11, v29
	v_readfirstlane_b32 s20, v6
	v_readfirstlane_b32 s21, v7
	s_mov_b32 s17, s16
	s_mov_b32 s18, s16
	;; [unrolled: 1-line block ×3, first 2 shown]
	s_nop 1
	global_store_dwordx4 v28, v[8:11], s[20:21]
	s_nop 1
	v_mov_b64_e32 v[8:9], s[16:17]
	v_mov_b64_e32 v[10:11], s[18:19]
	global_store_dwordx4 v28, v[8:11], s[20:21] offset:16
	global_store_dwordx4 v28, v[8:11], s[20:21] offset:32
	;; [unrolled: 1-line block ×3, first 2 shown]
	s_and_saveexec_b64 s[16:17], s[0:1]
	s_cbranch_execz .LBB4_1187
; %bb.1180:
	v_mov_b32_e32 v10, 0
	global_load_dwordx2 v[14:15], v10, s[2:3] offset:32 sc0 sc1
	global_load_dwordx2 v[2:3], v10, s[2:3] offset:40
	v_mov_b32_e32 v12, s10
	v_mov_b32_e32 v13, s11
	s_waitcnt vmcnt(0)
	v_readfirstlane_b32 s18, v2
	v_readfirstlane_b32 s19, v3
	s_and_b64 s[18:19], s[18:19], s[10:11]
	s_mul_i32 s15, s19, 24
	s_mul_hi_u32 s19, s18, 24
	s_mul_i32 s18, s18, 24
	s_add_i32 s19, s19, s15
	v_lshl_add_u64 v[8:9], v[0:1], 0, s[18:19]
	global_store_dwordx2 v[8:9], v[14:15], off
	buffer_wbl2 sc0 sc1
	s_waitcnt vmcnt(0)
	global_atomic_cmpswap_x2 v[2:3], v10, v[12:15], s[2:3] offset:32 sc0 sc1
	s_waitcnt vmcnt(0)
	v_cmp_ne_u64_e32 vcc, v[2:3], v[14:15]
	s_and_saveexec_b64 s[18:19], vcc
	s_cbranch_execz .LBB4_1183
; %bb.1181:
	s_mov_b64 s[20:21], 0
.LBB4_1182:                             ; =>This Inner Loop Header: Depth=1
	s_sleep 1
	global_store_dwordx2 v[8:9], v[2:3], off
	v_mov_b32_e32 v0, s10
	v_mov_b32_e32 v1, s11
	buffer_wbl2 sc0 sc1
	s_waitcnt vmcnt(0)
	global_atomic_cmpswap_x2 v[0:1], v10, v[0:3], s[2:3] offset:32 sc0 sc1
	s_waitcnt vmcnt(0)
	v_cmp_eq_u64_e32 vcc, v[0:1], v[2:3]
	s_or_b64 s[20:21], vcc, s[20:21]
	v_mov_b64_e32 v[2:3], v[0:1]
	s_andn2_b64 exec, exec, s[20:21]
	s_cbranch_execnz .LBB4_1182
.LBB4_1183:
	s_or_b64 exec, exec, s[18:19]
	v_mov_b32_e32 v3, 0
	global_load_dwordx2 v[0:1], v3, s[2:3] offset:16
	s_mov_b64 s[18:19], exec
	v_mbcnt_lo_u32_b32 v2, s18, 0
	v_mbcnt_hi_u32_b32 v2, s19, v2
	v_cmp_eq_u32_e32 vcc, 0, v2
	s_and_saveexec_b64 s[20:21], vcc
	s_cbranch_execz .LBB4_1185
; %bb.1184:
	s_bcnt1_i32_b64 s15, s[18:19]
	v_mov_b32_e32 v2, s15
	buffer_wbl2 sc0 sc1
	s_waitcnt vmcnt(0)
	global_atomic_add_x2 v[0:1], v[2:3], off offset:8 sc1
.LBB4_1185:
	s_or_b64 exec, exec, s[20:21]
	s_waitcnt vmcnt(0)
	global_load_dwordx2 v[2:3], v[0:1], off offset:16
	s_waitcnt vmcnt(0)
	v_cmp_eq_u64_e32 vcc, 0, v[2:3]
	s_cbranch_vccnz .LBB4_1187
; %bb.1186:
	global_load_dword v0, v[0:1], off offset:24
	v_mov_b32_e32 v1, 0
	buffer_wbl2 sc0 sc1
	s_waitcnt vmcnt(0)
	global_store_dwordx2 v[2:3], v[0:1], off sc0 sc1
	v_and_b32_e32 v0, 0xffffff, v0
	s_nop 0
	v_readfirstlane_b32 m0, v0
	s_sendmsg sendmsg(MSG_INTERRUPT)
.LBB4_1187:
	s_or_b64 exec, exec, s[16:17]
	v_lshl_add_u64 v[0:1], v[6:7], 0, v[28:29]
	s_branch .LBB4_1191
.LBB4_1188:                             ;   in Loop: Header=BB4_1191 Depth=1
	s_or_b64 exec, exec, s[16:17]
	v_readfirstlane_b32 s15, v2
	s_cmp_eq_u32 s15, 0
	s_cbranch_scc1 .LBB4_1190
; %bb.1189:                             ;   in Loop: Header=BB4_1191 Depth=1
	s_sleep 1
	s_cbranch_execnz .LBB4_1191
	s_branch .LBB4_1193
.LBB4_1190:
	s_branch .LBB4_1193
.LBB4_1191:                             ; =>This Inner Loop Header: Depth=1
	v_mov_b32_e32 v2, 1
	s_and_saveexec_b64 s[16:17], s[0:1]
	s_cbranch_execz .LBB4_1188
; %bb.1192:                             ;   in Loop: Header=BB4_1191 Depth=1
	global_load_dword v2, v[4:5], off offset:20 sc0 sc1
	s_waitcnt vmcnt(0)
	buffer_inv sc0 sc1
	v_and_b32_e32 v2, 1, v2
	s_branch .LBB4_1188
.LBB4_1193:
	global_load_dwordx2 v[0:1], v[0:1], off
	s_and_saveexec_b64 s[16:17], s[0:1]
	s_cbranch_execz .LBB4_1196
; %bb.1194:
	v_mov_b32_e32 v8, 0
	global_load_dwordx2 v[6:7], v8, s[2:3] offset:40
	global_load_dwordx2 v[10:11], v8, s[2:3] offset:24 sc0 sc1
	global_load_dwordx2 v[12:13], v8, s[2:3]
	s_mov_b64 s[0:1], 0
	s_waitcnt vmcnt(2)
	v_lshl_add_u64 v[2:3], v[6:7], 0, 1
	v_lshl_add_u64 v[14:15], v[2:3], 0, s[10:11]
	v_cmp_eq_u64_e32 vcc, 0, v[14:15]
	s_waitcnt vmcnt(1)
	v_mov_b32_e32 v4, v10
	v_cndmask_b32_e32 v3, v15, v3, vcc
	v_cndmask_b32_e32 v2, v14, v2, vcc
	v_and_b32_e32 v5, v3, v7
	v_and_b32_e32 v6, v2, v6
	v_mul_lo_u32 v5, v5, 24
	v_mul_hi_u32 v7, v6, 24
	v_mul_lo_u32 v6, v6, 24
	v_add_u32_e32 v7, v7, v5
	s_waitcnt vmcnt(0)
	v_lshl_add_u64 v[6:7], v[12:13], 0, v[6:7]
	global_store_dwordx2 v[6:7], v[10:11], off
	v_mov_b32_e32 v5, v11
	buffer_wbl2 sc0 sc1
	s_waitcnt vmcnt(0)
	global_atomic_cmpswap_x2 v[4:5], v8, v[2:5], s[2:3] offset:24 sc0 sc1
	s_waitcnt vmcnt(0)
	v_cmp_ne_u64_e32 vcc, v[4:5], v[10:11]
	s_and_b64 exec, exec, vcc
	s_cbranch_execz .LBB4_1196
.LBB4_1195:                             ; =>This Inner Loop Header: Depth=1
	s_sleep 1
	global_store_dwordx2 v[6:7], v[4:5], off
	buffer_wbl2 sc0 sc1
	s_waitcnt vmcnt(0)
	global_atomic_cmpswap_x2 v[10:11], v8, v[2:5], s[2:3] offset:24 sc0 sc1
	s_waitcnt vmcnt(0)
	v_cmp_eq_u64_e32 vcc, v[10:11], v[4:5]
	s_or_b64 s[0:1], vcc, s[0:1]
	v_mov_b64_e32 v[4:5], v[10:11]
	s_andn2_b64 exec, exec, s[0:1]
	s_cbranch_execnz .LBB4_1195
.LBB4_1196:
	s_or_b64 exec, exec, s[16:17]
	s_and_b64 vcc, exec, s[6:7]
	s_cbranch_vccz .LBB4_1281
; %bb.1197:
	s_waitcnt vmcnt(0)
	v_and_b32_e32 v30, 2, v0
	v_mov_b32_e32 v33, 0
	v_and_b32_e32 v2, -3, v0
	v_mov_b32_e32 v3, v1
	s_mov_b64 s[10:11], 3
	v_mov_b32_e32 v6, 2
	v_mov_b32_e32 v7, 1
	s_getpc_b64 s[6:7]
	s_add_u32 s6, s6, .str.6@rel32@lo+4
	s_addc_u32 s7, s7, .str.6@rel32@hi+12
	s_branch .LBB4_1199
.LBB4_1198:                             ;   in Loop: Header=BB4_1199 Depth=1
	s_or_b64 exec, exec, s[20:21]
	s_sub_u32 s10, s10, s16
	s_subb_u32 s11, s11, s17
	s_add_u32 s6, s6, s16
	s_addc_u32 s7, s7, s17
	s_cmp_lg_u64 s[10:11], 0
	s_cbranch_scc0 .LBB4_1280
.LBB4_1199:                             ; =>This Loop Header: Depth=1
                                        ;     Child Loop BB4_1202 Depth 2
                                        ;     Child Loop BB4_1209 Depth 2
	;; [unrolled: 1-line block ×11, first 2 shown]
	v_cmp_lt_u64_e64 s[0:1], s[10:11], 56
	s_and_b64 s[0:1], s[0:1], exec
	v_cmp_gt_u64_e64 s[0:1], s[10:11], 7
	s_cselect_b32 s17, s11, 0
	s_cselect_b32 s16, s10, 56
	s_and_b64 vcc, exec, s[0:1]
	s_cbranch_vccnz .LBB4_1204
; %bb.1200:                             ;   in Loop: Header=BB4_1199 Depth=1
	s_mov_b64 s[0:1], 0
	s_cmp_eq_u64 s[10:11], 0
	v_mov_b64_e32 v[10:11], 0
	s_cbranch_scc1 .LBB4_1203
; %bb.1201:                             ;   in Loop: Header=BB4_1199 Depth=1
	s_lshl_b64 s[18:19], s[16:17], 3
	s_mov_b64 s[20:21], 0
	v_mov_b64_e32 v[10:11], 0
	s_mov_b64 s[22:23], s[6:7]
.LBB4_1202:                             ;   Parent Loop BB4_1199 Depth=1
                                        ; =>  This Inner Loop Header: Depth=2
	global_load_ubyte v4, v33, s[22:23]
	s_waitcnt vmcnt(0)
	v_and_b32_e32 v32, 0xffff, v4
	v_lshlrev_b64 v[4:5], s20, v[32:33]
	s_add_u32 s20, s20, 8
	s_addc_u32 s21, s21, 0
	s_add_u32 s22, s22, 1
	s_addc_u32 s23, s23, 0
	v_or_b32_e32 v10, v4, v10
	s_cmp_lg_u32 s18, s20
	v_or_b32_e32 v11, v5, v11
	s_cbranch_scc1 .LBB4_1202
.LBB4_1203:                             ;   in Loop: Header=BB4_1199 Depth=1
	s_mov_b32 s15, 0
	s_andn2_b64 vcc, exec, s[0:1]
	s_mov_b64 s[0:1], s[6:7]
	s_cbranch_vccz .LBB4_1205
	s_branch .LBB4_1206
.LBB4_1204:                             ;   in Loop: Header=BB4_1199 Depth=1
                                        ; implicit-def: $vgpr10_vgpr11
                                        ; implicit-def: $sgpr15
	s_mov_b64 s[0:1], s[6:7]
.LBB4_1205:                             ;   in Loop: Header=BB4_1199 Depth=1
	global_load_dwordx2 v[10:11], v33, s[6:7]
	s_add_i32 s15, s16, -8
	s_add_u32 s0, s6, 8
	s_addc_u32 s1, s7, 0
.LBB4_1206:                             ;   in Loop: Header=BB4_1199 Depth=1
	s_cmp_gt_u32 s15, 7
	s_cbranch_scc1 .LBB4_1210
; %bb.1207:                             ;   in Loop: Header=BB4_1199 Depth=1
	s_cmp_eq_u32 s15, 0
	s_cbranch_scc1 .LBB4_1211
; %bb.1208:                             ;   in Loop: Header=BB4_1199 Depth=1
	s_mov_b64 s[18:19], 0
	v_mov_b64_e32 v[12:13], 0
	s_mov_b64 s[20:21], 0
.LBB4_1209:                             ;   Parent Loop BB4_1199 Depth=1
                                        ; =>  This Inner Loop Header: Depth=2
	s_add_u32 s22, s0, s20
	s_addc_u32 s23, s1, s21
	global_load_ubyte v4, v33, s[22:23]
	s_add_u32 s20, s20, 1
	s_addc_u32 s21, s21, 0
	s_waitcnt vmcnt(0)
	v_and_b32_e32 v32, 0xffff, v4
	v_lshlrev_b64 v[4:5], s18, v[32:33]
	s_add_u32 s18, s18, 8
	s_addc_u32 s19, s19, 0
	v_or_b32_e32 v12, v4, v12
	s_cmp_lg_u32 s15, s20
	v_or_b32_e32 v13, v5, v13
	s_cbranch_scc1 .LBB4_1209
	s_branch .LBB4_1212
.LBB4_1210:                             ;   in Loop: Header=BB4_1199 Depth=1
                                        ; implicit-def: $vgpr12_vgpr13
                                        ; implicit-def: $sgpr22
	s_branch .LBB4_1213
.LBB4_1211:                             ;   in Loop: Header=BB4_1199 Depth=1
	v_mov_b64_e32 v[12:13], 0
.LBB4_1212:                             ;   in Loop: Header=BB4_1199 Depth=1
	s_mov_b32 s22, 0
	s_cbranch_execnz .LBB4_1214
.LBB4_1213:                             ;   in Loop: Header=BB4_1199 Depth=1
	global_load_dwordx2 v[12:13], v33, s[0:1]
	s_add_i32 s22, s15, -8
	s_add_u32 s0, s0, 8
	s_addc_u32 s1, s1, 0
.LBB4_1214:                             ;   in Loop: Header=BB4_1199 Depth=1
	s_cmp_gt_u32 s22, 7
	s_cbranch_scc1 .LBB4_1218
; %bb.1215:                             ;   in Loop: Header=BB4_1199 Depth=1
	s_cmp_eq_u32 s22, 0
	s_cbranch_scc1 .LBB4_1219
; %bb.1216:                             ;   in Loop: Header=BB4_1199 Depth=1
	s_mov_b64 s[18:19], 0
	v_mov_b64_e32 v[14:15], 0
	s_mov_b64 s[20:21], 0
.LBB4_1217:                             ;   Parent Loop BB4_1199 Depth=1
                                        ; =>  This Inner Loop Header: Depth=2
	s_add_u32 s24, s0, s20
	s_addc_u32 s25, s1, s21
	global_load_ubyte v4, v33, s[24:25]
	s_add_u32 s20, s20, 1
	s_addc_u32 s21, s21, 0
	s_waitcnt vmcnt(0)
	v_and_b32_e32 v32, 0xffff, v4
	v_lshlrev_b64 v[4:5], s18, v[32:33]
	s_add_u32 s18, s18, 8
	s_addc_u32 s19, s19, 0
	v_or_b32_e32 v14, v4, v14
	s_cmp_lg_u32 s22, s20
	v_or_b32_e32 v15, v5, v15
	s_cbranch_scc1 .LBB4_1217
	s_branch .LBB4_1220
.LBB4_1218:                             ;   in Loop: Header=BB4_1199 Depth=1
                                        ; implicit-def: $sgpr15
	s_branch .LBB4_1221
.LBB4_1219:                             ;   in Loop: Header=BB4_1199 Depth=1
	v_mov_b64_e32 v[14:15], 0
.LBB4_1220:                             ;   in Loop: Header=BB4_1199 Depth=1
	s_mov_b32 s15, 0
	s_cbranch_execnz .LBB4_1222
.LBB4_1221:                             ;   in Loop: Header=BB4_1199 Depth=1
	global_load_dwordx2 v[14:15], v33, s[0:1]
	s_add_i32 s15, s22, -8
	s_add_u32 s0, s0, 8
	s_addc_u32 s1, s1, 0
.LBB4_1222:                             ;   in Loop: Header=BB4_1199 Depth=1
	s_cmp_gt_u32 s15, 7
	s_cbranch_scc1 .LBB4_1226
; %bb.1223:                             ;   in Loop: Header=BB4_1199 Depth=1
	s_cmp_eq_u32 s15, 0
	s_cbranch_scc1 .LBB4_1227
; %bb.1224:                             ;   in Loop: Header=BB4_1199 Depth=1
	s_mov_b64 s[18:19], 0
	v_mov_b64_e32 v[16:17], 0
	s_mov_b64 s[20:21], 0
.LBB4_1225:                             ;   Parent Loop BB4_1199 Depth=1
                                        ; =>  This Inner Loop Header: Depth=2
	s_add_u32 s22, s0, s20
	s_addc_u32 s23, s1, s21
	global_load_ubyte v4, v33, s[22:23]
	s_add_u32 s20, s20, 1
	s_addc_u32 s21, s21, 0
	s_waitcnt vmcnt(0)
	v_and_b32_e32 v32, 0xffff, v4
	v_lshlrev_b64 v[4:5], s18, v[32:33]
	s_add_u32 s18, s18, 8
	s_addc_u32 s19, s19, 0
	v_or_b32_e32 v16, v4, v16
	s_cmp_lg_u32 s15, s20
	v_or_b32_e32 v17, v5, v17
	s_cbranch_scc1 .LBB4_1225
	s_branch .LBB4_1228
.LBB4_1226:                             ;   in Loop: Header=BB4_1199 Depth=1
                                        ; implicit-def: $vgpr16_vgpr17
                                        ; implicit-def: $sgpr22
	s_branch .LBB4_1229
.LBB4_1227:                             ;   in Loop: Header=BB4_1199 Depth=1
	v_mov_b64_e32 v[16:17], 0
.LBB4_1228:                             ;   in Loop: Header=BB4_1199 Depth=1
	s_mov_b32 s22, 0
	s_cbranch_execnz .LBB4_1230
.LBB4_1229:                             ;   in Loop: Header=BB4_1199 Depth=1
	global_load_dwordx2 v[16:17], v33, s[0:1]
	s_add_i32 s22, s15, -8
	s_add_u32 s0, s0, 8
	s_addc_u32 s1, s1, 0
.LBB4_1230:                             ;   in Loop: Header=BB4_1199 Depth=1
	s_cmp_gt_u32 s22, 7
	s_cbranch_scc1 .LBB4_1234
; %bb.1231:                             ;   in Loop: Header=BB4_1199 Depth=1
	s_cmp_eq_u32 s22, 0
	s_cbranch_scc1 .LBB4_1235
; %bb.1232:                             ;   in Loop: Header=BB4_1199 Depth=1
	s_mov_b64 s[18:19], 0
	v_mov_b64_e32 v[18:19], 0
	s_mov_b64 s[20:21], 0
.LBB4_1233:                             ;   Parent Loop BB4_1199 Depth=1
                                        ; =>  This Inner Loop Header: Depth=2
	s_add_u32 s24, s0, s20
	s_addc_u32 s25, s1, s21
	global_load_ubyte v4, v33, s[24:25]
	s_add_u32 s20, s20, 1
	s_addc_u32 s21, s21, 0
	s_waitcnt vmcnt(0)
	v_and_b32_e32 v32, 0xffff, v4
	v_lshlrev_b64 v[4:5], s18, v[32:33]
	s_add_u32 s18, s18, 8
	s_addc_u32 s19, s19, 0
	v_or_b32_e32 v18, v4, v18
	s_cmp_lg_u32 s22, s20
	v_or_b32_e32 v19, v5, v19
	s_cbranch_scc1 .LBB4_1233
	s_branch .LBB4_1236
.LBB4_1234:                             ;   in Loop: Header=BB4_1199 Depth=1
                                        ; implicit-def: $sgpr15
	s_branch .LBB4_1237
.LBB4_1235:                             ;   in Loop: Header=BB4_1199 Depth=1
	v_mov_b64_e32 v[18:19], 0
.LBB4_1236:                             ;   in Loop: Header=BB4_1199 Depth=1
	s_mov_b32 s15, 0
	s_cbranch_execnz .LBB4_1238
.LBB4_1237:                             ;   in Loop: Header=BB4_1199 Depth=1
	global_load_dwordx2 v[18:19], v33, s[0:1]
	s_add_i32 s15, s22, -8
	s_add_u32 s0, s0, 8
	s_addc_u32 s1, s1, 0
.LBB4_1238:                             ;   in Loop: Header=BB4_1199 Depth=1
	s_cmp_gt_u32 s15, 7
	s_cbranch_scc1 .LBB4_1242
; %bb.1239:                             ;   in Loop: Header=BB4_1199 Depth=1
	s_cmp_eq_u32 s15, 0
	s_cbranch_scc1 .LBB4_1243
; %bb.1240:                             ;   in Loop: Header=BB4_1199 Depth=1
	s_mov_b64 s[18:19], 0
	v_mov_b64_e32 v[20:21], 0
	s_mov_b64 s[20:21], 0
.LBB4_1241:                             ;   Parent Loop BB4_1199 Depth=1
                                        ; =>  This Inner Loop Header: Depth=2
	s_add_u32 s22, s0, s20
	s_addc_u32 s23, s1, s21
	global_load_ubyte v4, v33, s[22:23]
	s_add_u32 s20, s20, 1
	s_addc_u32 s21, s21, 0
	s_waitcnt vmcnt(0)
	v_and_b32_e32 v32, 0xffff, v4
	v_lshlrev_b64 v[4:5], s18, v[32:33]
	s_add_u32 s18, s18, 8
	s_addc_u32 s19, s19, 0
	v_or_b32_e32 v20, v4, v20
	s_cmp_lg_u32 s15, s20
	v_or_b32_e32 v21, v5, v21
	s_cbranch_scc1 .LBB4_1241
	s_branch .LBB4_1244
.LBB4_1242:                             ;   in Loop: Header=BB4_1199 Depth=1
                                        ; implicit-def: $vgpr20_vgpr21
                                        ; implicit-def: $sgpr22
	s_branch .LBB4_1245
.LBB4_1243:                             ;   in Loop: Header=BB4_1199 Depth=1
	v_mov_b64_e32 v[20:21], 0
.LBB4_1244:                             ;   in Loop: Header=BB4_1199 Depth=1
	s_mov_b32 s22, 0
	s_cbranch_execnz .LBB4_1246
.LBB4_1245:                             ;   in Loop: Header=BB4_1199 Depth=1
	global_load_dwordx2 v[20:21], v33, s[0:1]
	s_add_i32 s22, s15, -8
	s_add_u32 s0, s0, 8
	s_addc_u32 s1, s1, 0
.LBB4_1246:                             ;   in Loop: Header=BB4_1199 Depth=1
	s_cmp_gt_u32 s22, 7
	s_cbranch_scc1 .LBB4_1250
; %bb.1247:                             ;   in Loop: Header=BB4_1199 Depth=1
	s_cmp_eq_u32 s22, 0
	s_cbranch_scc1 .LBB4_1251
; %bb.1248:                             ;   in Loop: Header=BB4_1199 Depth=1
	s_mov_b64 s[18:19], 0
	v_mov_b64_e32 v[22:23], 0
	s_mov_b64 s[20:21], s[0:1]
.LBB4_1249:                             ;   Parent Loop BB4_1199 Depth=1
                                        ; =>  This Inner Loop Header: Depth=2
	global_load_ubyte v4, v33, s[20:21]
	s_add_i32 s22, s22, -1
	s_waitcnt vmcnt(0)
	v_and_b32_e32 v32, 0xffff, v4
	v_lshlrev_b64 v[4:5], s18, v[32:33]
	s_add_u32 s18, s18, 8
	s_addc_u32 s19, s19, 0
	s_add_u32 s20, s20, 1
	s_addc_u32 s21, s21, 0
	v_or_b32_e32 v22, v4, v22
	s_cmp_lg_u32 s22, 0
	v_or_b32_e32 v23, v5, v23
	s_cbranch_scc1 .LBB4_1249
	s_branch .LBB4_1252
.LBB4_1250:                             ;   in Loop: Header=BB4_1199 Depth=1
	s_branch .LBB4_1253
.LBB4_1251:                             ;   in Loop: Header=BB4_1199 Depth=1
	v_mov_b64_e32 v[22:23], 0
.LBB4_1252:                             ;   in Loop: Header=BB4_1199 Depth=1
	s_cbranch_execnz .LBB4_1254
.LBB4_1253:                             ;   in Loop: Header=BB4_1199 Depth=1
	global_load_dwordx2 v[22:23], v33, s[0:1]
.LBB4_1254:                             ;   in Loop: Header=BB4_1199 Depth=1
	v_readfirstlane_b32 s0, v36
	s_waitcnt vmcnt(0)
	v_mov_b64_e32 v[4:5], 0
	v_cmp_eq_u32_e64 s[0:1], s0, v36
	s_and_saveexec_b64 s[18:19], s[0:1]
	s_cbranch_execz .LBB4_1260
; %bb.1255:                             ;   in Loop: Header=BB4_1199 Depth=1
	global_load_dwordx2 v[26:27], v33, s[2:3] offset:24 sc0 sc1
	s_waitcnt vmcnt(0)
	buffer_inv sc0 sc1
	global_load_dwordx2 v[4:5], v33, s[2:3] offset:40
	global_load_dwordx2 v[8:9], v33, s[2:3]
	s_waitcnt vmcnt(1)
	v_and_b32_e32 v4, v4, v26
	v_and_b32_e32 v5, v5, v27
	v_mul_lo_u32 v5, v5, 24
	v_mul_hi_u32 v24, v4, 24
	v_add_u32_e32 v5, v24, v5
	v_mul_lo_u32 v4, v4, 24
	s_waitcnt vmcnt(0)
	v_lshl_add_u64 v[4:5], v[8:9], 0, v[4:5]
	global_load_dwordx2 v[24:25], v[4:5], off sc0 sc1
	s_waitcnt vmcnt(0)
	global_atomic_cmpswap_x2 v[4:5], v33, v[24:27], s[2:3] offset:24 sc0 sc1
	s_waitcnt vmcnt(0)
	buffer_inv sc0 sc1
	v_cmp_ne_u64_e32 vcc, v[4:5], v[26:27]
	s_and_saveexec_b64 s[20:21], vcc
	s_cbranch_execz .LBB4_1259
; %bb.1256:                             ;   in Loop: Header=BB4_1199 Depth=1
	s_mov_b64 s[22:23], 0
.LBB4_1257:                             ;   Parent Loop BB4_1199 Depth=1
                                        ; =>  This Inner Loop Header: Depth=2
	s_sleep 1
	global_load_dwordx2 v[8:9], v33, s[2:3] offset:40
	global_load_dwordx2 v[24:25], v33, s[2:3]
	v_mov_b64_e32 v[26:27], v[4:5]
	s_waitcnt vmcnt(1)
	v_and_b32_e32 v4, v8, v26
	s_waitcnt vmcnt(0)
	v_mad_u64_u32 v[4:5], s[24:25], v4, 24, v[24:25]
	v_and_b32_e32 v9, v9, v27
	v_mov_b32_e32 v8, v5
	v_mad_u64_u32 v[8:9], s[24:25], v9, 24, v[8:9]
	v_mov_b32_e32 v5, v8
	global_load_dwordx2 v[24:25], v[4:5], off sc0 sc1
	s_waitcnt vmcnt(0)
	global_atomic_cmpswap_x2 v[4:5], v33, v[24:27], s[2:3] offset:24 sc0 sc1
	s_waitcnt vmcnt(0)
	buffer_inv sc0 sc1
	v_cmp_eq_u64_e32 vcc, v[4:5], v[26:27]
	s_or_b64 s[22:23], vcc, s[22:23]
	s_andn2_b64 exec, exec, s[22:23]
	s_cbranch_execnz .LBB4_1257
; %bb.1258:                             ;   in Loop: Header=BB4_1199 Depth=1
	s_or_b64 exec, exec, s[22:23]
.LBB4_1259:                             ;   in Loop: Header=BB4_1199 Depth=1
	s_or_b64 exec, exec, s[20:21]
.LBB4_1260:                             ;   in Loop: Header=BB4_1199 Depth=1
	s_or_b64 exec, exec, s[18:19]
	global_load_dwordx2 v[8:9], v33, s[2:3] offset:40
	global_load_dwordx4 v[24:27], v33, s[2:3]
	v_readfirstlane_b32 s18, v4
	v_readfirstlane_b32 s19, v5
	s_mov_b64 s[20:21], exec
	s_waitcnt vmcnt(1)
	v_readfirstlane_b32 s22, v8
	v_readfirstlane_b32 s23, v9
	s_and_b64 s[22:23], s[18:19], s[22:23]
	s_mul_i32 s15, s23, 24
	s_mul_hi_u32 s24, s22, 24
	s_add_i32 s25, s24, s15
	s_mul_i32 s24, s22, 24
	s_waitcnt vmcnt(0)
	v_lshl_add_u64 v[34:35], v[24:25], 0, s[24:25]
	s_and_saveexec_b64 s[24:25], s[0:1]
	s_cbranch_execz .LBB4_1262
; %bb.1261:                             ;   in Loop: Header=BB4_1199 Depth=1
	v_mov_b64_e32 v[4:5], s[20:21]
	global_store_dwordx4 v[34:35], v[4:7], off offset:8
.LBB4_1262:                             ;   in Loop: Header=BB4_1199 Depth=1
	s_or_b64 exec, exec, s[24:25]
	s_nop 0
	v_or_b32_e32 v5, v2, v30
	v_cmp_gt_u64_e64 vcc, s[10:11], 56
	s_lshl_b32 s15, s16, 2
	s_lshl_b64 s[20:21], s[22:23], 12
	v_cndmask_b32_e32 v2, v5, v2, vcc
	s_add_i32 s15, s15, 28
	v_lshl_add_u64 v[26:27], v[26:27], 0, s[20:21]
	v_or_b32_e32 v4, 0, v3
	s_and_b32 s15, s15, 0x1e0
	v_and_b32_e32 v2, 0xffffff1f, v2
	v_cndmask_b32_e32 v9, v4, v3, vcc
	v_or_b32_e32 v8, s15, v2
	v_readfirstlane_b32 s20, v26
	v_readfirstlane_b32 s21, v27
	s_nop 4
	global_store_dwordx4 v28, v[8:11], s[20:21]
	global_store_dwordx4 v28, v[12:15], s[20:21] offset:16
	global_store_dwordx4 v28, v[16:19], s[20:21] offset:32
	;; [unrolled: 1-line block ×3, first 2 shown]
	s_and_saveexec_b64 s[20:21], s[0:1]
	s_cbranch_execz .LBB4_1270
; %bb.1263:                             ;   in Loop: Header=BB4_1199 Depth=1
	global_load_dwordx2 v[12:13], v33, s[2:3] offset:32 sc0 sc1
	global_load_dwordx2 v[2:3], v33, s[2:3] offset:40
	v_mov_b32_e32 v10, s18
	v_mov_b32_e32 v11, s19
	s_waitcnt vmcnt(0)
	v_readfirstlane_b32 s22, v2
	v_readfirstlane_b32 s23, v3
	s_and_b64 s[22:23], s[22:23], s[18:19]
	s_mul_i32 s15, s23, 24
	s_mul_hi_u32 s23, s22, 24
	s_mul_i32 s22, s22, 24
	s_add_i32 s23, s23, s15
	v_lshl_add_u64 v[8:9], v[24:25], 0, s[22:23]
	global_store_dwordx2 v[8:9], v[12:13], off
	buffer_wbl2 sc0 sc1
	s_waitcnt vmcnt(0)
	global_atomic_cmpswap_x2 v[4:5], v33, v[10:13], s[2:3] offset:32 sc0 sc1
	s_waitcnt vmcnt(0)
	v_cmp_ne_u64_e32 vcc, v[4:5], v[12:13]
	s_and_saveexec_b64 s[22:23], vcc
	s_cbranch_execz .LBB4_1266
; %bb.1264:                             ;   in Loop: Header=BB4_1199 Depth=1
	s_mov_b64 s[24:25], 0
.LBB4_1265:                             ;   Parent Loop BB4_1199 Depth=1
                                        ; =>  This Inner Loop Header: Depth=2
	s_sleep 1
	global_store_dwordx2 v[8:9], v[4:5], off
	v_mov_b32_e32 v2, s18
	v_mov_b32_e32 v3, s19
	buffer_wbl2 sc0 sc1
	s_waitcnt vmcnt(0)
	global_atomic_cmpswap_x2 v[2:3], v33, v[2:5], s[2:3] offset:32 sc0 sc1
	s_waitcnt vmcnt(0)
	v_cmp_eq_u64_e32 vcc, v[2:3], v[4:5]
	s_or_b64 s[24:25], vcc, s[24:25]
	v_mov_b64_e32 v[4:5], v[2:3]
	s_andn2_b64 exec, exec, s[24:25]
	s_cbranch_execnz .LBB4_1265
.LBB4_1266:                             ;   in Loop: Header=BB4_1199 Depth=1
	s_or_b64 exec, exec, s[22:23]
	global_load_dwordx2 v[2:3], v33, s[2:3] offset:16
	s_mov_b64 s[24:25], exec
	v_mbcnt_lo_u32_b32 v4, s24, 0
	v_mbcnt_hi_u32_b32 v4, s25, v4
	v_cmp_eq_u32_e32 vcc, 0, v4
	s_and_saveexec_b64 s[22:23], vcc
	s_cbranch_execz .LBB4_1268
; %bb.1267:                             ;   in Loop: Header=BB4_1199 Depth=1
	s_bcnt1_i32_b64 s15, s[24:25]
	v_mov_b32_e32 v32, s15
	buffer_wbl2 sc0 sc1
	s_waitcnt vmcnt(0)
	global_atomic_add_x2 v[2:3], v[32:33], off offset:8 sc1
.LBB4_1268:                             ;   in Loop: Header=BB4_1199 Depth=1
	s_or_b64 exec, exec, s[22:23]
	s_waitcnt vmcnt(0)
	global_load_dwordx2 v[4:5], v[2:3], off offset:16
	s_waitcnt vmcnt(0)
	v_cmp_eq_u64_e32 vcc, 0, v[4:5]
	s_cbranch_vccnz .LBB4_1270
; %bb.1269:                             ;   in Loop: Header=BB4_1199 Depth=1
	global_load_dword v32, v[2:3], off offset:24
	s_waitcnt vmcnt(0)
	v_and_b32_e32 v2, 0xffffff, v32
	s_nop 0
	v_readfirstlane_b32 m0, v2
	buffer_wbl2 sc0 sc1
	global_store_dwordx2 v[4:5], v[32:33], off sc0 sc1
	s_sendmsg sendmsg(MSG_INTERRUPT)
.LBB4_1270:                             ;   in Loop: Header=BB4_1199 Depth=1
	s_or_b64 exec, exec, s[20:21]
	v_mov_b32_e32 v29, v33
	v_lshl_add_u64 v[2:3], v[26:27], 0, v[28:29]
	s_branch .LBB4_1274
.LBB4_1271:                             ;   in Loop: Header=BB4_1274 Depth=2
	s_or_b64 exec, exec, s[20:21]
	v_readfirstlane_b32 s15, v4
	s_cmp_eq_u32 s15, 0
	s_cbranch_scc1 .LBB4_1273
; %bb.1272:                             ;   in Loop: Header=BB4_1274 Depth=2
	s_sleep 1
	s_cbranch_execnz .LBB4_1274
	s_branch .LBB4_1276
.LBB4_1273:                             ;   in Loop: Header=BB4_1199 Depth=1
	s_branch .LBB4_1276
.LBB4_1274:                             ;   Parent Loop BB4_1199 Depth=1
                                        ; =>  This Inner Loop Header: Depth=2
	v_mov_b32_e32 v4, 1
	s_and_saveexec_b64 s[20:21], s[0:1]
	s_cbranch_execz .LBB4_1271
; %bb.1275:                             ;   in Loop: Header=BB4_1274 Depth=2
	global_load_dword v4, v[34:35], off offset:20 sc0 sc1
	s_waitcnt vmcnt(0)
	buffer_inv sc0 sc1
	v_and_b32_e32 v4, 1, v4
	s_branch .LBB4_1271
.LBB4_1276:                             ;   in Loop: Header=BB4_1199 Depth=1
	global_load_dwordx4 v[2:5], v[2:3], off
	s_and_saveexec_b64 s[20:21], s[0:1]
	s_cbranch_execz .LBB4_1198
; %bb.1277:                             ;   in Loop: Header=BB4_1199 Depth=1
	global_load_dwordx2 v[4:5], v33, s[2:3] offset:40
	global_load_dwordx2 v[12:13], v33, s[2:3] offset:24 sc0 sc1
	global_load_dwordx2 v[14:15], v33, s[2:3]
	s_waitcnt vmcnt(2)
	v_lshl_add_u64 v[8:9], v[4:5], 0, 1
	v_lshl_add_u64 v[16:17], v[8:9], 0, s[18:19]
	v_cmp_eq_u64_e32 vcc, 0, v[16:17]
	s_waitcnt vmcnt(1)
	v_mov_b32_e32 v10, v12
	v_cndmask_b32_e32 v9, v17, v9, vcc
	v_cndmask_b32_e32 v8, v16, v8, vcc
	v_and_b32_e32 v5, v9, v5
	v_and_b32_e32 v4, v8, v4
	v_mul_lo_u32 v5, v5, 24
	v_mul_hi_u32 v11, v4, 24
	v_mul_lo_u32 v4, v4, 24
	v_add_u32_e32 v5, v11, v5
	s_waitcnt vmcnt(0)
	v_lshl_add_u64 v[4:5], v[14:15], 0, v[4:5]
	global_store_dwordx2 v[4:5], v[12:13], off
	v_mov_b32_e32 v11, v13
	buffer_wbl2 sc0 sc1
	s_waitcnt vmcnt(0)
	global_atomic_cmpswap_x2 v[10:11], v33, v[8:11], s[2:3] offset:24 sc0 sc1
	s_waitcnt vmcnt(0)
	v_cmp_ne_u64_e32 vcc, v[10:11], v[12:13]
	s_and_b64 exec, exec, vcc
	s_cbranch_execz .LBB4_1198
; %bb.1278:                             ;   in Loop: Header=BB4_1199 Depth=1
	s_mov_b64 s[0:1], 0
.LBB4_1279:                             ;   Parent Loop BB4_1199 Depth=1
                                        ; =>  This Inner Loop Header: Depth=2
	s_sleep 1
	global_store_dwordx2 v[4:5], v[10:11], off
	buffer_wbl2 sc0 sc1
	s_waitcnt vmcnt(0)
	global_atomic_cmpswap_x2 v[12:13], v33, v[8:11], s[2:3] offset:24 sc0 sc1
	s_waitcnt vmcnt(0)
	v_cmp_eq_u64_e32 vcc, v[12:13], v[10:11]
	s_or_b64 s[0:1], vcc, s[0:1]
	v_mov_b64_e32 v[10:11], v[12:13]
	s_andn2_b64 exec, exec, s[0:1]
	s_cbranch_execnz .LBB4_1279
	s_branch .LBB4_1198
.LBB4_1280:
	s_branch .LBB4_1308
.LBB4_1281:
                                        ; implicit-def: $vgpr2_vgpr3
	s_cbranch_execz .LBB4_1308
; %bb.1282:
	v_readfirstlane_b32 s0, v36
	s_waitcnt vmcnt(0)
	v_mov_b64_e32 v[2:3], 0
	v_cmp_eq_u32_e64 s[0:1], s0, v36
	s_and_saveexec_b64 s[6:7], s[0:1]
	s_cbranch_execz .LBB4_1288
; %bb.1283:
	v_mov_b32_e32 v4, 0
	global_load_dwordx2 v[8:9], v4, s[2:3] offset:24 sc0 sc1
	s_waitcnt vmcnt(0)
	buffer_inv sc0 sc1
	global_load_dwordx2 v[2:3], v4, s[2:3] offset:40
	global_load_dwordx2 v[6:7], v4, s[2:3]
	s_waitcnt vmcnt(1)
	v_and_b32_e32 v2, v2, v8
	v_and_b32_e32 v3, v3, v9
	v_mul_lo_u32 v3, v3, 24
	v_mul_hi_u32 v5, v2, 24
	v_add_u32_e32 v3, v5, v3
	v_mul_lo_u32 v2, v2, 24
	s_waitcnt vmcnt(0)
	v_lshl_add_u64 v[2:3], v[6:7], 0, v[2:3]
	global_load_dwordx2 v[6:7], v[2:3], off sc0 sc1
	s_waitcnt vmcnt(0)
	global_atomic_cmpswap_x2 v[2:3], v4, v[6:9], s[2:3] offset:24 sc0 sc1
	s_waitcnt vmcnt(0)
	buffer_inv sc0 sc1
	v_cmp_ne_u64_e32 vcc, v[2:3], v[8:9]
	s_and_saveexec_b64 s[10:11], vcc
	s_cbranch_execz .LBB4_1287
; %bb.1284:
	s_mov_b64 s[16:17], 0
.LBB4_1285:                             ; =>This Inner Loop Header: Depth=1
	s_sleep 1
	global_load_dwordx2 v[6:7], v4, s[2:3] offset:40
	global_load_dwordx2 v[10:11], v4, s[2:3]
	v_mov_b64_e32 v[8:9], v[2:3]
	s_waitcnt vmcnt(1)
	v_and_b32_e32 v2, v6, v8
	s_waitcnt vmcnt(0)
	v_mad_u64_u32 v[2:3], s[18:19], v2, 24, v[10:11]
	v_and_b32_e32 v5, v7, v9
	v_mov_b32_e32 v6, v3
	v_mad_u64_u32 v[6:7], s[18:19], v5, 24, v[6:7]
	v_mov_b32_e32 v3, v6
	global_load_dwordx2 v[6:7], v[2:3], off sc0 sc1
	s_waitcnt vmcnt(0)
	global_atomic_cmpswap_x2 v[2:3], v4, v[6:9], s[2:3] offset:24 sc0 sc1
	s_waitcnt vmcnt(0)
	buffer_inv sc0 sc1
	v_cmp_eq_u64_e32 vcc, v[2:3], v[8:9]
	s_or_b64 s[16:17], vcc, s[16:17]
	s_andn2_b64 exec, exec, s[16:17]
	s_cbranch_execnz .LBB4_1285
; %bb.1286:
	s_or_b64 exec, exec, s[16:17]
.LBB4_1287:
	s_or_b64 exec, exec, s[10:11]
.LBB4_1288:
	s_or_b64 exec, exec, s[6:7]
	v_mov_b32_e32 v29, 0
	global_load_dwordx2 v[8:9], v29, s[2:3] offset:40
	global_load_dwordx4 v[4:7], v29, s[2:3]
	v_readfirstlane_b32 s6, v2
	v_readfirstlane_b32 s7, v3
	s_mov_b64 s[10:11], exec
	s_waitcnt vmcnt(1)
	v_readfirstlane_b32 s16, v8
	v_readfirstlane_b32 s17, v9
	s_and_b64 s[16:17], s[6:7], s[16:17]
	s_mul_i32 s15, s17, 24
	s_mul_hi_u32 s18, s16, 24
	s_add_i32 s19, s18, s15
	s_mul_i32 s18, s16, 24
	s_waitcnt vmcnt(0)
	v_lshl_add_u64 v[8:9], v[4:5], 0, s[18:19]
	s_and_saveexec_b64 s[18:19], s[0:1]
	s_cbranch_execz .LBB4_1290
; %bb.1289:
	v_mov_b64_e32 v[10:11], s[10:11]
	v_mov_b32_e32 v12, 2
	v_mov_b32_e32 v13, 1
	global_store_dwordx4 v[8:9], v[10:13], off offset:8
.LBB4_1290:
	s_or_b64 exec, exec, s[18:19]
	s_lshl_b64 s[10:11], s[16:17], 12
	v_lshl_add_u64 v[6:7], v[6:7], 0, s[10:11]
	s_movk_i32 s10, 0xff1f
	s_mov_b32 s16, 0
	v_and_or_b32 v0, v0, s10, 32
	v_mov_b32_e32 v2, v29
	v_mov_b32_e32 v3, v29
	v_readfirstlane_b32 s10, v6
	v_readfirstlane_b32 s11, v7
	s_mov_b32 s17, s16
	s_mov_b32 s18, s16
	;; [unrolled: 1-line block ×3, first 2 shown]
	s_nop 1
	global_store_dwordx4 v28, v[0:3], s[10:11]
	s_nop 1
	v_mov_b64_e32 v[0:1], s[16:17]
	v_mov_b64_e32 v[2:3], s[18:19]
	global_store_dwordx4 v28, v[0:3], s[10:11] offset:16
	global_store_dwordx4 v28, v[0:3], s[10:11] offset:32
	;; [unrolled: 1-line block ×3, first 2 shown]
	s_and_saveexec_b64 s[10:11], s[0:1]
	s_cbranch_execz .LBB4_1298
; %bb.1291:
	v_mov_b32_e32 v10, 0
	global_load_dwordx2 v[14:15], v10, s[2:3] offset:32 sc0 sc1
	global_load_dwordx2 v[0:1], v10, s[2:3] offset:40
	v_mov_b32_e32 v12, s6
	v_mov_b32_e32 v13, s7
	s_waitcnt vmcnt(0)
	v_readfirstlane_b32 s16, v0
	v_readfirstlane_b32 s17, v1
	s_and_b64 s[16:17], s[16:17], s[6:7]
	s_mul_i32 s15, s17, 24
	s_mul_hi_u32 s17, s16, 24
	s_mul_i32 s16, s16, 24
	s_add_i32 s17, s17, s15
	v_lshl_add_u64 v[4:5], v[4:5], 0, s[16:17]
	global_store_dwordx2 v[4:5], v[14:15], off
	buffer_wbl2 sc0 sc1
	s_waitcnt vmcnt(0)
	global_atomic_cmpswap_x2 v[2:3], v10, v[12:15], s[2:3] offset:32 sc0 sc1
	s_waitcnt vmcnt(0)
	v_cmp_ne_u64_e32 vcc, v[2:3], v[14:15]
	s_and_saveexec_b64 s[16:17], vcc
	s_cbranch_execz .LBB4_1294
; %bb.1292:
	s_mov_b64 s[18:19], 0
.LBB4_1293:                             ; =>This Inner Loop Header: Depth=1
	s_sleep 1
	global_store_dwordx2 v[4:5], v[2:3], off
	v_mov_b32_e32 v0, s6
	v_mov_b32_e32 v1, s7
	buffer_wbl2 sc0 sc1
	s_waitcnt vmcnt(0)
	global_atomic_cmpswap_x2 v[0:1], v10, v[0:3], s[2:3] offset:32 sc0 sc1
	s_waitcnt vmcnt(0)
	v_cmp_eq_u64_e32 vcc, v[0:1], v[2:3]
	s_or_b64 s[18:19], vcc, s[18:19]
	v_mov_b64_e32 v[2:3], v[0:1]
	s_andn2_b64 exec, exec, s[18:19]
	s_cbranch_execnz .LBB4_1293
.LBB4_1294:
	s_or_b64 exec, exec, s[16:17]
	v_mov_b32_e32 v3, 0
	global_load_dwordx2 v[0:1], v3, s[2:3] offset:16
	s_mov_b64 s[16:17], exec
	v_mbcnt_lo_u32_b32 v2, s16, 0
	v_mbcnt_hi_u32_b32 v2, s17, v2
	v_cmp_eq_u32_e32 vcc, 0, v2
	s_and_saveexec_b64 s[18:19], vcc
	s_cbranch_execz .LBB4_1296
; %bb.1295:
	s_bcnt1_i32_b64 s15, s[16:17]
	v_mov_b32_e32 v2, s15
	buffer_wbl2 sc0 sc1
	s_waitcnt vmcnt(0)
	global_atomic_add_x2 v[0:1], v[2:3], off offset:8 sc1
.LBB4_1296:
	s_or_b64 exec, exec, s[18:19]
	s_waitcnt vmcnt(0)
	global_load_dwordx2 v[2:3], v[0:1], off offset:16
	s_waitcnt vmcnt(0)
	v_cmp_eq_u64_e32 vcc, 0, v[2:3]
	s_cbranch_vccnz .LBB4_1298
; %bb.1297:
	global_load_dword v0, v[0:1], off offset:24
	v_mov_b32_e32 v1, 0
	buffer_wbl2 sc0 sc1
	s_waitcnt vmcnt(0)
	global_store_dwordx2 v[2:3], v[0:1], off sc0 sc1
	v_and_b32_e32 v0, 0xffffff, v0
	s_nop 0
	v_readfirstlane_b32 m0, v0
	s_sendmsg sendmsg(MSG_INTERRUPT)
.LBB4_1298:
	s_or_b64 exec, exec, s[10:11]
	v_lshl_add_u64 v[0:1], v[6:7], 0, v[28:29]
	s_branch .LBB4_1302
.LBB4_1299:                             ;   in Loop: Header=BB4_1302 Depth=1
	s_or_b64 exec, exec, s[10:11]
	v_readfirstlane_b32 s10, v2
	s_cmp_eq_u32 s10, 0
	s_cbranch_scc1 .LBB4_1301
; %bb.1300:                             ;   in Loop: Header=BB4_1302 Depth=1
	s_sleep 1
	s_cbranch_execnz .LBB4_1302
	s_branch .LBB4_1304
.LBB4_1301:
	s_branch .LBB4_1304
.LBB4_1302:                             ; =>This Inner Loop Header: Depth=1
	v_mov_b32_e32 v2, 1
	s_and_saveexec_b64 s[10:11], s[0:1]
	s_cbranch_execz .LBB4_1299
; %bb.1303:                             ;   in Loop: Header=BB4_1302 Depth=1
	global_load_dword v2, v[8:9], off offset:20 sc0 sc1
	s_waitcnt vmcnt(0)
	buffer_inv sc0 sc1
	v_and_b32_e32 v2, 1, v2
	s_branch .LBB4_1299
.LBB4_1304:
	global_load_dwordx2 v[2:3], v[0:1], off
	s_and_saveexec_b64 s[10:11], s[0:1]
	s_cbranch_execz .LBB4_1307
; %bb.1305:
	v_mov_b32_e32 v8, 0
	global_load_dwordx2 v[0:1], v8, s[2:3] offset:40
	global_load_dwordx2 v[10:11], v8, s[2:3] offset:24 sc0 sc1
	global_load_dwordx2 v[12:13], v8, s[2:3]
	s_mov_b64 s[0:1], 0
	s_waitcnt vmcnt(2)
	v_lshl_add_u64 v[4:5], v[0:1], 0, 1
	v_lshl_add_u64 v[14:15], v[4:5], 0, s[6:7]
	v_cmp_eq_u64_e32 vcc, 0, v[14:15]
	s_waitcnt vmcnt(1)
	v_mov_b32_e32 v6, v10
	v_cndmask_b32_e32 v5, v15, v5, vcc
	v_cndmask_b32_e32 v4, v14, v4, vcc
	v_and_b32_e32 v1, v5, v1
	v_and_b32_e32 v0, v4, v0
	v_mul_lo_u32 v1, v1, 24
	v_mul_hi_u32 v7, v0, 24
	v_mul_lo_u32 v0, v0, 24
	v_add_u32_e32 v1, v7, v1
	s_waitcnt vmcnt(0)
	v_lshl_add_u64 v[0:1], v[12:13], 0, v[0:1]
	global_store_dwordx2 v[0:1], v[10:11], off
	v_mov_b32_e32 v7, v11
	buffer_wbl2 sc0 sc1
	s_waitcnt vmcnt(0)
	global_atomic_cmpswap_x2 v[6:7], v8, v[4:7], s[2:3] offset:24 sc0 sc1
	s_waitcnt vmcnt(0)
	v_cmp_ne_u64_e32 vcc, v[6:7], v[10:11]
	s_and_b64 exec, exec, vcc
	s_cbranch_execz .LBB4_1307
.LBB4_1306:                             ; =>This Inner Loop Header: Depth=1
	s_sleep 1
	global_store_dwordx2 v[0:1], v[6:7], off
	buffer_wbl2 sc0 sc1
	s_waitcnt vmcnt(0)
	global_atomic_cmpswap_x2 v[10:11], v8, v[4:7], s[2:3] offset:24 sc0 sc1
	s_waitcnt vmcnt(0)
	v_cmp_eq_u64_e32 vcc, v[10:11], v[6:7]
	s_or_b64 s[0:1], vcc, s[0:1]
	v_mov_b64_e32 v[6:7], v[10:11]
	s_andn2_b64 exec, exec, s[0:1]
	s_cbranch_execnz .LBB4_1306
.LBB4_1307:
	s_or_b64 exec, exec, s[10:11]
.LBB4_1308:
	v_readfirstlane_b32 s0, v36
	s_waitcnt vmcnt(0)
	v_mov_b64_e32 v[0:1], 0
	v_cmp_eq_u32_e64 s[0:1], s0, v36
	s_and_saveexec_b64 s[6:7], s[0:1]
	s_cbranch_execz .LBB4_1314
; %bb.1309:
	v_mov_b32_e32 v4, 0
	global_load_dwordx2 v[8:9], v4, s[2:3] offset:24 sc0 sc1
	s_waitcnt vmcnt(0)
	buffer_inv sc0 sc1
	global_load_dwordx2 v[0:1], v4, s[2:3] offset:40
	global_load_dwordx2 v[6:7], v4, s[2:3]
	s_waitcnt vmcnt(1)
	v_and_b32_e32 v0, v0, v8
	v_and_b32_e32 v1, v1, v9
	v_mul_lo_u32 v1, v1, 24
	v_mul_hi_u32 v5, v0, 24
	v_add_u32_e32 v1, v5, v1
	v_mul_lo_u32 v0, v0, 24
	s_waitcnt vmcnt(0)
	v_lshl_add_u64 v[0:1], v[6:7], 0, v[0:1]
	global_load_dwordx2 v[6:7], v[0:1], off sc0 sc1
	s_waitcnt vmcnt(0)
	global_atomic_cmpswap_x2 v[0:1], v4, v[6:9], s[2:3] offset:24 sc0 sc1
	s_waitcnt vmcnt(0)
	buffer_inv sc0 sc1
	v_cmp_ne_u64_e32 vcc, v[0:1], v[8:9]
	s_and_saveexec_b64 s[10:11], vcc
	s_cbranch_execz .LBB4_1313
; %bb.1310:
	s_mov_b64 s[16:17], 0
.LBB4_1311:                             ; =>This Inner Loop Header: Depth=1
	s_sleep 1
	global_load_dwordx2 v[6:7], v4, s[2:3] offset:40
	global_load_dwordx2 v[10:11], v4, s[2:3]
	v_mov_b64_e32 v[8:9], v[0:1]
	s_waitcnt vmcnt(1)
	v_and_b32_e32 v0, v6, v8
	s_waitcnt vmcnt(0)
	v_mad_u64_u32 v[0:1], s[18:19], v0, 24, v[10:11]
	v_and_b32_e32 v5, v7, v9
	v_mov_b32_e32 v6, v1
	v_mad_u64_u32 v[6:7], s[18:19], v5, 24, v[6:7]
	v_mov_b32_e32 v1, v6
	global_load_dwordx2 v[6:7], v[0:1], off sc0 sc1
	s_waitcnt vmcnt(0)
	global_atomic_cmpswap_x2 v[0:1], v4, v[6:9], s[2:3] offset:24 sc0 sc1
	s_waitcnt vmcnt(0)
	buffer_inv sc0 sc1
	v_cmp_eq_u64_e32 vcc, v[0:1], v[8:9]
	s_or_b64 s[16:17], vcc, s[16:17]
	s_andn2_b64 exec, exec, s[16:17]
	s_cbranch_execnz .LBB4_1311
; %bb.1312:
	s_or_b64 exec, exec, s[16:17]
.LBB4_1313:
	s_or_b64 exec, exec, s[10:11]
.LBB4_1314:
	s_or_b64 exec, exec, s[6:7]
	v_mov_b32_e32 v5, 0
	global_load_dwordx2 v[10:11], v5, s[2:3] offset:40
	global_load_dwordx4 v[6:9], v5, s[2:3]
	v_readfirstlane_b32 s6, v0
	v_readfirstlane_b32 s7, v1
	s_mov_b64 s[10:11], exec
	s_waitcnt vmcnt(1)
	v_readfirstlane_b32 s16, v10
	v_readfirstlane_b32 s17, v11
	s_and_b64 s[16:17], s[6:7], s[16:17]
	s_mul_i32 s15, s17, 24
	s_mul_hi_u32 s18, s16, 24
	s_add_i32 s19, s18, s15
	s_mul_i32 s18, s16, 24
	s_waitcnt vmcnt(0)
	v_lshl_add_u64 v[10:11], v[6:7], 0, s[18:19]
	s_and_saveexec_b64 s[18:19], s[0:1]
	s_cbranch_execz .LBB4_1316
; %bb.1315:
	v_mov_b64_e32 v[12:13], s[10:11]
	v_mov_b32_e32 v14, 2
	v_mov_b32_e32 v15, 1
	global_store_dwordx4 v[10:11], v[12:15], off offset:8
.LBB4_1316:
	s_or_b64 exec, exec, s[18:19]
	s_lshl_b64 s[10:11], s[16:17], 12
	v_lshl_add_u64 v[0:1], v[8:9], 0, s[10:11]
	s_movk_i32 s10, 0xff1d
	s_mov_b32 s16, 0
	v_and_or_b32 v2, v2, s10, 34
	v_mov_b32_e32 v4, 10
	v_readfirstlane_b32 s10, v0
	v_readfirstlane_b32 s11, v1
	s_mov_b32 s17, s16
	s_mov_b32 s18, s16
	;; [unrolled: 1-line block ×3, first 2 shown]
	s_nop 1
	global_store_dwordx4 v28, v[2:5], s[10:11]
	v_mov_b64_e32 v[0:1], s[16:17]
	s_nop 0
	v_mov_b64_e32 v[2:3], s[18:19]
	global_store_dwordx4 v28, v[0:3], s[10:11] offset:16
	global_store_dwordx4 v28, v[0:3], s[10:11] offset:32
	global_store_dwordx4 v28, v[0:3], s[10:11] offset:48
	s_and_saveexec_b64 s[10:11], s[0:1]
	s_cbranch_execz .LBB4_1324
; %bb.1317:
	v_mov_b32_e32 v8, 0
	global_load_dwordx2 v[14:15], v8, s[2:3] offset:32 sc0 sc1
	global_load_dwordx2 v[0:1], v8, s[2:3] offset:40
	v_mov_b32_e32 v12, s6
	v_mov_b32_e32 v13, s7
	s_waitcnt vmcnt(0)
	v_readfirstlane_b32 s16, v0
	v_readfirstlane_b32 s17, v1
	s_and_b64 s[16:17], s[16:17], s[6:7]
	s_mul_i32 s15, s17, 24
	s_mul_hi_u32 s17, s16, 24
	s_mul_i32 s16, s16, 24
	s_add_i32 s17, s17, s15
	v_lshl_add_u64 v[4:5], v[6:7], 0, s[16:17]
	global_store_dwordx2 v[4:5], v[14:15], off
	buffer_wbl2 sc0 sc1
	s_waitcnt vmcnt(0)
	global_atomic_cmpswap_x2 v[2:3], v8, v[12:15], s[2:3] offset:32 sc0 sc1
	s_waitcnt vmcnt(0)
	v_cmp_ne_u64_e32 vcc, v[2:3], v[14:15]
	s_and_saveexec_b64 s[16:17], vcc
	s_cbranch_execz .LBB4_1320
; %bb.1318:
	s_mov_b64 s[18:19], 0
.LBB4_1319:                             ; =>This Inner Loop Header: Depth=1
	s_sleep 1
	global_store_dwordx2 v[4:5], v[2:3], off
	v_mov_b32_e32 v0, s6
	v_mov_b32_e32 v1, s7
	buffer_wbl2 sc0 sc1
	s_waitcnt vmcnt(0)
	global_atomic_cmpswap_x2 v[0:1], v8, v[0:3], s[2:3] offset:32 sc0 sc1
	s_waitcnt vmcnt(0)
	v_cmp_eq_u64_e32 vcc, v[0:1], v[2:3]
	s_or_b64 s[18:19], vcc, s[18:19]
	v_mov_b64_e32 v[2:3], v[0:1]
	s_andn2_b64 exec, exec, s[18:19]
	s_cbranch_execnz .LBB4_1319
.LBB4_1320:
	s_or_b64 exec, exec, s[16:17]
	v_mov_b32_e32 v3, 0
	global_load_dwordx2 v[0:1], v3, s[2:3] offset:16
	s_mov_b64 s[16:17], exec
	v_mbcnt_lo_u32_b32 v2, s16, 0
	v_mbcnt_hi_u32_b32 v2, s17, v2
	v_cmp_eq_u32_e32 vcc, 0, v2
	s_and_saveexec_b64 s[18:19], vcc
	s_cbranch_execz .LBB4_1322
; %bb.1321:
	s_bcnt1_i32_b64 s15, s[16:17]
	v_mov_b32_e32 v2, s15
	buffer_wbl2 sc0 sc1
	s_waitcnt vmcnt(0)
	global_atomic_add_x2 v[0:1], v[2:3], off offset:8 sc1
.LBB4_1322:
	s_or_b64 exec, exec, s[18:19]
	s_waitcnt vmcnt(0)
	global_load_dwordx2 v[2:3], v[0:1], off offset:16
	s_waitcnt vmcnt(0)
	v_cmp_eq_u64_e32 vcc, 0, v[2:3]
	s_cbranch_vccnz .LBB4_1324
; %bb.1323:
	global_load_dword v0, v[0:1], off offset:24
	v_mov_b32_e32 v1, 0
	buffer_wbl2 sc0 sc1
	s_waitcnt vmcnt(0)
	global_store_dwordx2 v[2:3], v[0:1], off sc0 sc1
	v_and_b32_e32 v0, 0xffffff, v0
	s_nop 0
	v_readfirstlane_b32 m0, v0
	s_sendmsg sendmsg(MSG_INTERRUPT)
.LBB4_1324:
	s_or_b64 exec, exec, s[10:11]
	s_branch .LBB4_1328
.LBB4_1325:                             ;   in Loop: Header=BB4_1328 Depth=1
	s_or_b64 exec, exec, s[10:11]
	v_readfirstlane_b32 s10, v0
	s_cmp_eq_u32 s10, 0
	s_cbranch_scc1 .LBB4_1327
; %bb.1326:                             ;   in Loop: Header=BB4_1328 Depth=1
	s_sleep 1
	s_cbranch_execnz .LBB4_1328
	s_branch .LBB4_1330
.LBB4_1327:
	s_branch .LBB4_1330
.LBB4_1328:                             ; =>This Inner Loop Header: Depth=1
	v_mov_b32_e32 v0, 1
	s_and_saveexec_b64 s[10:11], s[0:1]
	s_cbranch_execz .LBB4_1325
; %bb.1329:                             ;   in Loop: Header=BB4_1328 Depth=1
	global_load_dword v0, v[10:11], off offset:20 sc0 sc1
	s_waitcnt vmcnt(0)
	buffer_inv sc0 sc1
	v_and_b32_e32 v0, 1, v0
	s_branch .LBB4_1325
.LBB4_1330:
	s_and_saveexec_b64 s[10:11], s[0:1]
	s_cbranch_execz .LBB4_1333
; %bb.1331:
	v_mov_b32_e32 v6, 0
	global_load_dwordx2 v[4:5], v6, s[2:3] offset:40
	global_load_dwordx2 v[8:9], v6, s[2:3] offset:24 sc0 sc1
	global_load_dwordx2 v[10:11], v6, s[2:3]
	s_mov_b64 s[0:1], 0
	s_waitcnt vmcnt(2)
	v_lshl_add_u64 v[0:1], v[4:5], 0, 1
	v_lshl_add_u64 v[12:13], v[0:1], 0, s[6:7]
	v_cmp_eq_u64_e32 vcc, 0, v[12:13]
	s_waitcnt vmcnt(1)
	v_mov_b32_e32 v2, v8
	v_cndmask_b32_e32 v1, v13, v1, vcc
	v_cndmask_b32_e32 v0, v12, v0, vcc
	v_and_b32_e32 v3, v1, v5
	v_and_b32_e32 v4, v0, v4
	v_mul_lo_u32 v3, v3, 24
	v_mul_hi_u32 v5, v4, 24
	v_mul_lo_u32 v4, v4, 24
	v_add_u32_e32 v5, v5, v3
	s_waitcnt vmcnt(0)
	v_lshl_add_u64 v[4:5], v[10:11], 0, v[4:5]
	global_store_dwordx2 v[4:5], v[8:9], off
	v_mov_b32_e32 v3, v9
	buffer_wbl2 sc0 sc1
	s_waitcnt vmcnt(0)
	global_atomic_cmpswap_x2 v[2:3], v6, v[0:3], s[2:3] offset:24 sc0 sc1
	s_waitcnt vmcnt(0)
	v_cmp_ne_u64_e32 vcc, v[2:3], v[8:9]
	s_and_b64 exec, exec, vcc
	s_cbranch_execz .LBB4_1333
.LBB4_1332:                             ; =>This Inner Loop Header: Depth=1
	s_sleep 1
	global_store_dwordx2 v[4:5], v[2:3], off
	buffer_wbl2 sc0 sc1
	s_waitcnt vmcnt(0)
	global_atomic_cmpswap_x2 v[8:9], v6, v[0:3], s[2:3] offset:24 sc0 sc1
	s_waitcnt vmcnt(0)
	v_cmp_eq_u64_e32 vcc, v[8:9], v[2:3]
	s_or_b64 s[0:1], vcc, s[0:1]
	v_mov_b64_e32 v[2:3], v[8:9]
	s_andn2_b64 exec, exec, s[0:1]
	s_cbranch_execnz .LBB4_1332
.LBB4_1333:
	s_or_b64 exec, exec, s[10:11]
	v_readfirstlane_b32 s0, v36
	v_mov_b64_e32 v[4:5], 0
	s_nop 0
	v_cmp_eq_u32_e64 s[0:1], s0, v36
	s_and_saveexec_b64 s[6:7], s[0:1]
	s_cbranch_execz .LBB4_1339
; %bb.1334:
	v_mov_b32_e32 v0, 0
	global_load_dwordx2 v[6:7], v0, s[2:3] offset:24 sc0 sc1
	s_waitcnt vmcnt(0)
	buffer_inv sc0 sc1
	global_load_dwordx2 v[2:3], v0, s[2:3] offset:40
	global_load_dwordx2 v[4:5], v0, s[2:3]
	s_waitcnt vmcnt(1)
	v_and_b32_e32 v1, v2, v6
	v_and_b32_e32 v2, v3, v7
	v_mul_lo_u32 v2, v2, 24
	v_mul_hi_u32 v3, v1, 24
	v_add_u32_e32 v3, v3, v2
	v_mul_lo_u32 v2, v1, 24
	s_waitcnt vmcnt(0)
	v_lshl_add_u64 v[2:3], v[4:5], 0, v[2:3]
	global_load_dwordx2 v[4:5], v[2:3], off sc0 sc1
	s_waitcnt vmcnt(0)
	global_atomic_cmpswap_x2 v[4:5], v0, v[4:7], s[2:3] offset:24 sc0 sc1
	s_waitcnt vmcnt(0)
	buffer_inv sc0 sc1
	v_cmp_ne_u64_e32 vcc, v[4:5], v[6:7]
	s_and_saveexec_b64 s[10:11], vcc
	s_cbranch_execz .LBB4_1338
; %bb.1335:
	s_mov_b64 s[16:17], 0
.LBB4_1336:                             ; =>This Inner Loop Header: Depth=1
	s_sleep 1
	global_load_dwordx2 v[2:3], v0, s[2:3] offset:40
	global_load_dwordx2 v[8:9], v0, s[2:3]
	v_mov_b64_e32 v[6:7], v[4:5]
	s_waitcnt vmcnt(1)
	v_and_b32_e32 v2, v2, v6
	v_and_b32_e32 v1, v3, v7
	s_waitcnt vmcnt(0)
	v_mad_u64_u32 v[2:3], s[18:19], v2, 24, v[8:9]
	v_mov_b32_e32 v4, v3
	v_mad_u64_u32 v[4:5], s[18:19], v1, 24, v[4:5]
	v_mov_b32_e32 v3, v4
	global_load_dwordx2 v[4:5], v[2:3], off sc0 sc1
	s_waitcnt vmcnt(0)
	global_atomic_cmpswap_x2 v[4:5], v0, v[4:7], s[2:3] offset:24 sc0 sc1
	s_waitcnt vmcnt(0)
	buffer_inv sc0 sc1
	v_cmp_eq_u64_e32 vcc, v[4:5], v[6:7]
	s_or_b64 s[16:17], vcc, s[16:17]
	s_andn2_b64 exec, exec, s[16:17]
	s_cbranch_execnz .LBB4_1336
; %bb.1337:
	s_or_b64 exec, exec, s[16:17]
.LBB4_1338:
	s_or_b64 exec, exec, s[10:11]
.LBB4_1339:
	s_or_b64 exec, exec, s[6:7]
	v_mov_b32_e32 v29, 0
	global_load_dwordx2 v[6:7], v29, s[2:3] offset:40
	global_load_dwordx4 v[0:3], v29, s[2:3]
	v_readfirstlane_b32 s6, v4
	v_readfirstlane_b32 s7, v5
	s_mov_b64 s[10:11], exec
	s_waitcnt vmcnt(1)
	v_readfirstlane_b32 s16, v6
	v_readfirstlane_b32 s17, v7
	s_and_b64 s[16:17], s[6:7], s[16:17]
	s_mul_i32 s15, s17, 24
	s_mul_hi_u32 s18, s16, 24
	s_add_i32 s19, s18, s15
	s_mul_i32 s18, s16, 24
	s_waitcnt vmcnt(0)
	v_lshl_add_u64 v[4:5], v[0:1], 0, s[18:19]
	s_and_saveexec_b64 s[18:19], s[0:1]
	s_cbranch_execz .LBB4_1341
; %bb.1340:
	v_mov_b64_e32 v[6:7], s[10:11]
	v_mov_b32_e32 v8, 2
	v_mov_b32_e32 v9, 1
	global_store_dwordx4 v[4:5], v[6:9], off offset:8
.LBB4_1341:
	s_or_b64 exec, exec, s[18:19]
	s_lshl_b64 s[10:11], s[16:17], 12
	v_lshl_add_u64 v[6:7], v[2:3], 0, s[10:11]
	s_mov_b32 s16, 0
	v_mov_b32_e32 v8, 33
	v_mov_b32_e32 v9, v29
	;; [unrolled: 1-line block ×4, first 2 shown]
	v_readfirstlane_b32 s10, v6
	v_readfirstlane_b32 s11, v7
	s_mov_b32 s17, s16
	s_mov_b32 s18, s16
	;; [unrolled: 1-line block ×3, first 2 shown]
	s_nop 1
	global_store_dwordx4 v28, v[8:11], s[10:11]
	s_nop 1
	v_mov_b64_e32 v[8:9], s[16:17]
	v_mov_b64_e32 v[10:11], s[18:19]
	global_store_dwordx4 v28, v[8:11], s[10:11] offset:16
	global_store_dwordx4 v28, v[8:11], s[10:11] offset:32
	;; [unrolled: 1-line block ×3, first 2 shown]
	s_and_saveexec_b64 s[10:11], s[0:1]
	s_cbranch_execz .LBB4_1349
; %bb.1342:
	v_mov_b32_e32 v10, 0
	global_load_dwordx2 v[14:15], v10, s[2:3] offset:32 sc0 sc1
	global_load_dwordx2 v[2:3], v10, s[2:3] offset:40
	v_mov_b32_e32 v12, s6
	v_mov_b32_e32 v13, s7
	s_waitcnt vmcnt(0)
	v_readfirstlane_b32 s16, v2
	v_readfirstlane_b32 s17, v3
	s_and_b64 s[16:17], s[16:17], s[6:7]
	s_mul_i32 s15, s17, 24
	s_mul_hi_u32 s17, s16, 24
	s_mul_i32 s16, s16, 24
	s_add_i32 s17, s17, s15
	v_lshl_add_u64 v[8:9], v[0:1], 0, s[16:17]
	global_store_dwordx2 v[8:9], v[14:15], off
	buffer_wbl2 sc0 sc1
	s_waitcnt vmcnt(0)
	global_atomic_cmpswap_x2 v[2:3], v10, v[12:15], s[2:3] offset:32 sc0 sc1
	s_waitcnt vmcnt(0)
	v_cmp_ne_u64_e32 vcc, v[2:3], v[14:15]
	s_and_saveexec_b64 s[16:17], vcc
	s_cbranch_execz .LBB4_1345
; %bb.1343:
	s_mov_b64 s[18:19], 0
.LBB4_1344:                             ; =>This Inner Loop Header: Depth=1
	s_sleep 1
	global_store_dwordx2 v[8:9], v[2:3], off
	v_mov_b32_e32 v0, s6
	v_mov_b32_e32 v1, s7
	buffer_wbl2 sc0 sc1
	s_waitcnt vmcnt(0)
	global_atomic_cmpswap_x2 v[0:1], v10, v[0:3], s[2:3] offset:32 sc0 sc1
	s_waitcnt vmcnt(0)
	v_cmp_eq_u64_e32 vcc, v[0:1], v[2:3]
	s_or_b64 s[18:19], vcc, s[18:19]
	v_mov_b64_e32 v[2:3], v[0:1]
	s_andn2_b64 exec, exec, s[18:19]
	s_cbranch_execnz .LBB4_1344
.LBB4_1345:
	s_or_b64 exec, exec, s[16:17]
	v_mov_b32_e32 v3, 0
	global_load_dwordx2 v[0:1], v3, s[2:3] offset:16
	s_mov_b64 s[16:17], exec
	v_mbcnt_lo_u32_b32 v2, s16, 0
	v_mbcnt_hi_u32_b32 v2, s17, v2
	v_cmp_eq_u32_e32 vcc, 0, v2
	s_and_saveexec_b64 s[18:19], vcc
	s_cbranch_execz .LBB4_1347
; %bb.1346:
	s_bcnt1_i32_b64 s15, s[16:17]
	v_mov_b32_e32 v2, s15
	buffer_wbl2 sc0 sc1
	s_waitcnt vmcnt(0)
	global_atomic_add_x2 v[0:1], v[2:3], off offset:8 sc1
.LBB4_1347:
	s_or_b64 exec, exec, s[18:19]
	s_waitcnt vmcnt(0)
	global_load_dwordx2 v[2:3], v[0:1], off offset:16
	s_waitcnt vmcnt(0)
	v_cmp_eq_u64_e32 vcc, 0, v[2:3]
	s_cbranch_vccnz .LBB4_1349
; %bb.1348:
	global_load_dword v0, v[0:1], off offset:24
	v_mov_b32_e32 v1, 0
	buffer_wbl2 sc0 sc1
	s_waitcnt vmcnt(0)
	global_store_dwordx2 v[2:3], v[0:1], off sc0 sc1
	v_and_b32_e32 v0, 0xffffff, v0
	s_nop 0
	v_readfirstlane_b32 m0, v0
	s_sendmsg sendmsg(MSG_INTERRUPT)
.LBB4_1349:
	s_or_b64 exec, exec, s[10:11]
	v_lshl_add_u64 v[0:1], v[6:7], 0, v[28:29]
	s_branch .LBB4_1353
.LBB4_1350:                             ;   in Loop: Header=BB4_1353 Depth=1
	s_or_b64 exec, exec, s[10:11]
	v_readfirstlane_b32 s10, v2
	s_cmp_eq_u32 s10, 0
	s_cbranch_scc1 .LBB4_1352
; %bb.1351:                             ;   in Loop: Header=BB4_1353 Depth=1
	s_sleep 1
	s_cbranch_execnz .LBB4_1353
	s_branch .LBB4_1355
.LBB4_1352:
	s_branch .LBB4_1355
.LBB4_1353:                             ; =>This Inner Loop Header: Depth=1
	v_mov_b32_e32 v2, 1
	s_and_saveexec_b64 s[10:11], s[0:1]
	s_cbranch_execz .LBB4_1350
; %bb.1354:                             ;   in Loop: Header=BB4_1353 Depth=1
	global_load_dword v2, v[4:5], off offset:20 sc0 sc1
	s_waitcnt vmcnt(0)
	buffer_inv sc0 sc1
	v_and_b32_e32 v2, 1, v2
	s_branch .LBB4_1350
.LBB4_1355:
	global_load_dwordx2 v[4:5], v[0:1], off
	s_and_saveexec_b64 s[10:11], s[0:1]
	s_cbranch_execz .LBB4_1358
; %bb.1356:
	v_mov_b32_e32 v8, 0
	global_load_dwordx2 v[6:7], v8, s[2:3] offset:40
	global_load_dwordx2 v[10:11], v8, s[2:3] offset:24 sc0 sc1
	global_load_dwordx2 v[12:13], v8, s[2:3]
	s_mov_b64 s[0:1], 0
	s_waitcnt vmcnt(2)
	v_lshl_add_u64 v[0:1], v[6:7], 0, 1
	v_lshl_add_u64 v[14:15], v[0:1], 0, s[6:7]
	v_cmp_eq_u64_e32 vcc, 0, v[14:15]
	s_waitcnt vmcnt(1)
	v_mov_b32_e32 v2, v10
	v_cndmask_b32_e32 v1, v15, v1, vcc
	v_cndmask_b32_e32 v0, v14, v0, vcc
	v_and_b32_e32 v3, v1, v7
	v_and_b32_e32 v6, v0, v6
	v_mul_lo_u32 v3, v3, 24
	v_mul_hi_u32 v7, v6, 24
	v_mul_lo_u32 v6, v6, 24
	v_add_u32_e32 v7, v7, v3
	s_waitcnt vmcnt(0)
	v_lshl_add_u64 v[6:7], v[12:13], 0, v[6:7]
	global_store_dwordx2 v[6:7], v[10:11], off
	v_mov_b32_e32 v3, v11
	buffer_wbl2 sc0 sc1
	s_waitcnt vmcnt(0)
	global_atomic_cmpswap_x2 v[2:3], v8, v[0:3], s[2:3] offset:24 sc0 sc1
	s_waitcnt vmcnt(0)
	v_cmp_ne_u64_e32 vcc, v[2:3], v[10:11]
	s_and_b64 exec, exec, vcc
	s_cbranch_execz .LBB4_1358
.LBB4_1357:                             ; =>This Inner Loop Header: Depth=1
	s_sleep 1
	global_store_dwordx2 v[6:7], v[2:3], off
	buffer_wbl2 sc0 sc1
	s_waitcnt vmcnt(0)
	global_atomic_cmpswap_x2 v[10:11], v8, v[0:3], s[2:3] offset:24 sc0 sc1
	s_waitcnt vmcnt(0)
	v_cmp_eq_u64_e32 vcc, v[10:11], v[2:3]
	s_or_b64 s[0:1], vcc, s[0:1]
	v_mov_b64_e32 v[2:3], v[10:11]
	s_andn2_b64 exec, exec, s[0:1]
	s_cbranch_execnz .LBB4_1357
.LBB4_1358:
	s_or_b64 exec, exec, s[10:11]
	s_and_b64 vcc, exec, s[4:5]
	s_cbranch_vccz .LBB4_1443
; %bb.1359:
	s_waitcnt vmcnt(0)
	v_and_b32_e32 v26, 2, v4
	v_mov_b32_e32 v31, 0
	v_and_b32_e32 v0, -3, v4
	v_mov_b32_e32 v1, v5
	s_mov_b64 s[6:7], 3
	v_mov_b32_e32 v8, 2
	v_mov_b32_e32 v9, 1
	s_getpc_b64 s[4:5]
	s_add_u32 s4, s4, .str.5@rel32@lo+4
	s_addc_u32 s5, s5, .str.5@rel32@hi+12
	s_branch .LBB4_1361
.LBB4_1360:                             ;   in Loop: Header=BB4_1361 Depth=1
	s_or_b64 exec, exec, s[18:19]
	s_sub_u32 s6, s6, s10
	s_subb_u32 s7, s7, s11
	s_add_u32 s4, s4, s10
	s_addc_u32 s5, s5, s11
	s_cmp_lg_u64 s[6:7], 0
	s_cbranch_scc0 .LBB4_1442
.LBB4_1361:                             ; =>This Loop Header: Depth=1
                                        ;     Child Loop BB4_1364 Depth 2
                                        ;     Child Loop BB4_1371 Depth 2
	;; [unrolled: 1-line block ×11, first 2 shown]
	v_cmp_lt_u64_e64 s[0:1], s[6:7], 56
	s_and_b64 s[0:1], s[0:1], exec
	v_cmp_gt_u64_e64 s[0:1], s[6:7], 7
	s_cselect_b32 s11, s7, 0
	s_cselect_b32 s10, s6, 56
	s_and_b64 vcc, exec, s[0:1]
	s_cbranch_vccnz .LBB4_1366
; %bb.1362:                             ;   in Loop: Header=BB4_1361 Depth=1
	s_mov_b64 s[0:1], 0
	s_cmp_eq_u64 s[6:7], 0
	s_waitcnt vmcnt(0)
	v_mov_b64_e32 v[2:3], 0
	s_cbranch_scc1 .LBB4_1365
; %bb.1363:                             ;   in Loop: Header=BB4_1361 Depth=1
	s_lshl_b64 s[16:17], s[10:11], 3
	s_mov_b64 s[18:19], 0
	v_mov_b64_e32 v[2:3], 0
	s_mov_b64 s[20:21], s[4:5]
.LBB4_1364:                             ;   Parent Loop BB4_1361 Depth=1
                                        ; =>  This Inner Loop Header: Depth=2
	global_load_ubyte v6, v31, s[20:21]
	s_waitcnt vmcnt(0)
	v_and_b32_e32 v30, 0xffff, v6
	v_lshlrev_b64 v[6:7], s18, v[30:31]
	s_add_u32 s18, s18, 8
	s_addc_u32 s19, s19, 0
	s_add_u32 s20, s20, 1
	s_addc_u32 s21, s21, 0
	v_or_b32_e32 v2, v6, v2
	s_cmp_lg_u32 s16, s18
	v_or_b32_e32 v3, v7, v3
	s_cbranch_scc1 .LBB4_1364
.LBB4_1365:                             ;   in Loop: Header=BB4_1361 Depth=1
	s_mov_b32 s15, 0
	s_andn2_b64 vcc, exec, s[0:1]
	s_mov_b64 s[0:1], s[4:5]
	s_cbranch_vccz .LBB4_1367
	s_branch .LBB4_1368
.LBB4_1366:                             ;   in Loop: Header=BB4_1361 Depth=1
                                        ; implicit-def: $vgpr2_vgpr3
                                        ; implicit-def: $sgpr15
	s_mov_b64 s[0:1], s[4:5]
.LBB4_1367:                             ;   in Loop: Header=BB4_1361 Depth=1
	global_load_dwordx2 v[2:3], v31, s[4:5]
	s_add_i32 s15, s10, -8
	s_add_u32 s0, s4, 8
	s_addc_u32 s1, s5, 0
.LBB4_1368:                             ;   in Loop: Header=BB4_1361 Depth=1
	s_cmp_gt_u32 s15, 7
	s_cbranch_scc1 .LBB4_1372
; %bb.1369:                             ;   in Loop: Header=BB4_1361 Depth=1
	s_cmp_eq_u32 s15, 0
	s_cbranch_scc1 .LBB4_1373
; %bb.1370:                             ;   in Loop: Header=BB4_1361 Depth=1
	s_mov_b64 s[16:17], 0
	v_mov_b64_e32 v[10:11], 0
	s_mov_b64 s[18:19], 0
.LBB4_1371:                             ;   Parent Loop BB4_1361 Depth=1
                                        ; =>  This Inner Loop Header: Depth=2
	s_add_u32 s20, s0, s18
	s_addc_u32 s21, s1, s19
	global_load_ubyte v6, v31, s[20:21]
	s_add_u32 s18, s18, 1
	s_addc_u32 s19, s19, 0
	s_waitcnt vmcnt(0)
	v_and_b32_e32 v30, 0xffff, v6
	v_lshlrev_b64 v[6:7], s16, v[30:31]
	s_add_u32 s16, s16, 8
	s_addc_u32 s17, s17, 0
	v_or_b32_e32 v10, v6, v10
	s_cmp_lg_u32 s15, s18
	v_or_b32_e32 v11, v7, v11
	s_cbranch_scc1 .LBB4_1371
	s_branch .LBB4_1374
.LBB4_1372:                             ;   in Loop: Header=BB4_1361 Depth=1
                                        ; implicit-def: $vgpr10_vgpr11
                                        ; implicit-def: $sgpr20
	s_branch .LBB4_1375
.LBB4_1373:                             ;   in Loop: Header=BB4_1361 Depth=1
	v_mov_b64_e32 v[10:11], 0
.LBB4_1374:                             ;   in Loop: Header=BB4_1361 Depth=1
	s_mov_b32 s20, 0
	s_cbranch_execnz .LBB4_1376
.LBB4_1375:                             ;   in Loop: Header=BB4_1361 Depth=1
	global_load_dwordx2 v[10:11], v31, s[0:1]
	s_add_i32 s20, s15, -8
	s_add_u32 s0, s0, 8
	s_addc_u32 s1, s1, 0
.LBB4_1376:                             ;   in Loop: Header=BB4_1361 Depth=1
	s_cmp_gt_u32 s20, 7
	s_cbranch_scc1 .LBB4_1380
; %bb.1377:                             ;   in Loop: Header=BB4_1361 Depth=1
	s_cmp_eq_u32 s20, 0
	s_cbranch_scc1 .LBB4_1381
; %bb.1378:                             ;   in Loop: Header=BB4_1361 Depth=1
	s_mov_b64 s[16:17], 0
	v_mov_b64_e32 v[12:13], 0
	s_mov_b64 s[18:19], 0
.LBB4_1379:                             ;   Parent Loop BB4_1361 Depth=1
                                        ; =>  This Inner Loop Header: Depth=2
	s_add_u32 s22, s0, s18
	s_addc_u32 s23, s1, s19
	global_load_ubyte v6, v31, s[22:23]
	s_add_u32 s18, s18, 1
	s_addc_u32 s19, s19, 0
	s_waitcnt vmcnt(0)
	v_and_b32_e32 v30, 0xffff, v6
	v_lshlrev_b64 v[6:7], s16, v[30:31]
	s_add_u32 s16, s16, 8
	s_addc_u32 s17, s17, 0
	v_or_b32_e32 v12, v6, v12
	s_cmp_lg_u32 s20, s18
	v_or_b32_e32 v13, v7, v13
	s_cbranch_scc1 .LBB4_1379
	s_branch .LBB4_1382
.LBB4_1380:                             ;   in Loop: Header=BB4_1361 Depth=1
                                        ; implicit-def: $sgpr15
	s_branch .LBB4_1383
.LBB4_1381:                             ;   in Loop: Header=BB4_1361 Depth=1
	v_mov_b64_e32 v[12:13], 0
.LBB4_1382:                             ;   in Loop: Header=BB4_1361 Depth=1
	s_mov_b32 s15, 0
	s_cbranch_execnz .LBB4_1384
.LBB4_1383:                             ;   in Loop: Header=BB4_1361 Depth=1
	global_load_dwordx2 v[12:13], v31, s[0:1]
	s_add_i32 s15, s20, -8
	s_add_u32 s0, s0, 8
	s_addc_u32 s1, s1, 0
.LBB4_1384:                             ;   in Loop: Header=BB4_1361 Depth=1
	s_cmp_gt_u32 s15, 7
	s_cbranch_scc1 .LBB4_1388
; %bb.1385:                             ;   in Loop: Header=BB4_1361 Depth=1
	s_cmp_eq_u32 s15, 0
	s_cbranch_scc1 .LBB4_1389
; %bb.1386:                             ;   in Loop: Header=BB4_1361 Depth=1
	s_mov_b64 s[16:17], 0
	v_mov_b64_e32 v[14:15], 0
	s_mov_b64 s[18:19], 0
.LBB4_1387:                             ;   Parent Loop BB4_1361 Depth=1
                                        ; =>  This Inner Loop Header: Depth=2
	s_add_u32 s20, s0, s18
	s_addc_u32 s21, s1, s19
	global_load_ubyte v6, v31, s[20:21]
	s_add_u32 s18, s18, 1
	s_addc_u32 s19, s19, 0
	s_waitcnt vmcnt(0)
	v_and_b32_e32 v30, 0xffff, v6
	v_lshlrev_b64 v[6:7], s16, v[30:31]
	s_add_u32 s16, s16, 8
	s_addc_u32 s17, s17, 0
	v_or_b32_e32 v14, v6, v14
	s_cmp_lg_u32 s15, s18
	v_or_b32_e32 v15, v7, v15
	s_cbranch_scc1 .LBB4_1387
	s_branch .LBB4_1390
.LBB4_1388:                             ;   in Loop: Header=BB4_1361 Depth=1
                                        ; implicit-def: $vgpr14_vgpr15
                                        ; implicit-def: $sgpr20
	s_branch .LBB4_1391
.LBB4_1389:                             ;   in Loop: Header=BB4_1361 Depth=1
	v_mov_b64_e32 v[14:15], 0
.LBB4_1390:                             ;   in Loop: Header=BB4_1361 Depth=1
	s_mov_b32 s20, 0
	s_cbranch_execnz .LBB4_1392
.LBB4_1391:                             ;   in Loop: Header=BB4_1361 Depth=1
	global_load_dwordx2 v[14:15], v31, s[0:1]
	s_add_i32 s20, s15, -8
	s_add_u32 s0, s0, 8
	s_addc_u32 s1, s1, 0
.LBB4_1392:                             ;   in Loop: Header=BB4_1361 Depth=1
	s_cmp_gt_u32 s20, 7
	s_cbranch_scc1 .LBB4_1396
; %bb.1393:                             ;   in Loop: Header=BB4_1361 Depth=1
	s_cmp_eq_u32 s20, 0
	s_cbranch_scc1 .LBB4_1397
; %bb.1394:                             ;   in Loop: Header=BB4_1361 Depth=1
	s_mov_b64 s[16:17], 0
	v_mov_b64_e32 v[16:17], 0
	s_mov_b64 s[18:19], 0
.LBB4_1395:                             ;   Parent Loop BB4_1361 Depth=1
                                        ; =>  This Inner Loop Header: Depth=2
	s_add_u32 s22, s0, s18
	s_addc_u32 s23, s1, s19
	global_load_ubyte v6, v31, s[22:23]
	s_add_u32 s18, s18, 1
	s_addc_u32 s19, s19, 0
	s_waitcnt vmcnt(0)
	v_and_b32_e32 v30, 0xffff, v6
	v_lshlrev_b64 v[6:7], s16, v[30:31]
	s_add_u32 s16, s16, 8
	s_addc_u32 s17, s17, 0
	v_or_b32_e32 v16, v6, v16
	s_cmp_lg_u32 s20, s18
	v_or_b32_e32 v17, v7, v17
	s_cbranch_scc1 .LBB4_1395
	s_branch .LBB4_1398
.LBB4_1396:                             ;   in Loop: Header=BB4_1361 Depth=1
                                        ; implicit-def: $sgpr15
	s_branch .LBB4_1399
.LBB4_1397:                             ;   in Loop: Header=BB4_1361 Depth=1
	v_mov_b64_e32 v[16:17], 0
.LBB4_1398:                             ;   in Loop: Header=BB4_1361 Depth=1
	s_mov_b32 s15, 0
	s_cbranch_execnz .LBB4_1400
.LBB4_1399:                             ;   in Loop: Header=BB4_1361 Depth=1
	global_load_dwordx2 v[16:17], v31, s[0:1]
	s_add_i32 s15, s20, -8
	s_add_u32 s0, s0, 8
	s_addc_u32 s1, s1, 0
.LBB4_1400:                             ;   in Loop: Header=BB4_1361 Depth=1
	s_cmp_gt_u32 s15, 7
	s_cbranch_scc1 .LBB4_1404
; %bb.1401:                             ;   in Loop: Header=BB4_1361 Depth=1
	s_cmp_eq_u32 s15, 0
	s_cbranch_scc1 .LBB4_1405
; %bb.1402:                             ;   in Loop: Header=BB4_1361 Depth=1
	s_mov_b64 s[16:17], 0
	v_mov_b64_e32 v[18:19], 0
	s_mov_b64 s[18:19], 0
.LBB4_1403:                             ;   Parent Loop BB4_1361 Depth=1
                                        ; =>  This Inner Loop Header: Depth=2
	s_add_u32 s20, s0, s18
	s_addc_u32 s21, s1, s19
	global_load_ubyte v6, v31, s[20:21]
	s_add_u32 s18, s18, 1
	s_addc_u32 s19, s19, 0
	s_waitcnt vmcnt(0)
	v_and_b32_e32 v30, 0xffff, v6
	v_lshlrev_b64 v[6:7], s16, v[30:31]
	s_add_u32 s16, s16, 8
	s_addc_u32 s17, s17, 0
	v_or_b32_e32 v18, v6, v18
	s_cmp_lg_u32 s15, s18
	v_or_b32_e32 v19, v7, v19
	s_cbranch_scc1 .LBB4_1403
	s_branch .LBB4_1406
.LBB4_1404:                             ;   in Loop: Header=BB4_1361 Depth=1
                                        ; implicit-def: $vgpr18_vgpr19
                                        ; implicit-def: $sgpr20
	s_branch .LBB4_1407
.LBB4_1405:                             ;   in Loop: Header=BB4_1361 Depth=1
	v_mov_b64_e32 v[18:19], 0
.LBB4_1406:                             ;   in Loop: Header=BB4_1361 Depth=1
	s_mov_b32 s20, 0
	s_cbranch_execnz .LBB4_1408
.LBB4_1407:                             ;   in Loop: Header=BB4_1361 Depth=1
	global_load_dwordx2 v[18:19], v31, s[0:1]
	s_add_i32 s20, s15, -8
	s_add_u32 s0, s0, 8
	s_addc_u32 s1, s1, 0
.LBB4_1408:                             ;   in Loop: Header=BB4_1361 Depth=1
	s_cmp_gt_u32 s20, 7
	s_cbranch_scc1 .LBB4_1412
; %bb.1409:                             ;   in Loop: Header=BB4_1361 Depth=1
	s_cmp_eq_u32 s20, 0
	s_cbranch_scc1 .LBB4_1413
; %bb.1410:                             ;   in Loop: Header=BB4_1361 Depth=1
	s_mov_b64 s[16:17], 0
	v_mov_b64_e32 v[20:21], 0
	s_mov_b64 s[18:19], s[0:1]
.LBB4_1411:                             ;   Parent Loop BB4_1361 Depth=1
                                        ; =>  This Inner Loop Header: Depth=2
	global_load_ubyte v6, v31, s[18:19]
	s_add_i32 s20, s20, -1
	s_waitcnt vmcnt(0)
	v_and_b32_e32 v30, 0xffff, v6
	v_lshlrev_b64 v[6:7], s16, v[30:31]
	s_add_u32 s16, s16, 8
	s_addc_u32 s17, s17, 0
	s_add_u32 s18, s18, 1
	s_addc_u32 s19, s19, 0
	v_or_b32_e32 v20, v6, v20
	s_cmp_lg_u32 s20, 0
	v_or_b32_e32 v21, v7, v21
	s_cbranch_scc1 .LBB4_1411
	s_branch .LBB4_1414
.LBB4_1412:                             ;   in Loop: Header=BB4_1361 Depth=1
	s_branch .LBB4_1415
.LBB4_1413:                             ;   in Loop: Header=BB4_1361 Depth=1
	v_mov_b64_e32 v[20:21], 0
.LBB4_1414:                             ;   in Loop: Header=BB4_1361 Depth=1
	s_cbranch_execnz .LBB4_1416
.LBB4_1415:                             ;   in Loop: Header=BB4_1361 Depth=1
	global_load_dwordx2 v[20:21], v31, s[0:1]
.LBB4_1416:                             ;   in Loop: Header=BB4_1361 Depth=1
	v_readfirstlane_b32 s0, v36
	v_mov_b64_e32 v[6:7], 0
	s_nop 0
	v_cmp_eq_u32_e64 s[0:1], s0, v36
	s_and_saveexec_b64 s[16:17], s[0:1]
	s_cbranch_execz .LBB4_1422
; %bb.1417:                             ;   in Loop: Header=BB4_1361 Depth=1
	global_load_dwordx2 v[24:25], v31, s[2:3] offset:24 sc0 sc1
	s_waitcnt vmcnt(0)
	buffer_inv sc0 sc1
	global_load_dwordx2 v[6:7], v31, s[2:3] offset:40
	global_load_dwordx2 v[22:23], v31, s[2:3]
	s_waitcnt vmcnt(1)
	v_and_b32_e32 v6, v6, v24
	v_and_b32_e32 v7, v7, v25
	v_mul_lo_u32 v7, v7, 24
	v_mul_hi_u32 v27, v6, 24
	v_add_u32_e32 v7, v27, v7
	v_mul_lo_u32 v6, v6, 24
	s_waitcnt vmcnt(0)
	v_lshl_add_u64 v[6:7], v[22:23], 0, v[6:7]
	global_load_dwordx2 v[22:23], v[6:7], off sc0 sc1
	s_waitcnt vmcnt(0)
	global_atomic_cmpswap_x2 v[6:7], v31, v[22:25], s[2:3] offset:24 sc0 sc1
	s_waitcnt vmcnt(0)
	buffer_inv sc0 sc1
	v_cmp_ne_u64_e32 vcc, v[6:7], v[24:25]
	s_and_saveexec_b64 s[18:19], vcc
	s_cbranch_execz .LBB4_1421
; %bb.1418:                             ;   in Loop: Header=BB4_1361 Depth=1
	s_mov_b64 s[20:21], 0
.LBB4_1419:                             ;   Parent Loop BB4_1361 Depth=1
                                        ; =>  This Inner Loop Header: Depth=2
	s_sleep 1
	global_load_dwordx2 v[22:23], v31, s[2:3] offset:40
	global_load_dwordx2 v[32:33], v31, s[2:3]
	v_mov_b64_e32 v[24:25], v[6:7]
	s_waitcnt vmcnt(1)
	v_and_b32_e32 v6, v22, v24
	s_waitcnt vmcnt(0)
	v_mad_u64_u32 v[6:7], s[22:23], v6, 24, v[32:33]
	v_and_b32_e32 v23, v23, v25
	v_mov_b32_e32 v22, v7
	v_mad_u64_u32 v[22:23], s[22:23], v23, 24, v[22:23]
	v_mov_b32_e32 v7, v22
	global_load_dwordx2 v[22:23], v[6:7], off sc0 sc1
	s_waitcnt vmcnt(0)
	global_atomic_cmpswap_x2 v[6:7], v31, v[22:25], s[2:3] offset:24 sc0 sc1
	s_waitcnt vmcnt(0)
	buffer_inv sc0 sc1
	v_cmp_eq_u64_e32 vcc, v[6:7], v[24:25]
	s_or_b64 s[20:21], vcc, s[20:21]
	s_andn2_b64 exec, exec, s[20:21]
	s_cbranch_execnz .LBB4_1419
; %bb.1420:                             ;   in Loop: Header=BB4_1361 Depth=1
	s_or_b64 exec, exec, s[20:21]
.LBB4_1421:                             ;   in Loop: Header=BB4_1361 Depth=1
	s_or_b64 exec, exec, s[18:19]
.LBB4_1422:                             ;   in Loop: Header=BB4_1361 Depth=1
	s_or_b64 exec, exec, s[16:17]
	global_load_dwordx2 v[32:33], v31, s[2:3] offset:40
	global_load_dwordx4 v[22:25], v31, s[2:3]
	v_readfirstlane_b32 s16, v6
	v_readfirstlane_b32 s17, v7
	s_mov_b64 s[18:19], exec
	s_waitcnt vmcnt(1)
	v_readfirstlane_b32 s20, v32
	v_readfirstlane_b32 s21, v33
	s_and_b64 s[20:21], s[16:17], s[20:21]
	s_mul_i32 s15, s21, 24
	s_mul_hi_u32 s22, s20, 24
	s_add_i32 s23, s22, s15
	s_mul_i32 s22, s20, 24
	s_waitcnt vmcnt(0)
	v_lshl_add_u64 v[32:33], v[22:23], 0, s[22:23]
	s_and_saveexec_b64 s[22:23], s[0:1]
	s_cbranch_execz .LBB4_1424
; %bb.1423:                             ;   in Loop: Header=BB4_1361 Depth=1
	v_mov_b64_e32 v[6:7], s[18:19]
	global_store_dwordx4 v[32:33], v[6:9], off offset:8
.LBB4_1424:                             ;   in Loop: Header=BB4_1361 Depth=1
	s_or_b64 exec, exec, s[22:23]
	s_lshl_b64 s[18:19], s[20:21], 12
	v_lshl_add_u64 v[6:7], v[24:25], 0, s[18:19]
	v_or_b32_e32 v25, v0, v26
	v_cmp_gt_u64_e64 vcc, s[6:7], 56
	s_lshl_b32 s15, s10, 2
	s_add_i32 s15, s15, 28
	v_cndmask_b32_e32 v0, v25, v0, vcc
	v_or_b32_e32 v24, 0, v1
	s_and_b32 s15, s15, 0x1e0
	v_and_b32_e32 v0, 0xffffff1f, v0
	v_cndmask_b32_e32 v1, v24, v1, vcc
	v_or_b32_e32 v0, s15, v0
	v_readfirstlane_b32 s18, v6
	v_readfirstlane_b32 s19, v7
	s_nop 4
	global_store_dwordx4 v28, v[0:3], s[18:19]
	global_store_dwordx4 v28, v[10:13], s[18:19] offset:16
	global_store_dwordx4 v28, v[14:17], s[18:19] offset:32
	;; [unrolled: 1-line block ×3, first 2 shown]
	s_and_saveexec_b64 s[18:19], s[0:1]
	s_cbranch_execz .LBB4_1432
; %bb.1425:                             ;   in Loop: Header=BB4_1361 Depth=1
	global_load_dwordx2 v[14:15], v31, s[2:3] offset:32 sc0 sc1
	global_load_dwordx2 v[0:1], v31, s[2:3] offset:40
	v_mov_b32_e32 v12, s16
	v_mov_b32_e32 v13, s17
	s_waitcnt vmcnt(0)
	v_readfirstlane_b32 s20, v0
	v_readfirstlane_b32 s21, v1
	s_and_b64 s[20:21], s[20:21], s[16:17]
	s_mul_i32 s15, s21, 24
	s_mul_hi_u32 s21, s20, 24
	s_mul_i32 s20, s20, 24
	s_add_i32 s21, s21, s15
	v_lshl_add_u64 v[10:11], v[22:23], 0, s[20:21]
	global_store_dwordx2 v[10:11], v[14:15], off
	buffer_wbl2 sc0 sc1
	s_waitcnt vmcnt(0)
	global_atomic_cmpswap_x2 v[2:3], v31, v[12:15], s[2:3] offset:32 sc0 sc1
	s_waitcnt vmcnt(0)
	v_cmp_ne_u64_e32 vcc, v[2:3], v[14:15]
	s_and_saveexec_b64 s[20:21], vcc
	s_cbranch_execz .LBB4_1428
; %bb.1426:                             ;   in Loop: Header=BB4_1361 Depth=1
	s_mov_b64 s[22:23], 0
.LBB4_1427:                             ;   Parent Loop BB4_1361 Depth=1
                                        ; =>  This Inner Loop Header: Depth=2
	s_sleep 1
	global_store_dwordx2 v[10:11], v[2:3], off
	v_mov_b32_e32 v0, s16
	v_mov_b32_e32 v1, s17
	buffer_wbl2 sc0 sc1
	s_waitcnt vmcnt(0)
	global_atomic_cmpswap_x2 v[0:1], v31, v[0:3], s[2:3] offset:32 sc0 sc1
	s_waitcnt vmcnt(0)
	v_cmp_eq_u64_e32 vcc, v[0:1], v[2:3]
	s_or_b64 s[22:23], vcc, s[22:23]
	v_mov_b64_e32 v[2:3], v[0:1]
	s_andn2_b64 exec, exec, s[22:23]
	s_cbranch_execnz .LBB4_1427
.LBB4_1428:                             ;   in Loop: Header=BB4_1361 Depth=1
	s_or_b64 exec, exec, s[20:21]
	global_load_dwordx2 v[0:1], v31, s[2:3] offset:16
	s_mov_b64 s[22:23], exec
	v_mbcnt_lo_u32_b32 v2, s22, 0
	v_mbcnt_hi_u32_b32 v2, s23, v2
	v_cmp_eq_u32_e32 vcc, 0, v2
	s_and_saveexec_b64 s[20:21], vcc
	s_cbranch_execz .LBB4_1430
; %bb.1429:                             ;   in Loop: Header=BB4_1361 Depth=1
	s_bcnt1_i32_b64 s15, s[22:23]
	v_mov_b32_e32 v30, s15
	buffer_wbl2 sc0 sc1
	s_waitcnt vmcnt(0)
	global_atomic_add_x2 v[0:1], v[30:31], off offset:8 sc1
.LBB4_1430:                             ;   in Loop: Header=BB4_1361 Depth=1
	s_or_b64 exec, exec, s[20:21]
	s_waitcnt vmcnt(0)
	global_load_dwordx2 v[2:3], v[0:1], off offset:16
	s_waitcnt vmcnt(0)
	v_cmp_eq_u64_e32 vcc, 0, v[2:3]
	s_cbranch_vccnz .LBB4_1432
; %bb.1431:                             ;   in Loop: Header=BB4_1361 Depth=1
	global_load_dword v30, v[0:1], off offset:24
	s_waitcnt vmcnt(0)
	v_and_b32_e32 v0, 0xffffff, v30
	s_nop 0
	v_readfirstlane_b32 m0, v0
	buffer_wbl2 sc0 sc1
	global_store_dwordx2 v[2:3], v[30:31], off sc0 sc1
	s_sendmsg sendmsg(MSG_INTERRUPT)
.LBB4_1432:                             ;   in Loop: Header=BB4_1361 Depth=1
	s_or_b64 exec, exec, s[18:19]
	v_mov_b32_e32 v29, v31
	v_lshl_add_u64 v[0:1], v[6:7], 0, v[28:29]
	s_branch .LBB4_1436
.LBB4_1433:                             ;   in Loop: Header=BB4_1436 Depth=2
	s_or_b64 exec, exec, s[18:19]
	v_readfirstlane_b32 s15, v2
	s_cmp_eq_u32 s15, 0
	s_cbranch_scc1 .LBB4_1435
; %bb.1434:                             ;   in Loop: Header=BB4_1436 Depth=2
	s_sleep 1
	s_cbranch_execnz .LBB4_1436
	s_branch .LBB4_1438
.LBB4_1435:                             ;   in Loop: Header=BB4_1361 Depth=1
	s_branch .LBB4_1438
.LBB4_1436:                             ;   Parent Loop BB4_1361 Depth=1
                                        ; =>  This Inner Loop Header: Depth=2
	v_mov_b32_e32 v2, 1
	s_and_saveexec_b64 s[18:19], s[0:1]
	s_cbranch_execz .LBB4_1433
; %bb.1437:                             ;   in Loop: Header=BB4_1436 Depth=2
	global_load_dword v2, v[32:33], off offset:20 sc0 sc1
	s_waitcnt vmcnt(0)
	buffer_inv sc0 sc1
	v_and_b32_e32 v2, 1, v2
	s_branch .LBB4_1433
.LBB4_1438:                             ;   in Loop: Header=BB4_1361 Depth=1
	global_load_dwordx4 v[0:3], v[0:1], off
	s_and_saveexec_b64 s[18:19], s[0:1]
	s_cbranch_execz .LBB4_1360
; %bb.1439:                             ;   in Loop: Header=BB4_1361 Depth=1
	global_load_dwordx2 v[2:3], v31, s[2:3] offset:40
	global_load_dwordx2 v[6:7], v31, s[2:3] offset:24 sc0 sc1
	global_load_dwordx2 v[14:15], v31, s[2:3]
	s_waitcnt vmcnt(2)
	v_lshl_add_u64 v[10:11], v[2:3], 0, 1
	v_lshl_add_u64 v[16:17], v[10:11], 0, s[16:17]
	v_cmp_eq_u64_e32 vcc, 0, v[16:17]
	s_waitcnt vmcnt(1)
	v_mov_b32_e32 v12, v6
	v_cndmask_b32_e32 v11, v17, v11, vcc
	v_cndmask_b32_e32 v10, v16, v10, vcc
	v_and_b32_e32 v3, v11, v3
	v_and_b32_e32 v2, v10, v2
	v_mul_lo_u32 v3, v3, 24
	v_mul_hi_u32 v13, v2, 24
	v_mul_lo_u32 v2, v2, 24
	v_add_u32_e32 v3, v13, v3
	s_waitcnt vmcnt(0)
	v_lshl_add_u64 v[2:3], v[14:15], 0, v[2:3]
	global_store_dwordx2 v[2:3], v[6:7], off
	v_mov_b32_e32 v13, v7
	buffer_wbl2 sc0 sc1
	s_waitcnt vmcnt(0)
	global_atomic_cmpswap_x2 v[12:13], v31, v[10:13], s[2:3] offset:24 sc0 sc1
	s_waitcnt vmcnt(0)
	v_cmp_ne_u64_e32 vcc, v[12:13], v[6:7]
	s_and_b64 exec, exec, vcc
	s_cbranch_execz .LBB4_1360
; %bb.1440:                             ;   in Loop: Header=BB4_1361 Depth=1
	s_mov_b64 s[0:1], 0
.LBB4_1441:                             ;   Parent Loop BB4_1361 Depth=1
                                        ; =>  This Inner Loop Header: Depth=2
	s_sleep 1
	global_store_dwordx2 v[2:3], v[12:13], off
	buffer_wbl2 sc0 sc1
	s_waitcnt vmcnt(0)
	global_atomic_cmpswap_x2 v[6:7], v31, v[10:13], s[2:3] offset:24 sc0 sc1
	s_waitcnt vmcnt(0)
	v_cmp_eq_u64_e32 vcc, v[6:7], v[12:13]
	s_or_b64 s[0:1], vcc, s[0:1]
	v_mov_b64_e32 v[12:13], v[6:7]
	s_andn2_b64 exec, exec, s[0:1]
	s_cbranch_execnz .LBB4_1441
	s_branch .LBB4_1360
.LBB4_1442:
	s_branch .LBB4_1470
.LBB4_1443:
                                        ; implicit-def: $vgpr0_vgpr1
	s_cbranch_execz .LBB4_1470
; %bb.1444:
	v_readfirstlane_b32 s0, v36
	v_mov_b64_e32 v[6:7], 0
	s_nop 0
	v_cmp_eq_u32_e64 s[0:1], s0, v36
	s_and_saveexec_b64 s[4:5], s[0:1]
	s_cbranch_execz .LBB4_1450
; %bb.1445:
	s_waitcnt vmcnt(0)
	v_mov_b32_e32 v0, 0
	global_load_dwordx2 v[8:9], v0, s[2:3] offset:24 sc0 sc1
	s_waitcnt vmcnt(0)
	buffer_inv sc0 sc1
	global_load_dwordx2 v[2:3], v0, s[2:3] offset:40
	global_load_dwordx2 v[6:7], v0, s[2:3]
	s_waitcnt vmcnt(1)
	v_and_b32_e32 v1, v2, v8
	v_and_b32_e32 v2, v3, v9
	v_mul_lo_u32 v2, v2, 24
	v_mul_hi_u32 v3, v1, 24
	v_add_u32_e32 v3, v3, v2
	v_mul_lo_u32 v2, v1, 24
	s_waitcnt vmcnt(0)
	v_lshl_add_u64 v[2:3], v[6:7], 0, v[2:3]
	global_load_dwordx2 v[6:7], v[2:3], off sc0 sc1
	s_waitcnt vmcnt(0)
	global_atomic_cmpswap_x2 v[6:7], v0, v[6:9], s[2:3] offset:24 sc0 sc1
	s_waitcnt vmcnt(0)
	buffer_inv sc0 sc1
	v_cmp_ne_u64_e32 vcc, v[6:7], v[8:9]
	s_and_saveexec_b64 s[6:7], vcc
	s_cbranch_execz .LBB4_1449
; %bb.1446:
	s_mov_b64 s[10:11], 0
.LBB4_1447:                             ; =>This Inner Loop Header: Depth=1
	s_sleep 1
	global_load_dwordx2 v[2:3], v0, s[2:3] offset:40
	global_load_dwordx2 v[10:11], v0, s[2:3]
	v_mov_b64_e32 v[8:9], v[6:7]
	s_waitcnt vmcnt(1)
	v_and_b32_e32 v2, v2, v8
	v_and_b32_e32 v1, v3, v9
	s_waitcnt vmcnt(0)
	v_mad_u64_u32 v[2:3], s[16:17], v2, 24, v[10:11]
	v_mov_b32_e32 v6, v3
	v_mad_u64_u32 v[6:7], s[16:17], v1, 24, v[6:7]
	v_mov_b32_e32 v3, v6
	global_load_dwordx2 v[6:7], v[2:3], off sc0 sc1
	s_waitcnt vmcnt(0)
	global_atomic_cmpswap_x2 v[6:7], v0, v[6:9], s[2:3] offset:24 sc0 sc1
	s_waitcnt vmcnt(0)
	buffer_inv sc0 sc1
	v_cmp_eq_u64_e32 vcc, v[6:7], v[8:9]
	s_or_b64 s[10:11], vcc, s[10:11]
	s_andn2_b64 exec, exec, s[10:11]
	s_cbranch_execnz .LBB4_1447
; %bb.1448:
	s_or_b64 exec, exec, s[10:11]
.LBB4_1449:
	s_or_b64 exec, exec, s[6:7]
.LBB4_1450:
	s_or_b64 exec, exec, s[4:5]
	v_mov_b32_e32 v29, 0
	global_load_dwordx2 v[8:9], v29, s[2:3] offset:40
	global_load_dwordx4 v[0:3], v29, s[2:3]
	v_readfirstlane_b32 s4, v6
	v_readfirstlane_b32 s5, v7
	s_mov_b64 s[6:7], exec
	s_waitcnt vmcnt(1)
	v_readfirstlane_b32 s10, v8
	v_readfirstlane_b32 s11, v9
	s_and_b64 s[10:11], s[4:5], s[10:11]
	s_mul_i32 s15, s11, 24
	s_mul_hi_u32 s16, s10, 24
	s_add_i32 s17, s16, s15
	s_mul_i32 s16, s10, 24
	s_waitcnt vmcnt(0)
	v_lshl_add_u64 v[8:9], v[0:1], 0, s[16:17]
	s_and_saveexec_b64 s[16:17], s[0:1]
	s_cbranch_execz .LBB4_1452
; %bb.1451:
	v_mov_b64_e32 v[10:11], s[6:7]
	v_mov_b32_e32 v12, 2
	v_mov_b32_e32 v13, 1
	global_store_dwordx4 v[8:9], v[10:13], off offset:8
.LBB4_1452:
	s_or_b64 exec, exec, s[16:17]
	s_lshl_b64 s[6:7], s[10:11], 12
	v_lshl_add_u64 v[10:11], v[2:3], 0, s[6:7]
	s_movk_i32 s6, 0xff1f
	s_mov_b32 s16, 0
	v_and_or_b32 v4, v4, s6, 32
	v_mov_b32_e32 v6, v29
	v_mov_b32_e32 v7, v29
	v_readfirstlane_b32 s6, v10
	v_readfirstlane_b32 s7, v11
	s_mov_b32 s17, s16
	s_mov_b32 s18, s16
	;; [unrolled: 1-line block ×3, first 2 shown]
	s_nop 1
	global_store_dwordx4 v28, v[4:7], s[6:7]
	v_mov_b64_e32 v[2:3], s[16:17]
	s_nop 0
	v_mov_b64_e32 v[4:5], s[18:19]
	global_store_dwordx4 v28, v[2:5], s[6:7] offset:16
	global_store_dwordx4 v28, v[2:5], s[6:7] offset:32
	global_store_dwordx4 v28, v[2:5], s[6:7] offset:48
	s_and_saveexec_b64 s[6:7], s[0:1]
	s_cbranch_execz .LBB4_1460
; %bb.1453:
	v_mov_b32_e32 v6, 0
	global_load_dwordx2 v[14:15], v6, s[2:3] offset:32 sc0 sc1
	global_load_dwordx2 v[2:3], v6, s[2:3] offset:40
	v_mov_b32_e32 v12, s4
	v_mov_b32_e32 v13, s5
	s_waitcnt vmcnt(0)
	v_readfirstlane_b32 s10, v2
	v_readfirstlane_b32 s11, v3
	s_and_b64 s[10:11], s[10:11], s[4:5]
	s_mul_i32 s11, s11, 24
	s_mul_hi_u32 s15, s10, 24
	s_mul_i32 s10, s10, 24
	s_add_i32 s11, s15, s11
	v_lshl_add_u64 v[4:5], v[0:1], 0, s[10:11]
	global_store_dwordx2 v[4:5], v[14:15], off
	buffer_wbl2 sc0 sc1
	s_waitcnt vmcnt(0)
	global_atomic_cmpswap_x2 v[2:3], v6, v[12:15], s[2:3] offset:32 sc0 sc1
	s_waitcnt vmcnt(0)
	v_cmp_ne_u64_e32 vcc, v[2:3], v[14:15]
	s_and_saveexec_b64 s[10:11], vcc
	s_cbranch_execz .LBB4_1456
; %bb.1454:
	s_mov_b64 s[16:17], 0
.LBB4_1455:                             ; =>This Inner Loop Header: Depth=1
	s_sleep 1
	global_store_dwordx2 v[4:5], v[2:3], off
	v_mov_b32_e32 v0, s4
	v_mov_b32_e32 v1, s5
	buffer_wbl2 sc0 sc1
	s_waitcnt vmcnt(0)
	global_atomic_cmpswap_x2 v[0:1], v6, v[0:3], s[2:3] offset:32 sc0 sc1
	s_waitcnt vmcnt(0)
	v_cmp_eq_u64_e32 vcc, v[0:1], v[2:3]
	s_or_b64 s[16:17], vcc, s[16:17]
	v_mov_b64_e32 v[2:3], v[0:1]
	s_andn2_b64 exec, exec, s[16:17]
	s_cbranch_execnz .LBB4_1455
.LBB4_1456:
	s_or_b64 exec, exec, s[10:11]
	v_mov_b32_e32 v3, 0
	global_load_dwordx2 v[0:1], v3, s[2:3] offset:16
	s_mov_b64 s[10:11], exec
	v_mbcnt_lo_u32_b32 v2, s10, 0
	v_mbcnt_hi_u32_b32 v2, s11, v2
	v_cmp_eq_u32_e32 vcc, 0, v2
	s_and_saveexec_b64 s[16:17], vcc
	s_cbranch_execz .LBB4_1458
; %bb.1457:
	s_bcnt1_i32_b64 s10, s[10:11]
	v_mov_b32_e32 v2, s10
	buffer_wbl2 sc0 sc1
	s_waitcnt vmcnt(0)
	global_atomic_add_x2 v[0:1], v[2:3], off offset:8 sc1
.LBB4_1458:
	s_or_b64 exec, exec, s[16:17]
	s_waitcnt vmcnt(0)
	global_load_dwordx2 v[2:3], v[0:1], off offset:16
	s_waitcnt vmcnt(0)
	v_cmp_eq_u64_e32 vcc, 0, v[2:3]
	s_cbranch_vccnz .LBB4_1460
; %bb.1459:
	global_load_dword v0, v[0:1], off offset:24
	v_mov_b32_e32 v1, 0
	buffer_wbl2 sc0 sc1
	s_waitcnt vmcnt(0)
	global_store_dwordx2 v[2:3], v[0:1], off sc0 sc1
	v_and_b32_e32 v0, 0xffffff, v0
	s_nop 0
	v_readfirstlane_b32 m0, v0
	s_sendmsg sendmsg(MSG_INTERRUPT)
.LBB4_1460:
	s_or_b64 exec, exec, s[6:7]
	v_lshl_add_u64 v[0:1], v[10:11], 0, v[28:29]
	s_branch .LBB4_1464
.LBB4_1461:                             ;   in Loop: Header=BB4_1464 Depth=1
	s_or_b64 exec, exec, s[6:7]
	v_readfirstlane_b32 s6, v2
	s_cmp_eq_u32 s6, 0
	s_cbranch_scc1 .LBB4_1463
; %bb.1462:                             ;   in Loop: Header=BB4_1464 Depth=1
	s_sleep 1
	s_cbranch_execnz .LBB4_1464
	s_branch .LBB4_1466
.LBB4_1463:
	s_branch .LBB4_1466
.LBB4_1464:                             ; =>This Inner Loop Header: Depth=1
	v_mov_b32_e32 v2, 1
	s_and_saveexec_b64 s[6:7], s[0:1]
	s_cbranch_execz .LBB4_1461
; %bb.1465:                             ;   in Loop: Header=BB4_1464 Depth=1
	global_load_dword v2, v[8:9], off offset:20 sc0 sc1
	s_waitcnt vmcnt(0)
	buffer_inv sc0 sc1
	v_and_b32_e32 v2, 1, v2
	s_branch .LBB4_1461
.LBB4_1466:
	global_load_dwordx2 v[0:1], v[0:1], off
	s_and_saveexec_b64 s[6:7], s[0:1]
	s_cbranch_execz .LBB4_1469
; %bb.1467:
	v_mov_b32_e32 v8, 0
	global_load_dwordx2 v[6:7], v8, s[2:3] offset:40
	global_load_dwordx2 v[10:11], v8, s[2:3] offset:24 sc0 sc1
	global_load_dwordx2 v[12:13], v8, s[2:3]
	s_mov_b64 s[0:1], 0
	s_waitcnt vmcnt(2)
	v_lshl_add_u64 v[2:3], v[6:7], 0, 1
	v_lshl_add_u64 v[14:15], v[2:3], 0, s[4:5]
	v_cmp_eq_u64_e32 vcc, 0, v[14:15]
	s_waitcnt vmcnt(1)
	v_mov_b32_e32 v4, v10
	v_cndmask_b32_e32 v3, v15, v3, vcc
	v_cndmask_b32_e32 v2, v14, v2, vcc
	v_and_b32_e32 v5, v3, v7
	v_and_b32_e32 v6, v2, v6
	v_mul_lo_u32 v5, v5, 24
	v_mul_hi_u32 v7, v6, 24
	v_mul_lo_u32 v6, v6, 24
	v_add_u32_e32 v7, v7, v5
	s_waitcnt vmcnt(0)
	v_lshl_add_u64 v[6:7], v[12:13], 0, v[6:7]
	global_store_dwordx2 v[6:7], v[10:11], off
	v_mov_b32_e32 v5, v11
	buffer_wbl2 sc0 sc1
	s_waitcnt vmcnt(0)
	global_atomic_cmpswap_x2 v[4:5], v8, v[2:5], s[2:3] offset:24 sc0 sc1
	s_waitcnt vmcnt(0)
	v_cmp_ne_u64_e32 vcc, v[4:5], v[10:11]
	s_and_b64 exec, exec, vcc
	s_cbranch_execz .LBB4_1469
.LBB4_1468:                             ; =>This Inner Loop Header: Depth=1
	s_sleep 1
	global_store_dwordx2 v[6:7], v[4:5], off
	buffer_wbl2 sc0 sc1
	s_waitcnt vmcnt(0)
	global_atomic_cmpswap_x2 v[10:11], v8, v[2:5], s[2:3] offset:24 sc0 sc1
	s_waitcnt vmcnt(0)
	v_cmp_eq_u64_e32 vcc, v[10:11], v[4:5]
	s_or_b64 s[0:1], vcc, s[0:1]
	v_mov_b64_e32 v[4:5], v[10:11]
	s_andn2_b64 exec, exec, s[0:1]
	s_cbranch_execnz .LBB4_1468
.LBB4_1469:
	s_or_b64 exec, exec, s[6:7]
.LBB4_1470:
	s_getpc_b64 s[4:5]
	s_add_u32 s4, s4, .str.2@rel32@lo+4
	s_addc_u32 s5, s5, .str.2@rel32@hi+12
	s_cmp_lg_u64 s[4:5], 0
	s_cbranch_scc0 .LBB4_1555
; %bb.1471:
	s_waitcnt vmcnt(0)
	v_and_b32_e32 v6, -3, v0
	v_mov_b32_e32 v7, v1
	s_mov_b64 s[6:7], 13
	v_mov_b32_e32 v27, 0
	v_mov_b32_e32 v4, 2
	;; [unrolled: 1-line block ×3, first 2 shown]
	s_branch .LBB4_1473
.LBB4_1472:                             ;   in Loop: Header=BB4_1473 Depth=1
	s_or_b64 exec, exec, s[18:19]
	s_sub_u32 s6, s6, s10
	s_subb_u32 s7, s7, s11
	s_add_u32 s4, s4, s10
	s_addc_u32 s5, s5, s11
	s_cmp_lg_u64 s[6:7], 0
	s_cbranch_scc0 .LBB4_1554
.LBB4_1473:                             ; =>This Loop Header: Depth=1
                                        ;     Child Loop BB4_1476 Depth 2
                                        ;     Child Loop BB4_1483 Depth 2
	;; [unrolled: 1-line block ×11, first 2 shown]
	v_cmp_lt_u64_e64 s[0:1], s[6:7], 56
	s_and_b64 s[0:1], s[0:1], exec
	v_cmp_gt_u64_e64 s[0:1], s[6:7], 7
	s_cselect_b32 s11, s7, 0
	s_cselect_b32 s10, s6, 56
	s_and_b64 vcc, exec, s[0:1]
	s_cbranch_vccnz .LBB4_1478
; %bb.1474:                             ;   in Loop: Header=BB4_1473 Depth=1
	s_mov_b64 s[0:1], 0
	s_cmp_eq_u64 s[6:7], 0
	s_waitcnt vmcnt(0)
	v_mov_b64_e32 v[8:9], 0
	s_cbranch_scc1 .LBB4_1477
; %bb.1475:                             ;   in Loop: Header=BB4_1473 Depth=1
	s_lshl_b64 s[16:17], s[10:11], 3
	s_mov_b64 s[18:19], 0
	v_mov_b64_e32 v[8:9], 0
	s_mov_b64 s[20:21], s[4:5]
.LBB4_1476:                             ;   Parent Loop BB4_1473 Depth=1
                                        ; =>  This Inner Loop Header: Depth=2
	global_load_ubyte v2, v27, s[20:21]
	s_waitcnt vmcnt(0)
	v_and_b32_e32 v26, 0xffff, v2
	v_lshlrev_b64 v[2:3], s18, v[26:27]
	s_add_u32 s18, s18, 8
	s_addc_u32 s19, s19, 0
	s_add_u32 s20, s20, 1
	s_addc_u32 s21, s21, 0
	v_or_b32_e32 v8, v2, v8
	s_cmp_lg_u32 s16, s18
	v_or_b32_e32 v9, v3, v9
	s_cbranch_scc1 .LBB4_1476
.LBB4_1477:                             ;   in Loop: Header=BB4_1473 Depth=1
	s_mov_b32 s15, 0
	s_andn2_b64 vcc, exec, s[0:1]
	s_mov_b64 s[0:1], s[4:5]
	s_cbranch_vccz .LBB4_1479
	s_branch .LBB4_1480
.LBB4_1478:                             ;   in Loop: Header=BB4_1473 Depth=1
                                        ; implicit-def: $sgpr15
	s_mov_b64 s[0:1], s[4:5]
.LBB4_1479:                             ;   in Loop: Header=BB4_1473 Depth=1
	global_load_dwordx2 v[8:9], v27, s[4:5]
	s_add_i32 s15, s10, -8
	s_add_u32 s0, s4, 8
	s_addc_u32 s1, s5, 0
.LBB4_1480:                             ;   in Loop: Header=BB4_1473 Depth=1
	s_cmp_gt_u32 s15, 7
	s_cbranch_scc1 .LBB4_1484
; %bb.1481:                             ;   in Loop: Header=BB4_1473 Depth=1
	s_cmp_eq_u32 s15, 0
	s_cbranch_scc1 .LBB4_1485
; %bb.1482:                             ;   in Loop: Header=BB4_1473 Depth=1
	s_mov_b64 s[16:17], 0
	v_mov_b64_e32 v[10:11], 0
	s_mov_b64 s[18:19], 0
.LBB4_1483:                             ;   Parent Loop BB4_1473 Depth=1
                                        ; =>  This Inner Loop Header: Depth=2
	s_add_u32 s20, s0, s18
	s_addc_u32 s21, s1, s19
	global_load_ubyte v2, v27, s[20:21]
	s_add_u32 s18, s18, 1
	s_addc_u32 s19, s19, 0
	s_waitcnt vmcnt(0)
	v_and_b32_e32 v26, 0xffff, v2
	v_lshlrev_b64 v[2:3], s16, v[26:27]
	s_add_u32 s16, s16, 8
	s_addc_u32 s17, s17, 0
	v_or_b32_e32 v10, v2, v10
	s_cmp_lg_u32 s15, s18
	v_or_b32_e32 v11, v3, v11
	s_cbranch_scc1 .LBB4_1483
	s_branch .LBB4_1486
.LBB4_1484:                             ;   in Loop: Header=BB4_1473 Depth=1
                                        ; implicit-def: $vgpr10_vgpr11
                                        ; implicit-def: $sgpr20
	s_branch .LBB4_1487
.LBB4_1485:                             ;   in Loop: Header=BB4_1473 Depth=1
	v_mov_b64_e32 v[10:11], 0
.LBB4_1486:                             ;   in Loop: Header=BB4_1473 Depth=1
	s_mov_b32 s20, 0
	s_cbranch_execnz .LBB4_1488
.LBB4_1487:                             ;   in Loop: Header=BB4_1473 Depth=1
	global_load_dwordx2 v[10:11], v27, s[0:1]
	s_add_i32 s20, s15, -8
	s_add_u32 s0, s0, 8
	s_addc_u32 s1, s1, 0
.LBB4_1488:                             ;   in Loop: Header=BB4_1473 Depth=1
	s_cmp_gt_u32 s20, 7
	s_cbranch_scc1 .LBB4_1492
; %bb.1489:                             ;   in Loop: Header=BB4_1473 Depth=1
	s_cmp_eq_u32 s20, 0
	s_cbranch_scc1 .LBB4_1493
; %bb.1490:                             ;   in Loop: Header=BB4_1473 Depth=1
	s_mov_b64 s[16:17], 0
	v_mov_b64_e32 v[12:13], 0
	s_mov_b64 s[18:19], 0
.LBB4_1491:                             ;   Parent Loop BB4_1473 Depth=1
                                        ; =>  This Inner Loop Header: Depth=2
	s_add_u32 s22, s0, s18
	s_addc_u32 s23, s1, s19
	global_load_ubyte v2, v27, s[22:23]
	s_add_u32 s18, s18, 1
	s_addc_u32 s19, s19, 0
	s_waitcnt vmcnt(0)
	v_and_b32_e32 v26, 0xffff, v2
	v_lshlrev_b64 v[2:3], s16, v[26:27]
	s_add_u32 s16, s16, 8
	s_addc_u32 s17, s17, 0
	v_or_b32_e32 v12, v2, v12
	s_cmp_lg_u32 s20, s18
	v_or_b32_e32 v13, v3, v13
	s_cbranch_scc1 .LBB4_1491
	s_branch .LBB4_1494
.LBB4_1492:                             ;   in Loop: Header=BB4_1473 Depth=1
                                        ; implicit-def: $sgpr15
	s_branch .LBB4_1495
.LBB4_1493:                             ;   in Loop: Header=BB4_1473 Depth=1
	v_mov_b64_e32 v[12:13], 0
.LBB4_1494:                             ;   in Loop: Header=BB4_1473 Depth=1
	s_mov_b32 s15, 0
	s_cbranch_execnz .LBB4_1496
.LBB4_1495:                             ;   in Loop: Header=BB4_1473 Depth=1
	global_load_dwordx2 v[12:13], v27, s[0:1]
	s_add_i32 s15, s20, -8
	s_add_u32 s0, s0, 8
	s_addc_u32 s1, s1, 0
.LBB4_1496:                             ;   in Loop: Header=BB4_1473 Depth=1
	s_cmp_gt_u32 s15, 7
	s_cbranch_scc1 .LBB4_1500
; %bb.1497:                             ;   in Loop: Header=BB4_1473 Depth=1
	s_cmp_eq_u32 s15, 0
	s_cbranch_scc1 .LBB4_1501
; %bb.1498:                             ;   in Loop: Header=BB4_1473 Depth=1
	s_mov_b64 s[16:17], 0
	v_mov_b64_e32 v[14:15], 0
	s_mov_b64 s[18:19], 0
.LBB4_1499:                             ;   Parent Loop BB4_1473 Depth=1
                                        ; =>  This Inner Loop Header: Depth=2
	s_add_u32 s20, s0, s18
	s_addc_u32 s21, s1, s19
	global_load_ubyte v2, v27, s[20:21]
	s_add_u32 s18, s18, 1
	s_addc_u32 s19, s19, 0
	s_waitcnt vmcnt(0)
	v_and_b32_e32 v26, 0xffff, v2
	v_lshlrev_b64 v[2:3], s16, v[26:27]
	s_add_u32 s16, s16, 8
	s_addc_u32 s17, s17, 0
	v_or_b32_e32 v14, v2, v14
	s_cmp_lg_u32 s15, s18
	v_or_b32_e32 v15, v3, v15
	s_cbranch_scc1 .LBB4_1499
	s_branch .LBB4_1502
.LBB4_1500:                             ;   in Loop: Header=BB4_1473 Depth=1
                                        ; implicit-def: $vgpr14_vgpr15
                                        ; implicit-def: $sgpr20
	s_branch .LBB4_1503
.LBB4_1501:                             ;   in Loop: Header=BB4_1473 Depth=1
	v_mov_b64_e32 v[14:15], 0
.LBB4_1502:                             ;   in Loop: Header=BB4_1473 Depth=1
	s_mov_b32 s20, 0
	s_cbranch_execnz .LBB4_1504
.LBB4_1503:                             ;   in Loop: Header=BB4_1473 Depth=1
	global_load_dwordx2 v[14:15], v27, s[0:1]
	s_add_i32 s20, s15, -8
	s_add_u32 s0, s0, 8
	s_addc_u32 s1, s1, 0
.LBB4_1504:                             ;   in Loop: Header=BB4_1473 Depth=1
	s_cmp_gt_u32 s20, 7
	s_cbranch_scc1 .LBB4_1508
; %bb.1505:                             ;   in Loop: Header=BB4_1473 Depth=1
	s_cmp_eq_u32 s20, 0
	s_cbranch_scc1 .LBB4_1509
; %bb.1506:                             ;   in Loop: Header=BB4_1473 Depth=1
	s_mov_b64 s[16:17], 0
	v_mov_b64_e32 v[16:17], 0
	s_mov_b64 s[18:19], 0
.LBB4_1507:                             ;   Parent Loop BB4_1473 Depth=1
                                        ; =>  This Inner Loop Header: Depth=2
	s_add_u32 s22, s0, s18
	s_addc_u32 s23, s1, s19
	global_load_ubyte v2, v27, s[22:23]
	s_add_u32 s18, s18, 1
	s_addc_u32 s19, s19, 0
	s_waitcnt vmcnt(0)
	v_and_b32_e32 v26, 0xffff, v2
	v_lshlrev_b64 v[2:3], s16, v[26:27]
	s_add_u32 s16, s16, 8
	s_addc_u32 s17, s17, 0
	v_or_b32_e32 v16, v2, v16
	s_cmp_lg_u32 s20, s18
	v_or_b32_e32 v17, v3, v17
	s_cbranch_scc1 .LBB4_1507
	s_branch .LBB4_1510
.LBB4_1508:                             ;   in Loop: Header=BB4_1473 Depth=1
                                        ; implicit-def: $sgpr15
	s_branch .LBB4_1511
.LBB4_1509:                             ;   in Loop: Header=BB4_1473 Depth=1
	v_mov_b64_e32 v[16:17], 0
.LBB4_1510:                             ;   in Loop: Header=BB4_1473 Depth=1
	s_mov_b32 s15, 0
	s_cbranch_execnz .LBB4_1512
.LBB4_1511:                             ;   in Loop: Header=BB4_1473 Depth=1
	global_load_dwordx2 v[16:17], v27, s[0:1]
	s_add_i32 s15, s20, -8
	s_add_u32 s0, s0, 8
	s_addc_u32 s1, s1, 0
.LBB4_1512:                             ;   in Loop: Header=BB4_1473 Depth=1
	s_cmp_gt_u32 s15, 7
	s_cbranch_scc1 .LBB4_1516
; %bb.1513:                             ;   in Loop: Header=BB4_1473 Depth=1
	s_cmp_eq_u32 s15, 0
	s_cbranch_scc1 .LBB4_1517
; %bb.1514:                             ;   in Loop: Header=BB4_1473 Depth=1
	s_mov_b64 s[16:17], 0
	v_mov_b64_e32 v[18:19], 0
	s_mov_b64 s[18:19], 0
.LBB4_1515:                             ;   Parent Loop BB4_1473 Depth=1
                                        ; =>  This Inner Loop Header: Depth=2
	s_add_u32 s20, s0, s18
	s_addc_u32 s21, s1, s19
	global_load_ubyte v2, v27, s[20:21]
	s_add_u32 s18, s18, 1
	s_addc_u32 s19, s19, 0
	s_waitcnt vmcnt(0)
	v_and_b32_e32 v26, 0xffff, v2
	v_lshlrev_b64 v[2:3], s16, v[26:27]
	s_add_u32 s16, s16, 8
	s_addc_u32 s17, s17, 0
	v_or_b32_e32 v18, v2, v18
	s_cmp_lg_u32 s15, s18
	v_or_b32_e32 v19, v3, v19
	s_cbranch_scc1 .LBB4_1515
	s_branch .LBB4_1518
.LBB4_1516:                             ;   in Loop: Header=BB4_1473 Depth=1
                                        ; implicit-def: $vgpr18_vgpr19
                                        ; implicit-def: $sgpr20
	s_branch .LBB4_1519
.LBB4_1517:                             ;   in Loop: Header=BB4_1473 Depth=1
	v_mov_b64_e32 v[18:19], 0
.LBB4_1518:                             ;   in Loop: Header=BB4_1473 Depth=1
	s_mov_b32 s20, 0
	s_cbranch_execnz .LBB4_1520
.LBB4_1519:                             ;   in Loop: Header=BB4_1473 Depth=1
	global_load_dwordx2 v[18:19], v27, s[0:1]
	s_add_i32 s20, s15, -8
	s_add_u32 s0, s0, 8
	s_addc_u32 s1, s1, 0
.LBB4_1520:                             ;   in Loop: Header=BB4_1473 Depth=1
	s_cmp_gt_u32 s20, 7
	s_cbranch_scc1 .LBB4_1524
; %bb.1521:                             ;   in Loop: Header=BB4_1473 Depth=1
	s_cmp_eq_u32 s20, 0
	s_cbranch_scc1 .LBB4_1525
; %bb.1522:                             ;   in Loop: Header=BB4_1473 Depth=1
	s_mov_b64 s[16:17], 0
	v_mov_b64_e32 v[20:21], 0
	s_mov_b64 s[18:19], s[0:1]
.LBB4_1523:                             ;   Parent Loop BB4_1473 Depth=1
                                        ; =>  This Inner Loop Header: Depth=2
	global_load_ubyte v2, v27, s[18:19]
	s_add_i32 s20, s20, -1
	s_waitcnt vmcnt(0)
	v_and_b32_e32 v26, 0xffff, v2
	v_lshlrev_b64 v[2:3], s16, v[26:27]
	s_add_u32 s16, s16, 8
	s_addc_u32 s17, s17, 0
	s_add_u32 s18, s18, 1
	s_addc_u32 s19, s19, 0
	v_or_b32_e32 v20, v2, v20
	s_cmp_lg_u32 s20, 0
	v_or_b32_e32 v21, v3, v21
	s_cbranch_scc1 .LBB4_1523
	s_branch .LBB4_1526
.LBB4_1524:                             ;   in Loop: Header=BB4_1473 Depth=1
	s_branch .LBB4_1527
.LBB4_1525:                             ;   in Loop: Header=BB4_1473 Depth=1
	v_mov_b64_e32 v[20:21], 0
.LBB4_1526:                             ;   in Loop: Header=BB4_1473 Depth=1
	s_cbranch_execnz .LBB4_1528
.LBB4_1527:                             ;   in Loop: Header=BB4_1473 Depth=1
	global_load_dwordx2 v[20:21], v27, s[0:1]
.LBB4_1528:                             ;   in Loop: Header=BB4_1473 Depth=1
	v_readfirstlane_b32 s0, v36
	v_mov_b64_e32 v[2:3], 0
	s_nop 0
	v_cmp_eq_u32_e64 s[0:1], s0, v36
	s_and_saveexec_b64 s[16:17], s[0:1]
	s_cbranch_execz .LBB4_1534
; %bb.1529:                             ;   in Loop: Header=BB4_1473 Depth=1
	global_load_dwordx2 v[24:25], v27, s[2:3] offset:24 sc0 sc1
	s_waitcnt vmcnt(0)
	buffer_inv sc0 sc1
	global_load_dwordx2 v[2:3], v27, s[2:3] offset:40
	global_load_dwordx2 v[22:23], v27, s[2:3]
	s_waitcnt vmcnt(1)
	v_and_b32_e32 v2, v2, v24
	v_and_b32_e32 v3, v3, v25
	v_mul_lo_u32 v3, v3, 24
	v_mul_hi_u32 v26, v2, 24
	v_add_u32_e32 v3, v26, v3
	v_mul_lo_u32 v2, v2, 24
	s_waitcnt vmcnt(0)
	v_lshl_add_u64 v[2:3], v[22:23], 0, v[2:3]
	global_load_dwordx2 v[22:23], v[2:3], off sc0 sc1
	s_waitcnt vmcnt(0)
	global_atomic_cmpswap_x2 v[2:3], v27, v[22:25], s[2:3] offset:24 sc0 sc1
	s_waitcnt vmcnt(0)
	buffer_inv sc0 sc1
	v_cmp_ne_u64_e32 vcc, v[2:3], v[24:25]
	s_and_saveexec_b64 s[18:19], vcc
	s_cbranch_execz .LBB4_1533
; %bb.1530:                             ;   in Loop: Header=BB4_1473 Depth=1
	s_mov_b64 s[20:21], 0
.LBB4_1531:                             ;   Parent Loop BB4_1473 Depth=1
                                        ; =>  This Inner Loop Header: Depth=2
	s_sleep 1
	global_load_dwordx2 v[22:23], v27, s[2:3] offset:40
	global_load_dwordx2 v[30:31], v27, s[2:3]
	v_mov_b64_e32 v[24:25], v[2:3]
	s_waitcnt vmcnt(1)
	v_and_b32_e32 v2, v22, v24
	s_waitcnt vmcnt(0)
	v_mad_u64_u32 v[2:3], s[22:23], v2, 24, v[30:31]
	v_and_b32_e32 v23, v23, v25
	v_mov_b32_e32 v22, v3
	v_mad_u64_u32 v[22:23], s[22:23], v23, 24, v[22:23]
	v_mov_b32_e32 v3, v22
	global_load_dwordx2 v[22:23], v[2:3], off sc0 sc1
	s_waitcnt vmcnt(0)
	global_atomic_cmpswap_x2 v[2:3], v27, v[22:25], s[2:3] offset:24 sc0 sc1
	s_waitcnt vmcnt(0)
	buffer_inv sc0 sc1
	v_cmp_eq_u64_e32 vcc, v[2:3], v[24:25]
	s_or_b64 s[20:21], vcc, s[20:21]
	s_andn2_b64 exec, exec, s[20:21]
	s_cbranch_execnz .LBB4_1531
; %bb.1532:                             ;   in Loop: Header=BB4_1473 Depth=1
	s_or_b64 exec, exec, s[20:21]
.LBB4_1533:                             ;   in Loop: Header=BB4_1473 Depth=1
	s_or_b64 exec, exec, s[18:19]
.LBB4_1534:                             ;   in Loop: Header=BB4_1473 Depth=1
	s_or_b64 exec, exec, s[16:17]
	global_load_dwordx2 v[30:31], v27, s[2:3] offset:40
	global_load_dwordx4 v[22:25], v27, s[2:3]
	v_readfirstlane_b32 s16, v2
	v_readfirstlane_b32 s17, v3
	s_mov_b64 s[18:19], exec
	s_waitcnt vmcnt(1)
	v_readfirstlane_b32 s20, v30
	v_readfirstlane_b32 s21, v31
	s_and_b64 s[20:21], s[16:17], s[20:21]
	s_mul_i32 s15, s21, 24
	s_mul_hi_u32 s22, s20, 24
	s_add_i32 s23, s22, s15
	s_mul_i32 s22, s20, 24
	s_waitcnt vmcnt(0)
	v_lshl_add_u64 v[30:31], v[22:23], 0, s[22:23]
	s_and_saveexec_b64 s[22:23], s[0:1]
	s_cbranch_execz .LBB4_1536
; %bb.1535:                             ;   in Loop: Header=BB4_1473 Depth=1
	v_mov_b64_e32 v[2:3], s[18:19]
	global_store_dwordx4 v[30:31], v[2:5], off offset:8
.LBB4_1536:                             ;   in Loop: Header=BB4_1473 Depth=1
	s_or_b64 exec, exec, s[22:23]
	s_lshl_b64 s[18:19], s[20:21], 12
	v_lshl_add_u64 v[2:3], v[24:25], 0, s[18:19]
	v_or_b32_e32 v24, 2, v6
	v_cmp_gt_u64_e64 vcc, s[6:7], 56
	s_lshl_b32 s15, s10, 2
	s_add_i32 s15, s15, 28
	v_cndmask_b32_e32 v6, v24, v6, vcc
	s_and_b32 s15, s15, 0x1e0
	v_and_b32_e32 v6, 0xffffff1f, v6
	v_or_b32_e32 v6, s15, v6
	v_readfirstlane_b32 s18, v2
	v_readfirstlane_b32 s19, v3
	s_nop 4
	global_store_dwordx4 v28, v[6:9], s[18:19]
	global_store_dwordx4 v28, v[10:13], s[18:19] offset:16
	global_store_dwordx4 v28, v[14:17], s[18:19] offset:32
	;; [unrolled: 1-line block ×3, first 2 shown]
	s_and_saveexec_b64 s[18:19], s[0:1]
	s_cbranch_execz .LBB4_1544
; %bb.1537:                             ;   in Loop: Header=BB4_1473 Depth=1
	global_load_dwordx2 v[14:15], v27, s[2:3] offset:32 sc0 sc1
	global_load_dwordx2 v[6:7], v27, s[2:3] offset:40
	v_mov_b32_e32 v12, s16
	v_mov_b32_e32 v13, s17
	s_waitcnt vmcnt(0)
	v_readfirstlane_b32 s20, v6
	v_readfirstlane_b32 s21, v7
	s_and_b64 s[20:21], s[20:21], s[16:17]
	s_mul_i32 s15, s21, 24
	s_mul_hi_u32 s21, s20, 24
	s_mul_i32 s20, s20, 24
	s_add_i32 s21, s21, s15
	v_lshl_add_u64 v[10:11], v[22:23], 0, s[20:21]
	global_store_dwordx2 v[10:11], v[14:15], off
	buffer_wbl2 sc0 sc1
	s_waitcnt vmcnt(0)
	global_atomic_cmpswap_x2 v[8:9], v27, v[12:15], s[2:3] offset:32 sc0 sc1
	s_waitcnt vmcnt(0)
	v_cmp_ne_u64_e32 vcc, v[8:9], v[14:15]
	s_and_saveexec_b64 s[20:21], vcc
	s_cbranch_execz .LBB4_1540
; %bb.1538:                             ;   in Loop: Header=BB4_1473 Depth=1
	s_mov_b64 s[22:23], 0
.LBB4_1539:                             ;   Parent Loop BB4_1473 Depth=1
                                        ; =>  This Inner Loop Header: Depth=2
	s_sleep 1
	global_store_dwordx2 v[10:11], v[8:9], off
	v_mov_b32_e32 v6, s16
	v_mov_b32_e32 v7, s17
	buffer_wbl2 sc0 sc1
	s_waitcnt vmcnt(0)
	global_atomic_cmpswap_x2 v[6:7], v27, v[6:9], s[2:3] offset:32 sc0 sc1
	s_waitcnt vmcnt(0)
	v_cmp_eq_u64_e32 vcc, v[6:7], v[8:9]
	s_or_b64 s[22:23], vcc, s[22:23]
	v_mov_b64_e32 v[8:9], v[6:7]
	s_andn2_b64 exec, exec, s[22:23]
	s_cbranch_execnz .LBB4_1539
.LBB4_1540:                             ;   in Loop: Header=BB4_1473 Depth=1
	s_or_b64 exec, exec, s[20:21]
	global_load_dwordx2 v[6:7], v27, s[2:3] offset:16
	s_mov_b64 s[22:23], exec
	v_mbcnt_lo_u32_b32 v8, s22, 0
	v_mbcnt_hi_u32_b32 v8, s23, v8
	v_cmp_eq_u32_e32 vcc, 0, v8
	s_and_saveexec_b64 s[20:21], vcc
	s_cbranch_execz .LBB4_1542
; %bb.1541:                             ;   in Loop: Header=BB4_1473 Depth=1
	s_bcnt1_i32_b64 s15, s[22:23]
	v_mov_b32_e32 v26, s15
	buffer_wbl2 sc0 sc1
	s_waitcnt vmcnt(0)
	global_atomic_add_x2 v[6:7], v[26:27], off offset:8 sc1
.LBB4_1542:                             ;   in Loop: Header=BB4_1473 Depth=1
	s_or_b64 exec, exec, s[20:21]
	s_waitcnt vmcnt(0)
	global_load_dwordx2 v[8:9], v[6:7], off offset:16
	s_waitcnt vmcnt(0)
	v_cmp_eq_u64_e32 vcc, 0, v[8:9]
	s_cbranch_vccnz .LBB4_1544
; %bb.1543:                             ;   in Loop: Header=BB4_1473 Depth=1
	global_load_dword v26, v[6:7], off offset:24
	s_waitcnt vmcnt(0)
	v_and_b32_e32 v6, 0xffffff, v26
	s_nop 0
	v_readfirstlane_b32 m0, v6
	buffer_wbl2 sc0 sc1
	global_store_dwordx2 v[8:9], v[26:27], off sc0 sc1
	s_sendmsg sendmsg(MSG_INTERRUPT)
.LBB4_1544:                             ;   in Loop: Header=BB4_1473 Depth=1
	s_or_b64 exec, exec, s[18:19]
	v_mov_b32_e32 v29, v27
	v_lshl_add_u64 v[2:3], v[2:3], 0, v[28:29]
	s_branch .LBB4_1548
.LBB4_1545:                             ;   in Loop: Header=BB4_1548 Depth=2
	s_or_b64 exec, exec, s[18:19]
	v_readfirstlane_b32 s15, v6
	s_cmp_eq_u32 s15, 0
	s_cbranch_scc1 .LBB4_1547
; %bb.1546:                             ;   in Loop: Header=BB4_1548 Depth=2
	s_sleep 1
	s_cbranch_execnz .LBB4_1548
	s_branch .LBB4_1550
.LBB4_1547:                             ;   in Loop: Header=BB4_1473 Depth=1
	s_branch .LBB4_1550
.LBB4_1548:                             ;   Parent Loop BB4_1473 Depth=1
                                        ; =>  This Inner Loop Header: Depth=2
	v_mov_b32_e32 v6, 1
	s_and_saveexec_b64 s[18:19], s[0:1]
	s_cbranch_execz .LBB4_1545
; %bb.1549:                             ;   in Loop: Header=BB4_1548 Depth=2
	global_load_dword v6, v[30:31], off offset:20 sc0 sc1
	s_waitcnt vmcnt(0)
	buffer_inv sc0 sc1
	v_and_b32_e32 v6, 1, v6
	s_branch .LBB4_1545
.LBB4_1550:                             ;   in Loop: Header=BB4_1473 Depth=1
	global_load_dwordx4 v[6:9], v[2:3], off
	s_and_saveexec_b64 s[18:19], s[0:1]
	s_cbranch_execz .LBB4_1472
; %bb.1551:                             ;   in Loop: Header=BB4_1473 Depth=1
	global_load_dwordx2 v[2:3], v27, s[2:3] offset:40
	global_load_dwordx2 v[12:13], v27, s[2:3] offset:24 sc0 sc1
	global_load_dwordx2 v[14:15], v27, s[2:3]
	s_waitcnt vmcnt(2)
	v_lshl_add_u64 v[8:9], v[2:3], 0, 1
	v_lshl_add_u64 v[16:17], v[8:9], 0, s[16:17]
	v_cmp_eq_u64_e32 vcc, 0, v[16:17]
	s_waitcnt vmcnt(1)
	v_mov_b32_e32 v10, v12
	v_cndmask_b32_e32 v9, v17, v9, vcc
	v_cndmask_b32_e32 v8, v16, v8, vcc
	v_and_b32_e32 v3, v9, v3
	v_and_b32_e32 v2, v8, v2
	v_mul_lo_u32 v3, v3, 24
	v_mul_hi_u32 v11, v2, 24
	v_mul_lo_u32 v2, v2, 24
	v_add_u32_e32 v3, v11, v3
	s_waitcnt vmcnt(0)
	v_lshl_add_u64 v[2:3], v[14:15], 0, v[2:3]
	global_store_dwordx2 v[2:3], v[12:13], off
	v_mov_b32_e32 v11, v13
	buffer_wbl2 sc0 sc1
	s_waitcnt vmcnt(0)
	global_atomic_cmpswap_x2 v[10:11], v27, v[8:11], s[2:3] offset:24 sc0 sc1
	s_waitcnt vmcnt(0)
	v_cmp_ne_u64_e32 vcc, v[10:11], v[12:13]
	s_and_b64 exec, exec, vcc
	s_cbranch_execz .LBB4_1472
; %bb.1552:                             ;   in Loop: Header=BB4_1473 Depth=1
	s_mov_b64 s[0:1], 0
.LBB4_1553:                             ;   Parent Loop BB4_1473 Depth=1
                                        ; =>  This Inner Loop Header: Depth=2
	s_sleep 1
	global_store_dwordx2 v[2:3], v[10:11], off
	buffer_wbl2 sc0 sc1
	s_waitcnt vmcnt(0)
	global_atomic_cmpswap_x2 v[12:13], v27, v[8:11], s[2:3] offset:24 sc0 sc1
	s_waitcnt vmcnt(0)
	v_cmp_eq_u64_e32 vcc, v[12:13], v[10:11]
	s_or_b64 s[0:1], vcc, s[0:1]
	v_mov_b64_e32 v[10:11], v[12:13]
	s_andn2_b64 exec, exec, s[0:1]
	s_cbranch_execnz .LBB4_1553
	s_branch .LBB4_1472
.LBB4_1554:
	s_mov_b64 s[0:1], 0
	s_branch .LBB4_1556
.LBB4_1555:
	s_mov_b64 s[0:1], -1
.LBB4_1556:
	s_mov_b32 s42, s12
	s_mov_b32 s43, s13
	s_mov_b32 s44, s14
	s_and_b64 vcc, exec, s[0:1]
	s_cbranch_vccz .LBB4_1583
; %bb.1557:
	v_readfirstlane_b32 s0, v36
	s_waitcnt vmcnt(0)
	v_mov_b64_e32 v[8:9], 0
	v_cmp_eq_u32_e64 s[0:1], s0, v36
	s_and_saveexec_b64 s[4:5], s[0:1]
	s_cbranch_execz .LBB4_1563
; %bb.1558:
	v_mov_b32_e32 v2, 0
	global_load_dwordx2 v[6:7], v2, s[2:3] offset:24 sc0 sc1
	s_waitcnt vmcnt(0)
	buffer_inv sc0 sc1
	global_load_dwordx2 v[4:5], v2, s[2:3] offset:40
	global_load_dwordx2 v[8:9], v2, s[2:3]
	s_waitcnt vmcnt(1)
	v_and_b32_e32 v3, v4, v6
	v_and_b32_e32 v4, v5, v7
	v_mul_lo_u32 v4, v4, 24
	v_mul_hi_u32 v5, v3, 24
	v_add_u32_e32 v5, v5, v4
	v_mul_lo_u32 v4, v3, 24
	s_waitcnt vmcnt(0)
	v_lshl_add_u64 v[4:5], v[8:9], 0, v[4:5]
	global_load_dwordx2 v[4:5], v[4:5], off sc0 sc1
	s_waitcnt vmcnt(0)
	global_atomic_cmpswap_x2 v[8:9], v2, v[4:7], s[2:3] offset:24 sc0 sc1
	s_waitcnt vmcnt(0)
	buffer_inv sc0 sc1
	v_cmp_ne_u64_e32 vcc, v[8:9], v[6:7]
	s_and_saveexec_b64 s[6:7], vcc
	s_cbranch_execz .LBB4_1562
; %bb.1559:
	s_mov_b64 s[10:11], 0
.LBB4_1560:                             ; =>This Inner Loop Header: Depth=1
	s_sleep 1
	global_load_dwordx2 v[4:5], v2, s[2:3] offset:40
	global_load_dwordx2 v[10:11], v2, s[2:3]
	v_mov_b64_e32 v[6:7], v[8:9]
	s_waitcnt vmcnt(1)
	v_and_b32_e32 v4, v4, v6
	v_and_b32_e32 v3, v5, v7
	s_waitcnt vmcnt(0)
	v_mad_u64_u32 v[4:5], s[12:13], v4, 24, v[10:11]
	v_mov_b32_e32 v8, v5
	v_mad_u64_u32 v[8:9], s[12:13], v3, 24, v[8:9]
	v_mov_b32_e32 v5, v8
	global_load_dwordx2 v[4:5], v[4:5], off sc0 sc1
	s_waitcnt vmcnt(0)
	global_atomic_cmpswap_x2 v[8:9], v2, v[4:7], s[2:3] offset:24 sc0 sc1
	s_waitcnt vmcnt(0)
	buffer_inv sc0 sc1
	v_cmp_eq_u64_e32 vcc, v[8:9], v[6:7]
	s_or_b64 s[10:11], vcc, s[10:11]
	s_andn2_b64 exec, exec, s[10:11]
	s_cbranch_execnz .LBB4_1560
; %bb.1561:
	s_or_b64 exec, exec, s[10:11]
.LBB4_1562:
	s_or_b64 exec, exec, s[6:7]
.LBB4_1563:
	s_or_b64 exec, exec, s[4:5]
	v_mov_b32_e32 v2, 0
	global_load_dwordx2 v[10:11], v2, s[2:3] offset:40
	global_load_dwordx4 v[4:7], v2, s[2:3]
	v_readfirstlane_b32 s4, v8
	v_readfirstlane_b32 s5, v9
	s_mov_b64 s[6:7], exec
	s_waitcnt vmcnt(1)
	v_readfirstlane_b32 s10, v10
	v_readfirstlane_b32 s11, v11
	s_and_b64 s[10:11], s[4:5], s[10:11]
	s_mul_i32 s12, s11, 24
	s_mul_hi_u32 s13, s10, 24
	s_add_i32 s13, s13, s12
	s_mul_i32 s12, s10, 24
	s_waitcnt vmcnt(0)
	v_lshl_add_u64 v[8:9], v[4:5], 0, s[12:13]
	s_and_saveexec_b64 s[12:13], s[0:1]
	s_cbranch_execz .LBB4_1565
; %bb.1564:
	v_mov_b64_e32 v[10:11], s[6:7]
	v_mov_b32_e32 v12, 2
	v_mov_b32_e32 v13, 1
	global_store_dwordx4 v[8:9], v[10:13], off offset:8
.LBB4_1565:
	s_or_b64 exec, exec, s[12:13]
	s_lshl_b64 s[6:7], s[10:11], 12
	v_lshl_add_u64 v[6:7], v[6:7], 0, s[6:7]
	s_movk_i32 s6, 0xff1d
	s_mov_b32 s12, 0
	v_and_or_b32 v0, v0, s6, 34
	v_mov_b32_e32 v3, v2
	v_readfirstlane_b32 s6, v6
	v_readfirstlane_b32 s7, v7
	s_mov_b32 s13, s12
	s_mov_b32 s14, s12
	;; [unrolled: 1-line block ×3, first 2 shown]
	s_nop 1
	global_store_dwordx4 v28, v[0:3], s[6:7]
	s_nop 1
	v_mov_b64_e32 v[0:1], s[12:13]
	v_mov_b64_e32 v[2:3], s[14:15]
	global_store_dwordx4 v28, v[0:3], s[6:7] offset:16
	global_store_dwordx4 v28, v[0:3], s[6:7] offset:32
	;; [unrolled: 1-line block ×3, first 2 shown]
	s_and_saveexec_b64 s[6:7], s[0:1]
	s_cbranch_execz .LBB4_1573
; %bb.1566:
	v_mov_b32_e32 v6, 0
	global_load_dwordx2 v[12:13], v6, s[2:3] offset:32 sc0 sc1
	global_load_dwordx2 v[0:1], v6, s[2:3] offset:40
	v_mov_b32_e32 v10, s4
	v_mov_b32_e32 v11, s5
	s_waitcnt vmcnt(0)
	v_readfirstlane_b32 s10, v0
	v_readfirstlane_b32 s11, v1
	s_and_b64 s[10:11], s[10:11], s[4:5]
	s_mul_i32 s11, s11, 24
	s_mul_hi_u32 s12, s10, 24
	s_mul_i32 s10, s10, 24
	s_add_i32 s11, s12, s11
	v_lshl_add_u64 v[4:5], v[4:5], 0, s[10:11]
	global_store_dwordx2 v[4:5], v[12:13], off
	buffer_wbl2 sc0 sc1
	s_waitcnt vmcnt(0)
	global_atomic_cmpswap_x2 v[2:3], v6, v[10:13], s[2:3] offset:32 sc0 sc1
	s_waitcnt vmcnt(0)
	v_cmp_ne_u64_e32 vcc, v[2:3], v[12:13]
	s_and_saveexec_b64 s[10:11], vcc
	s_cbranch_execz .LBB4_1569
; %bb.1567:
	s_mov_b64 s[12:13], 0
.LBB4_1568:                             ; =>This Inner Loop Header: Depth=1
	s_sleep 1
	global_store_dwordx2 v[4:5], v[2:3], off
	v_mov_b32_e32 v0, s4
	v_mov_b32_e32 v1, s5
	buffer_wbl2 sc0 sc1
	s_waitcnt vmcnt(0)
	global_atomic_cmpswap_x2 v[0:1], v6, v[0:3], s[2:3] offset:32 sc0 sc1
	s_waitcnt vmcnt(0)
	v_cmp_eq_u64_e32 vcc, v[0:1], v[2:3]
	s_or_b64 s[12:13], vcc, s[12:13]
	v_mov_b64_e32 v[2:3], v[0:1]
	s_andn2_b64 exec, exec, s[12:13]
	s_cbranch_execnz .LBB4_1568
.LBB4_1569:
	s_or_b64 exec, exec, s[10:11]
	v_mov_b32_e32 v3, 0
	global_load_dwordx2 v[0:1], v3, s[2:3] offset:16
	s_mov_b64 s[10:11], exec
	v_mbcnt_lo_u32_b32 v2, s10, 0
	v_mbcnt_hi_u32_b32 v2, s11, v2
	v_cmp_eq_u32_e32 vcc, 0, v2
	s_and_saveexec_b64 s[12:13], vcc
	s_cbranch_execz .LBB4_1571
; %bb.1570:
	s_bcnt1_i32_b64 s10, s[10:11]
	v_mov_b32_e32 v2, s10
	buffer_wbl2 sc0 sc1
	s_waitcnt vmcnt(0)
	global_atomic_add_x2 v[0:1], v[2:3], off offset:8 sc1
.LBB4_1571:
	s_or_b64 exec, exec, s[12:13]
	s_waitcnt vmcnt(0)
	global_load_dwordx2 v[2:3], v[0:1], off offset:16
	s_waitcnt vmcnt(0)
	v_cmp_eq_u64_e32 vcc, 0, v[2:3]
	s_cbranch_vccnz .LBB4_1573
; %bb.1572:
	global_load_dword v0, v[0:1], off offset:24
	v_mov_b32_e32 v1, 0
	buffer_wbl2 sc0 sc1
	s_waitcnt vmcnt(0)
	global_store_dwordx2 v[2:3], v[0:1], off sc0 sc1
	v_and_b32_e32 v0, 0xffffff, v0
	s_nop 0
	v_readfirstlane_b32 m0, v0
	s_sendmsg sendmsg(MSG_INTERRUPT)
.LBB4_1573:
	s_or_b64 exec, exec, s[6:7]
	s_branch .LBB4_1577
.LBB4_1574:                             ;   in Loop: Header=BB4_1577 Depth=1
	s_or_b64 exec, exec, s[6:7]
	v_readfirstlane_b32 s6, v0
	s_cmp_eq_u32 s6, 0
	s_cbranch_scc1 .LBB4_1576
; %bb.1575:                             ;   in Loop: Header=BB4_1577 Depth=1
	s_sleep 1
	s_cbranch_execnz .LBB4_1577
	s_branch .LBB4_1579
.LBB4_1576:
	s_branch .LBB4_1579
.LBB4_1577:                             ; =>This Inner Loop Header: Depth=1
	v_mov_b32_e32 v0, 1
	s_and_saveexec_b64 s[6:7], s[0:1]
	s_cbranch_execz .LBB4_1574
; %bb.1578:                             ;   in Loop: Header=BB4_1577 Depth=1
	global_load_dword v0, v[8:9], off offset:20 sc0 sc1
	s_waitcnt vmcnt(0)
	buffer_inv sc0 sc1
	v_and_b32_e32 v0, 1, v0
	s_branch .LBB4_1574
.LBB4_1579:
	s_and_saveexec_b64 s[6:7], s[0:1]
	s_cbranch_execz .LBB4_1582
; %bb.1580:
	v_mov_b32_e32 v6, 0
	global_load_dwordx2 v[4:5], v6, s[2:3] offset:40
	global_load_dwordx2 v[8:9], v6, s[2:3] offset:24 sc0 sc1
	global_load_dwordx2 v[10:11], v6, s[2:3]
	s_mov_b64 s[0:1], 0
	s_waitcnt vmcnt(2)
	v_lshl_add_u64 v[0:1], v[4:5], 0, 1
	v_lshl_add_u64 v[12:13], v[0:1], 0, s[4:5]
	v_cmp_eq_u64_e32 vcc, 0, v[12:13]
	s_waitcnt vmcnt(1)
	v_mov_b32_e32 v2, v8
	v_cndmask_b32_e32 v1, v13, v1, vcc
	v_cndmask_b32_e32 v0, v12, v0, vcc
	v_and_b32_e32 v3, v1, v5
	v_and_b32_e32 v4, v0, v4
	v_mul_lo_u32 v3, v3, 24
	v_mul_hi_u32 v5, v4, 24
	v_mul_lo_u32 v4, v4, 24
	v_add_u32_e32 v5, v5, v3
	s_waitcnt vmcnt(0)
	v_lshl_add_u64 v[4:5], v[10:11], 0, v[4:5]
	global_store_dwordx2 v[4:5], v[8:9], off
	v_mov_b32_e32 v3, v9
	buffer_wbl2 sc0 sc1
	s_waitcnt vmcnt(0)
	global_atomic_cmpswap_x2 v[2:3], v6, v[0:3], s[2:3] offset:24 sc0 sc1
	s_waitcnt vmcnt(0)
	v_cmp_ne_u64_e32 vcc, v[2:3], v[8:9]
	s_and_b64 exec, exec, vcc
	s_cbranch_execz .LBB4_1582
.LBB4_1581:                             ; =>This Inner Loop Header: Depth=1
	s_sleep 1
	global_store_dwordx2 v[4:5], v[2:3], off
	buffer_wbl2 sc0 sc1
	s_waitcnt vmcnt(0)
	global_atomic_cmpswap_x2 v[8:9], v6, v[0:3], s[2:3] offset:24 sc0 sc1
	s_waitcnt vmcnt(0)
	v_cmp_eq_u64_e32 vcc, v[8:9], v[2:3]
	s_or_b64 s[0:1], vcc, s[0:1]
	v_mov_b64_e32 v[2:3], v[8:9]
	s_andn2_b64 exec, exec, s[0:1]
	s_cbranch_execnz .LBB4_1581
.LBB4_1582:
	s_or_b64 exec, exec, s[6:7]
.LBB4_1583:
	s_getpc_b64 s[0:1]
	s_add_u32 s0, s0, .str@rel32@lo+4
	s_addc_u32 s1, s1, .str@rel32@hi+12
	s_waitcnt vmcnt(0)
	v_mov_b32_e32 v0, s0
	v_mov_b32_e32 v1, s1
	s_mov_b64 s[18:19], src_private_base
	s_getpc_b64 s[46:47]
	s_add_u32 s46, s46, _ZNK8migraphx13basic_printerIZNS_4coutEvEUlT_E_ElsEPKc@rel32@lo+4
	s_addc_u32 s47, s47, _ZNK8migraphx13basic_printerIZNS_4coutEvEUlT_E_ElsEPKc@rel32@hi+12
	s_mov_b64 s[36:37], s[8:9]
	s_swappc_b64 s[30:31], s[46:47]
	s_getpc_b64 s[0:1]
	s_add_u32 s0, s0, .str.3@rel32@lo+4
	s_addc_u32 s1, s1, .str.3@rel32@hi+12
	s_mov_b64 s[8:9], s[36:37]
	v_mov_b32_e32 v0, s0
	v_mov_b32_e32 v1, s1
	s_swappc_b64 s[30:31], s[46:47]
	s_getpc_b64 s[0:1]
	s_add_u32 s0, s0, _ZN8migraphx4testlsIKNS_13basic_printerIZNS_4coutEvEUlT_E_EEEERS3_S7_RKNS0_10expressionINS0_14lhs_expressionIRNS_5arrayIiLj6EEENS0_3nopEEESC_NS0_5equalEEE@rel32@lo+4
	s_addc_u32 s1, s1, _ZN8migraphx4testlsIKNS_13basic_printerIZNS_4coutEvEUlT_E_EEEERS3_S7_RKNS0_10expressionINS0_14lhs_expressionIRNS_5arrayIiLj6EEENS0_3nopEEESC_NS0_5equalEEE@rel32@hi+12
	s_add_i32 s2, s33, 0x48
	s_mov_b64 s[8:9], s[36:37]
	v_mov_b32_e32 v0, s2
	v_mov_b32_e32 v1, s19
	s_swappc_b64 s[30:31], s[0:1]
	s_getpc_b64 s[0:1]
	s_add_u32 s0, s0, .str.4@rel32@lo+4
	s_addc_u32 s1, s1, .str.4@rel32@hi+12
	s_mov_b64 s[8:9], s[36:37]
	v_mov_b32_e32 v0, s0
	v_mov_b32_e32 v1, s1
	s_swappc_b64 s[30:31], s[46:47]
	s_mov_b64 s[8:9], s[36:37]
	v_mov_b32_e32 v0, 10
	s_getpc_b64 s[0:1]
	s_add_u32 s0, s0, _ZNK8migraphx13basic_printerIZNS_4coutEvEUlT_E_ElsEc@rel32@lo+4
	s_addc_u32 s1, s1, _ZNK8migraphx13basic_printerIZNS_4coutEvEUlT_E_ElsEc@rel32@hi+12
	s_swappc_b64 s[30:31], s[0:1]
	v_accvgpr_read_b32 v0, a0
	v_accvgpr_read_b32 v1, a1
	flat_load_dwordx2 v[0:1], v[0:1]
	s_mov_b64 s[8:9], s[36:37]
	s_mov_b32 s14, s44
	s_mov_b32 s13, s43
	;; [unrolled: 1-line block ×3, first 2 shown]
	s_waitcnt vmcnt(0) lgkmcnt(0)
	flat_load_dword v2, v[0:1]
	s_waitcnt vmcnt(0) lgkmcnt(0)
	v_add_u32_e32 v2, 1, v2
	flat_store_dword v[0:1], v2
.LBB4_1584:
	s_or_b64 exec, exec, s[40:41]
	s_getpc_b64 s[0:1]
	s_add_u32 s0, s0, _ZN8migraphx4test4failEv@rel32@lo+4
	s_addc_u32 s1, s1, _ZN8migraphx4test4failEv@rel32@hi+12
	s_swappc_b64 s[30:31], s[0:1]
	; divergent unreachable
.LBB4_1585:
	s_andn2_saveexec_b64 s[0:1], s[38:39]
	s_or_b64 exec, exec, s[0:1]
	v_readlane_b32 s30, v47, 0
	v_readlane_b32 s31, v47, 1
	;; [unrolled: 1-line block ×3, first 2 shown]
	s_or_saveexec_b64 s[2:3], -1
	scratch_load_dword v47, off, s33 offset:88 ; 4-byte Folded Reload
	s_mov_b64 exec, s[2:3]
	s_addk_i32 s32, 0xffa0
	s_mov_b32 s33, s0
	s_waitcnt vmcnt(0)
	s_setpc_b64 s[30:31]
.Lfunc_end4:
	.size	_ZL22merge_first_all_largerRN8migraphx4test12test_managerE, .Lfunc_end4-_ZL22merge_first_all_largerRN8migraphx4test12test_managerE
                                        ; -- End function
	.section	.AMDGPU.csdata,"",@progbits
; Function info:
; codeLenInByte = 54160
; NumSgprs: 54
; NumVgprs: 62
; NumAgprs: 2
; TotalNumVgprs: 66
; ScratchSize: 112
; MemoryBound: 0
	.text
	.p2align	2                               ; -- Begin function _ZN8migraphx4testlsIKNS_13basic_printerIZNS_4coutEvEUlT_E_EEEERS3_S7_RKNS0_10expressionINS0_14lhs_expressionIRNS_5arrayIiLj8EEENS0_3nopEEESC_NS0_5equalEEE
	.type	_ZN8migraphx4testlsIKNS_13basic_printerIZNS_4coutEvEUlT_E_EEEERS3_S7_RKNS0_10expressionINS0_14lhs_expressionIRNS_5arrayIiLj8EEENS0_3nopEEESC_NS0_5equalEEE,@function
_ZN8migraphx4testlsIKNS_13basic_printerIZNS_4coutEvEUlT_E_EEEERS3_S7_RKNS0_10expressionINS0_14lhs_expressionIRNS_5arrayIiLj8EEENS0_3nopEEESC_NS0_5equalEEE: ; @_ZN8migraphx4testlsIKNS_13basic_printerIZNS_4coutEvEUlT_E_EEEERS3_S7_RKNS0_10expressionINS0_14lhs_expressionIRNS_5arrayIiLj8EEENS0_3nopEEESC_NS0_5equalEEE
; %bb.0:
	s_waitcnt vmcnt(0) expcnt(0) lgkmcnt(0)
	s_mov_b32 s0, s33
	s_mov_b32 s33, s32
	s_xor_saveexec_b64 s[2:3], -1
	scratch_store_dword off, v37, s33       ; 4-byte Folded Spill
	s_mov_b64 exec, s[2:3]
	v_writelane_b32 v37, s0, 2
	v_writelane_b32 v37, s30, 0
	s_add_i32 s32, s32, 16
	s_nop 0
	v_writelane_b32 v37, s31, 1
	v_mov_b32_e32 v39, v1
	v_mov_b32_e32 v38, v0
	flat_load_dwordx2 v[44:45], v[38:39]
	s_getpc_b64 s[0:1]
	s_add_u32 s0, s0, .str.7@rel32@lo+4
	s_addc_u32 s1, s1, .str.7@rel32@hi+12
	v_mbcnt_lo_u32_b32 v0, -1, 0
	s_mov_b32 s29, 0
	s_cmp_lg_u64 s[0:1], 0
	v_mov_b32_e32 v55, 0
	v_mbcnt_hi_u32_b32 v46, -1, v0
	s_mov_b64 s[18:19], s[8:9]
	s_cselect_b64 s[24:25], -1, 0
	v_mov_b32_e32 v50, 2
	v_lshlrev_b32_e32 v56, 6, v46
	v_mov_b32_e32 v40, 33
	s_mov_b32 s20, s29
	s_mov_b32 s21, s29
	;; [unrolled: 1-line block ×4, first 2 shown]
	s_movk_i32 s34, 0xff1f
	s_movk_i32 s35, 0xff1d
	v_mov_b32_e32 v51, 1
	v_mov_b32_e32 v41, v55
	;; [unrolled: 1-line block ×4, first 2 shown]
	s_mov_b32 s28, s29
	s_branch .LBB5_2
.LBB5_1:                                ;   in Loop: Header=BB5_2 Depth=1
	s_or_b64 exec, exec, s[4:5]
	s_add_i32 s28, s28, 1
	s_cmp_lg_u32 s28, 8
	s_cbranch_scc0 .LBB5_169
.LBB5_2:                                ; =>This Loop Header: Depth=1
                                        ;     Child Loop BB5_7 Depth 2
                                        ;     Child Loop BB5_15 Depth 2
	;; [unrolled: 1-line block ×9, first 2 shown]
                                        ;       Child Loop BB5_36 Depth 3
                                        ;       Child Loop BB5_43 Depth 3
	;; [unrolled: 1-line block ×11, first 2 shown]
                                        ;     Child Loop BB5_146 Depth 2
                                        ;     Child Loop BB5_154 Depth 2
	;; [unrolled: 1-line block ×4, first 2 shown]
	s_cmp_eq_u32 s28, 0
	s_cbranch_scc1 .LBB5_4
; %bb.3:                                ;   in Loop: Header=BB5_2 Depth=1
	s_getpc_b64 s[0:1]
	s_add_u32 s0, s0, .str.11@rel32@lo+4
	s_addc_u32 s1, s1, .str.11@rel32@hi+12
	s_mov_b64 s[8:9], s[18:19]
	v_mov_b32_e32 v0, s0
	v_mov_b32_e32 v1, s1
	s_getpc_b64 s[2:3]
	s_add_u32 s2, s2, _ZNK8migraphx13basic_printerIZNS_4coutEvEUlT_E_ElsEPKc@rel32@lo+4
	s_addc_u32 s3, s3, _ZNK8migraphx13basic_printerIZNS_4coutEvEUlT_E_ElsEPKc@rel32@hi+12
	s_swappc_b64 s[30:31], s[2:3]
.LBB5_4:                                ;   in Loop: Header=BB5_2 Depth=1
	s_waitcnt vmcnt(0) lgkmcnt(0)
	v_lshl_add_u64 v[0:1], s[28:29], 2, v[44:45]
	flat_load_dword v21, v[0:1]
	s_load_dwordx2 s[26:27], s[18:19], 0x50
	v_readfirstlane_b32 s0, v46
	v_mov_b64_e32 v[4:5], 0
	s_nop 0
	v_cmp_eq_u32_e64 s[0:1], s0, v46
	s_and_saveexec_b64 s[2:3], s[0:1]
	s_cbranch_execz .LBB5_10
; %bb.5:                                ;   in Loop: Header=BB5_2 Depth=1
	s_waitcnt lgkmcnt(0)
	global_load_dwordx2 v[2:3], v55, s[26:27] offset:24 sc0 sc1
	s_waitcnt vmcnt(0)
	buffer_inv sc0 sc1
	global_load_dwordx2 v[0:1], v55, s[26:27] offset:40
	global_load_dwordx2 v[4:5], v55, s[26:27]
	s_waitcnt vmcnt(1)
	v_and_b32_e32 v0, v0, v2
	v_and_b32_e32 v1, v1, v3
	v_mul_lo_u32 v1, v1, 24
	v_mul_hi_u32 v6, v0, 24
	v_add_u32_e32 v1, v6, v1
	v_mul_lo_u32 v0, v0, 24
	s_waitcnt vmcnt(0)
	v_lshl_add_u64 v[0:1], v[4:5], 0, v[0:1]
	global_load_dwordx2 v[0:1], v[0:1], off sc0 sc1
	s_waitcnt vmcnt(0)
	global_atomic_cmpswap_x2 v[4:5], v55, v[0:3], s[26:27] offset:24 sc0 sc1
	s_waitcnt vmcnt(0)
	buffer_inv sc0 sc1
	v_cmp_ne_u64_e32 vcc, v[4:5], v[2:3]
	s_and_saveexec_b64 s[4:5], vcc
	s_cbranch_execz .LBB5_9
; %bb.6:                                ;   in Loop: Header=BB5_2 Depth=1
	s_mov_b64 s[6:7], 0
.LBB5_7:                                ;   Parent Loop BB5_2 Depth=1
                                        ; =>  This Inner Loop Header: Depth=2
	s_sleep 1
	global_load_dwordx2 v[0:1], v55, s[26:27] offset:40
	global_load_dwordx2 v[6:7], v55, s[26:27]
	v_mov_b64_e32 v[2:3], v[4:5]
	s_waitcnt vmcnt(1)
	v_and_b32_e32 v0, v0, v2
	v_and_b32_e32 v5, v1, v3
	s_waitcnt vmcnt(0)
	v_mad_u64_u32 v[0:1], s[8:9], v0, 24, v[6:7]
	v_mov_b32_e32 v4, v1
	v_mad_u64_u32 v[4:5], s[8:9], v5, 24, v[4:5]
	v_mov_b32_e32 v1, v4
	global_load_dwordx2 v[0:1], v[0:1], off sc0 sc1
	s_waitcnt vmcnt(0)
	global_atomic_cmpswap_x2 v[4:5], v55, v[0:3], s[26:27] offset:24 sc0 sc1
	s_waitcnt vmcnt(0)
	buffer_inv sc0 sc1
	v_cmp_eq_u64_e32 vcc, v[4:5], v[2:3]
	s_or_b64 s[6:7], vcc, s[6:7]
	s_andn2_b64 exec, exec, s[6:7]
	s_cbranch_execnz .LBB5_7
; %bb.8:                                ;   in Loop: Header=BB5_2 Depth=1
	s_or_b64 exec, exec, s[6:7]
.LBB5_9:                                ;   in Loop: Header=BB5_2 Depth=1
	s_or_b64 exec, exec, s[4:5]
.LBB5_10:                               ;   in Loop: Header=BB5_2 Depth=1
	s_or_b64 exec, exec, s[2:3]
	s_waitcnt lgkmcnt(0)
	global_load_dwordx2 v[6:7], v55, s[26:27] offset:40
	global_load_dwordx4 v[0:3], v55, s[26:27]
	v_readfirstlane_b32 s2, v4
	v_readfirstlane_b32 s3, v5
	s_mov_b64 s[4:5], exec
	s_waitcnt vmcnt(0)
	v_readfirstlane_b32 s6, v6
	v_readfirstlane_b32 s7, v7
	s_and_b64 s[6:7], s[2:3], s[6:7]
	s_mul_i32 s8, s7, 24
	s_mul_hi_u32 s9, s6, 24
	s_add_i32 s9, s9, s8
	s_mul_i32 s8, s6, 24
	v_lshl_add_u64 v[4:5], v[0:1], 0, s[8:9]
	s_and_saveexec_b64 s[8:9], s[0:1]
	s_cbranch_execz .LBB5_12
; %bb.11:                               ;   in Loop: Header=BB5_2 Depth=1
	v_mov_b64_e32 v[48:49], s[4:5]
	global_store_dwordx4 v[4:5], v[48:51], off offset:8
.LBB5_12:                               ;   in Loop: Header=BB5_2 Depth=1
	s_or_b64 exec, exec, s[8:9]
	s_lshl_b64 s[4:5], s[6:7], 12
	v_lshl_add_u64 v[6:7], v[2:3], 0, s[4:5]
	v_mov_b64_e32 v[8:9], s[20:21]
	v_readfirstlane_b32 s4, v6
	v_readfirstlane_b32 s5, v7
	v_mov_b64_e32 v[10:11], s[22:23]
	s_nop 3
	global_store_dwordx4 v56, v[40:43], s[4:5]
	global_store_dwordx4 v56, v[8:11], s[4:5] offset:16
	global_store_dwordx4 v56, v[8:11], s[4:5] offset:32
	;; [unrolled: 1-line block ×3, first 2 shown]
	s_and_saveexec_b64 s[4:5], s[0:1]
	s_cbranch_execz .LBB5_20
; %bb.13:                               ;   in Loop: Header=BB5_2 Depth=1
	global_load_dwordx2 v[12:13], v55, s[26:27] offset:32 sc0 sc1
	global_load_dwordx2 v[2:3], v55, s[26:27] offset:40
	v_mov_b32_e32 v10, s2
	v_mov_b32_e32 v11, s3
	s_waitcnt vmcnt(0)
	v_and_b32_e32 v2, s2, v2
	v_and_b32_e32 v3, s3, v3
	v_mul_lo_u32 v3, v3, 24
	v_mul_hi_u32 v8, v2, 24
	v_mul_lo_u32 v2, v2, 24
	v_add_u32_e32 v3, v8, v3
	v_lshl_add_u64 v[8:9], v[0:1], 0, v[2:3]
	global_store_dwordx2 v[8:9], v[12:13], off
	buffer_wbl2 sc0 sc1
	s_waitcnt vmcnt(0)
	global_atomic_cmpswap_x2 v[2:3], v55, v[10:13], s[26:27] offset:32 sc0 sc1
	s_waitcnt vmcnt(0)
	v_cmp_ne_u64_e32 vcc, v[2:3], v[12:13]
	s_and_saveexec_b64 s[6:7], vcc
	s_cbranch_execz .LBB5_16
; %bb.14:                               ;   in Loop: Header=BB5_2 Depth=1
	s_mov_b64 s[8:9], 0
.LBB5_15:                               ;   Parent Loop BB5_2 Depth=1
                                        ; =>  This Inner Loop Header: Depth=2
	s_sleep 1
	global_store_dwordx2 v[8:9], v[2:3], off
	v_mov_b32_e32 v0, s2
	v_mov_b32_e32 v1, s3
	buffer_wbl2 sc0 sc1
	s_waitcnt vmcnt(0)
	global_atomic_cmpswap_x2 v[0:1], v55, v[0:3], s[26:27] offset:32 sc0 sc1
	s_waitcnt vmcnt(0)
	v_cmp_eq_u64_e32 vcc, v[0:1], v[2:3]
	s_or_b64 s[8:9], vcc, s[8:9]
	v_mov_b64_e32 v[2:3], v[0:1]
	s_andn2_b64 exec, exec, s[8:9]
	s_cbranch_execnz .LBB5_15
.LBB5_16:                               ;   in Loop: Header=BB5_2 Depth=1
	s_or_b64 exec, exec, s[6:7]
	global_load_dwordx2 v[0:1], v55, s[26:27] offset:16
	s_mov_b64 s[8:9], exec
	v_mbcnt_lo_u32_b32 v2, s8, 0
	v_mbcnt_hi_u32_b32 v2, s9, v2
	v_cmp_eq_u32_e32 vcc, 0, v2
	s_and_saveexec_b64 s[6:7], vcc
	s_cbranch_execz .LBB5_18
; %bb.17:                               ;   in Loop: Header=BB5_2 Depth=1
	s_bcnt1_i32_b64 s8, s[8:9]
	v_mov_b32_e32 v54, s8
	buffer_wbl2 sc0 sc1
	s_waitcnt vmcnt(0)
	global_atomic_add_x2 v[0:1], v[54:55], off offset:8 sc1
.LBB5_18:                               ;   in Loop: Header=BB5_2 Depth=1
	s_or_b64 exec, exec, s[6:7]
	s_waitcnt vmcnt(0)
	global_load_dwordx2 v[2:3], v[0:1], off offset:16
	s_waitcnt vmcnt(0)
	v_cmp_eq_u64_e32 vcc, 0, v[2:3]
	s_cbranch_vccnz .LBB5_20
; %bb.19:                               ;   in Loop: Header=BB5_2 Depth=1
	global_load_dword v54, v[0:1], off offset:24
	s_waitcnt vmcnt(0)
	v_and_b32_e32 v0, 0xffffff, v54
	s_nop 0
	v_readfirstlane_b32 m0, v0
	buffer_wbl2 sc0 sc1
	global_store_dwordx2 v[2:3], v[54:55], off sc0 sc1
	s_sendmsg sendmsg(MSG_INTERRUPT)
.LBB5_20:                               ;   in Loop: Header=BB5_2 Depth=1
	s_or_b64 exec, exec, s[4:5]
	v_mov_b32_e32 v57, v55
	v_lshl_add_u64 v[0:1], v[6:7], 0, v[56:57]
	s_branch .LBB5_24
.LBB5_21:                               ;   in Loop: Header=BB5_24 Depth=2
	s_or_b64 exec, exec, s[4:5]
	v_readfirstlane_b32 s4, v2
	s_cmp_eq_u32 s4, 0
	s_cbranch_scc1 .LBB5_23
; %bb.22:                               ;   in Loop: Header=BB5_24 Depth=2
	s_sleep 1
	s_cbranch_execnz .LBB5_24
	s_branch .LBB5_26
.LBB5_23:                               ;   in Loop: Header=BB5_2 Depth=1
	s_branch .LBB5_26
.LBB5_24:                               ;   Parent Loop BB5_2 Depth=1
                                        ; =>  This Inner Loop Header: Depth=2
	v_mov_b32_e32 v2, 1
	s_and_saveexec_b64 s[4:5], s[0:1]
	s_cbranch_execz .LBB5_21
; %bb.25:                               ;   in Loop: Header=BB5_24 Depth=2
	global_load_dword v2, v[4:5], off offset:20 sc0 sc1
	s_waitcnt vmcnt(0)
	buffer_inv sc0 sc1
	v_and_b32_e32 v2, 1, v2
	s_branch .LBB5_21
.LBB5_26:                               ;   in Loop: Header=BB5_2 Depth=1
	global_load_dwordx2 v[52:53], v[0:1], off
	s_and_saveexec_b64 s[4:5], s[0:1]
	s_cbranch_execz .LBB5_30
; %bb.27:                               ;   in Loop: Header=BB5_2 Depth=1
	global_load_dwordx2 v[4:5], v55, s[26:27] offset:40
	global_load_dwordx2 v[6:7], v55, s[26:27] offset:24 sc0 sc1
	global_load_dwordx2 v[8:9], v55, s[26:27]
	s_waitcnt vmcnt(2)
	v_lshl_add_u64 v[0:1], v[4:5], 0, 1
	v_lshl_add_u64 v[10:11], v[0:1], 0, s[2:3]
	v_cmp_eq_u64_e32 vcc, 0, v[10:11]
	s_waitcnt vmcnt(1)
	v_mov_b32_e32 v2, v6
	v_cndmask_b32_e32 v1, v11, v1, vcc
	v_cndmask_b32_e32 v0, v10, v0, vcc
	v_and_b32_e32 v3, v1, v5
	v_and_b32_e32 v4, v0, v4
	v_mul_lo_u32 v3, v3, 24
	v_mul_hi_u32 v5, v4, 24
	v_mul_lo_u32 v4, v4, 24
	v_add_u32_e32 v5, v5, v3
	s_waitcnt vmcnt(0)
	v_lshl_add_u64 v[4:5], v[8:9], 0, v[4:5]
	global_store_dwordx2 v[4:5], v[6:7], off
	v_mov_b32_e32 v3, v7
	buffer_wbl2 sc0 sc1
	s_waitcnt vmcnt(0)
	global_atomic_cmpswap_x2 v[2:3], v55, v[0:3], s[26:27] offset:24 sc0 sc1
	s_waitcnt vmcnt(0)
	v_cmp_ne_u64_e32 vcc, v[2:3], v[6:7]
	s_and_b64 exec, exec, vcc
	s_cbranch_execz .LBB5_30
; %bb.28:                               ;   in Loop: Header=BB5_2 Depth=1
	s_mov_b64 s[0:1], 0
.LBB5_29:                               ;   Parent Loop BB5_2 Depth=1
                                        ; =>  This Inner Loop Header: Depth=2
	s_sleep 1
	global_store_dwordx2 v[4:5], v[2:3], off
	buffer_wbl2 sc0 sc1
	s_waitcnt vmcnt(0)
	global_atomic_cmpswap_x2 v[6:7], v55, v[0:3], s[26:27] offset:24 sc0 sc1
	s_waitcnt vmcnt(0)
	v_cmp_eq_u64_e32 vcc, v[6:7], v[2:3]
	s_or_b64 s[0:1], vcc, s[0:1]
	v_mov_b64_e32 v[2:3], v[6:7]
	s_andn2_b64 exec, exec, s[0:1]
	s_cbranch_execnz .LBB5_29
.LBB5_30:                               ;   in Loop: Header=BB5_2 Depth=1
	s_or_b64 exec, exec, s[4:5]
	s_and_b64 vcc, exec, s[24:25]
	s_cbranch_vccz .LBB5_115
; %bb.31:                               ;   in Loop: Header=BB5_2 Depth=1
	s_waitcnt vmcnt(0)
	v_and_b32_e32 v20, 2, v52
	v_and_b32_e32 v0, -3, v52
	v_mov_b32_e32 v1, v53
	s_mov_b64 s[4:5], 4
	s_getpc_b64 s[2:3]
	s_add_u32 s2, s2, .str.7@rel32@lo+4
	s_addc_u32 s3, s3, .str.7@rel32@hi+12
	s_branch .LBB5_33
.LBB5_32:                               ;   in Loop: Header=BB5_33 Depth=2
	s_or_b64 exec, exec, s[10:11]
	s_sub_u32 s4, s4, s6
	s_subb_u32 s5, s5, s7
	s_add_u32 s2, s2, s6
	s_addc_u32 s3, s3, s7
	s_cmp_lg_u64 s[4:5], 0
	s_cbranch_scc0 .LBB5_114
.LBB5_33:                               ;   Parent Loop BB5_2 Depth=1
                                        ; =>  This Loop Header: Depth=2
                                        ;       Child Loop BB5_36 Depth 3
                                        ;       Child Loop BB5_43 Depth 3
	;; [unrolled: 1-line block ×11, first 2 shown]
	v_cmp_lt_u64_e64 s[0:1], s[4:5], 56
	s_and_b64 s[0:1], s[0:1], exec
	v_cmp_gt_u64_e64 s[0:1], s[4:5], 7
	s_cselect_b32 s7, s5, 0
	s_cselect_b32 s6, s4, 56
	s_and_b64 vcc, exec, s[0:1]
	s_cbranch_vccnz .LBB5_38
; %bb.34:                               ;   in Loop: Header=BB5_33 Depth=2
	s_mov_b64 s[0:1], 0
	s_cmp_eq_u64 s[4:5], 0
	s_waitcnt vmcnt(0)
	v_mov_b64_e32 v[2:3], 0
	s_cbranch_scc1 .LBB5_37
; %bb.35:                               ;   in Loop: Header=BB5_33 Depth=2
	s_lshl_b64 s[8:9], s[6:7], 3
	s_mov_b64 s[10:11], 0
	v_mov_b64_e32 v[2:3], 0
	s_mov_b64 s[12:13], s[2:3]
.LBB5_36:                               ;   Parent Loop BB5_2 Depth=1
                                        ;     Parent Loop BB5_33 Depth=2
                                        ; =>    This Inner Loop Header: Depth=3
	global_load_ubyte v4, v55, s[12:13]
	s_waitcnt vmcnt(0)
	v_and_b32_e32 v54, 0xffff, v4
	v_lshlrev_b64 v[4:5], s10, v[54:55]
	s_add_u32 s10, s10, 8
	s_addc_u32 s11, s11, 0
	s_add_u32 s12, s12, 1
	s_addc_u32 s13, s13, 0
	v_or_b32_e32 v2, v4, v2
	s_cmp_lg_u32 s8, s10
	v_or_b32_e32 v3, v5, v3
	s_cbranch_scc1 .LBB5_36
.LBB5_37:                               ;   in Loop: Header=BB5_33 Depth=2
	s_mov_b32 s12, 0
	s_andn2_b64 vcc, exec, s[0:1]
	s_mov_b64 s[0:1], s[2:3]
	s_cbranch_vccz .LBB5_39
	s_branch .LBB5_40
.LBB5_38:                               ;   in Loop: Header=BB5_33 Depth=2
                                        ; implicit-def: $vgpr2_vgpr3
                                        ; implicit-def: $sgpr12
	s_mov_b64 s[0:1], s[2:3]
.LBB5_39:                               ;   in Loop: Header=BB5_33 Depth=2
	global_load_dwordx2 v[2:3], v55, s[2:3]
	s_add_i32 s12, s6, -8
	s_add_u32 s0, s2, 8
	s_addc_u32 s1, s3, 0
.LBB5_40:                               ;   in Loop: Header=BB5_33 Depth=2
	s_cmp_gt_u32 s12, 7
	s_cbranch_scc1 .LBB5_44
; %bb.41:                               ;   in Loop: Header=BB5_33 Depth=2
	s_cmp_eq_u32 s12, 0
	s_cbranch_scc1 .LBB5_45
; %bb.42:                               ;   in Loop: Header=BB5_33 Depth=2
	s_mov_b64 s[8:9], 0
	v_mov_b64_e32 v[4:5], 0
	s_mov_b64 s[10:11], 0
.LBB5_43:                               ;   Parent Loop BB5_2 Depth=1
                                        ;     Parent Loop BB5_33 Depth=2
                                        ; =>    This Inner Loop Header: Depth=3
	s_add_u32 s14, s0, s10
	s_addc_u32 s15, s1, s11
	global_load_ubyte v6, v55, s[14:15]
	s_add_u32 s10, s10, 1
	s_addc_u32 s11, s11, 0
	s_waitcnt vmcnt(0)
	v_and_b32_e32 v54, 0xffff, v6
	v_lshlrev_b64 v[6:7], s8, v[54:55]
	s_add_u32 s8, s8, 8
	s_addc_u32 s9, s9, 0
	v_or_b32_e32 v4, v6, v4
	s_cmp_lg_u32 s12, s10
	v_or_b32_e32 v5, v7, v5
	s_cbranch_scc1 .LBB5_43
	s_branch .LBB5_46
.LBB5_44:                               ;   in Loop: Header=BB5_33 Depth=2
                                        ; implicit-def: $vgpr4_vgpr5
                                        ; implicit-def: $sgpr13
	s_branch .LBB5_47
.LBB5_45:                               ;   in Loop: Header=BB5_33 Depth=2
	v_mov_b64_e32 v[4:5], 0
.LBB5_46:                               ;   in Loop: Header=BB5_33 Depth=2
	s_mov_b32 s13, 0
	s_cbranch_execnz .LBB5_48
.LBB5_47:                               ;   in Loop: Header=BB5_33 Depth=2
	global_load_dwordx2 v[4:5], v55, s[0:1]
	s_add_i32 s13, s12, -8
	s_add_u32 s0, s0, 8
	s_addc_u32 s1, s1, 0
.LBB5_48:                               ;   in Loop: Header=BB5_33 Depth=2
	s_cmp_gt_u32 s13, 7
	s_cbranch_scc1 .LBB5_52
; %bb.49:                               ;   in Loop: Header=BB5_33 Depth=2
	s_cmp_eq_u32 s13, 0
	s_cbranch_scc1 .LBB5_53
; %bb.50:                               ;   in Loop: Header=BB5_33 Depth=2
	s_mov_b64 s[8:9], 0
	v_mov_b64_e32 v[6:7], 0
	s_mov_b64 s[10:11], 0
.LBB5_51:                               ;   Parent Loop BB5_2 Depth=1
                                        ;     Parent Loop BB5_33 Depth=2
                                        ; =>    This Inner Loop Header: Depth=3
	s_add_u32 s14, s0, s10
	s_addc_u32 s15, s1, s11
	global_load_ubyte v8, v55, s[14:15]
	s_add_u32 s10, s10, 1
	s_addc_u32 s11, s11, 0
	s_waitcnt vmcnt(0)
	v_and_b32_e32 v54, 0xffff, v8
	v_lshlrev_b64 v[8:9], s8, v[54:55]
	s_add_u32 s8, s8, 8
	s_addc_u32 s9, s9, 0
	v_or_b32_e32 v6, v8, v6
	s_cmp_lg_u32 s13, s10
	v_or_b32_e32 v7, v9, v7
	s_cbranch_scc1 .LBB5_51
	s_branch .LBB5_54
.LBB5_52:                               ;   in Loop: Header=BB5_33 Depth=2
                                        ; implicit-def: $sgpr12
	s_branch .LBB5_55
.LBB5_53:                               ;   in Loop: Header=BB5_33 Depth=2
	v_mov_b64_e32 v[6:7], 0
.LBB5_54:                               ;   in Loop: Header=BB5_33 Depth=2
	s_mov_b32 s12, 0
	s_cbranch_execnz .LBB5_56
.LBB5_55:                               ;   in Loop: Header=BB5_33 Depth=2
	global_load_dwordx2 v[6:7], v55, s[0:1]
	s_add_i32 s12, s13, -8
	s_add_u32 s0, s0, 8
	s_addc_u32 s1, s1, 0
.LBB5_56:                               ;   in Loop: Header=BB5_33 Depth=2
	s_cmp_gt_u32 s12, 7
	s_cbranch_scc1 .LBB5_60
; %bb.57:                               ;   in Loop: Header=BB5_33 Depth=2
	s_cmp_eq_u32 s12, 0
	s_cbranch_scc1 .LBB5_61
; %bb.58:                               ;   in Loop: Header=BB5_33 Depth=2
	s_mov_b64 s[8:9], 0
	v_mov_b64_e32 v[8:9], 0
	s_mov_b64 s[10:11], 0
.LBB5_59:                               ;   Parent Loop BB5_2 Depth=1
                                        ;     Parent Loop BB5_33 Depth=2
                                        ; =>    This Inner Loop Header: Depth=3
	s_add_u32 s14, s0, s10
	s_addc_u32 s15, s1, s11
	global_load_ubyte v10, v55, s[14:15]
	s_add_u32 s10, s10, 1
	s_addc_u32 s11, s11, 0
	s_waitcnt vmcnt(0)
	v_and_b32_e32 v54, 0xffff, v10
	v_lshlrev_b64 v[10:11], s8, v[54:55]
	s_add_u32 s8, s8, 8
	s_addc_u32 s9, s9, 0
	v_or_b32_e32 v8, v10, v8
	s_cmp_lg_u32 s12, s10
	v_or_b32_e32 v9, v11, v9
	s_cbranch_scc1 .LBB5_59
	s_branch .LBB5_62
.LBB5_60:                               ;   in Loop: Header=BB5_33 Depth=2
                                        ; implicit-def: $vgpr8_vgpr9
                                        ; implicit-def: $sgpr13
	s_branch .LBB5_63
.LBB5_61:                               ;   in Loop: Header=BB5_33 Depth=2
	v_mov_b64_e32 v[8:9], 0
.LBB5_62:                               ;   in Loop: Header=BB5_33 Depth=2
	s_mov_b32 s13, 0
	s_cbranch_execnz .LBB5_64
.LBB5_63:                               ;   in Loop: Header=BB5_33 Depth=2
	global_load_dwordx2 v[8:9], v55, s[0:1]
	s_add_i32 s13, s12, -8
	s_add_u32 s0, s0, 8
	s_addc_u32 s1, s1, 0
.LBB5_64:                               ;   in Loop: Header=BB5_33 Depth=2
	s_cmp_gt_u32 s13, 7
	s_cbranch_scc1 .LBB5_68
; %bb.65:                               ;   in Loop: Header=BB5_33 Depth=2
	s_cmp_eq_u32 s13, 0
	s_cbranch_scc1 .LBB5_69
; %bb.66:                               ;   in Loop: Header=BB5_33 Depth=2
	s_mov_b64 s[8:9], 0
	v_mov_b64_e32 v[10:11], 0
	s_mov_b64 s[10:11], 0
.LBB5_67:                               ;   Parent Loop BB5_2 Depth=1
                                        ;     Parent Loop BB5_33 Depth=2
                                        ; =>    This Inner Loop Header: Depth=3
	s_add_u32 s14, s0, s10
	s_addc_u32 s15, s1, s11
	global_load_ubyte v12, v55, s[14:15]
	s_add_u32 s10, s10, 1
	s_addc_u32 s11, s11, 0
	s_waitcnt vmcnt(0)
	v_and_b32_e32 v54, 0xffff, v12
	v_lshlrev_b64 v[12:13], s8, v[54:55]
	s_add_u32 s8, s8, 8
	s_addc_u32 s9, s9, 0
	v_or_b32_e32 v10, v12, v10
	s_cmp_lg_u32 s13, s10
	v_or_b32_e32 v11, v13, v11
	s_cbranch_scc1 .LBB5_67
	s_branch .LBB5_70
.LBB5_68:                               ;   in Loop: Header=BB5_33 Depth=2
                                        ; implicit-def: $sgpr12
	s_branch .LBB5_71
.LBB5_69:                               ;   in Loop: Header=BB5_33 Depth=2
	v_mov_b64_e32 v[10:11], 0
.LBB5_70:                               ;   in Loop: Header=BB5_33 Depth=2
	s_mov_b32 s12, 0
	s_cbranch_execnz .LBB5_72
.LBB5_71:                               ;   in Loop: Header=BB5_33 Depth=2
	global_load_dwordx2 v[10:11], v55, s[0:1]
	s_add_i32 s12, s13, -8
	s_add_u32 s0, s0, 8
	s_addc_u32 s1, s1, 0
.LBB5_72:                               ;   in Loop: Header=BB5_33 Depth=2
	s_cmp_gt_u32 s12, 7
	s_cbranch_scc1 .LBB5_76
; %bb.73:                               ;   in Loop: Header=BB5_33 Depth=2
	s_cmp_eq_u32 s12, 0
	s_cbranch_scc1 .LBB5_77
; %bb.74:                               ;   in Loop: Header=BB5_33 Depth=2
	s_mov_b64 s[8:9], 0
	v_mov_b64_e32 v[12:13], 0
	s_mov_b64 s[10:11], 0
.LBB5_75:                               ;   Parent Loop BB5_2 Depth=1
                                        ;     Parent Loop BB5_33 Depth=2
                                        ; =>    This Inner Loop Header: Depth=3
	s_add_u32 s14, s0, s10
	s_addc_u32 s15, s1, s11
	global_load_ubyte v14, v55, s[14:15]
	s_add_u32 s10, s10, 1
	s_addc_u32 s11, s11, 0
	s_waitcnt vmcnt(0)
	v_and_b32_e32 v54, 0xffff, v14
	v_lshlrev_b64 v[14:15], s8, v[54:55]
	s_add_u32 s8, s8, 8
	s_addc_u32 s9, s9, 0
	v_or_b32_e32 v12, v14, v12
	s_cmp_lg_u32 s12, s10
	v_or_b32_e32 v13, v15, v13
	s_cbranch_scc1 .LBB5_75
	s_branch .LBB5_78
.LBB5_76:                               ;   in Loop: Header=BB5_33 Depth=2
                                        ; implicit-def: $vgpr12_vgpr13
                                        ; implicit-def: $sgpr13
	s_branch .LBB5_79
.LBB5_77:                               ;   in Loop: Header=BB5_33 Depth=2
	v_mov_b64_e32 v[12:13], 0
.LBB5_78:                               ;   in Loop: Header=BB5_33 Depth=2
	s_mov_b32 s13, 0
	s_cbranch_execnz .LBB5_80
.LBB5_79:                               ;   in Loop: Header=BB5_33 Depth=2
	global_load_dwordx2 v[12:13], v55, s[0:1]
	s_add_i32 s13, s12, -8
	s_add_u32 s0, s0, 8
	s_addc_u32 s1, s1, 0
.LBB5_80:                               ;   in Loop: Header=BB5_33 Depth=2
	s_cmp_gt_u32 s13, 7
	s_cbranch_scc1 .LBB5_84
; %bb.81:                               ;   in Loop: Header=BB5_33 Depth=2
	s_cmp_eq_u32 s13, 0
	s_cbranch_scc1 .LBB5_85
; %bb.82:                               ;   in Loop: Header=BB5_33 Depth=2
	s_mov_b64 s[8:9], 0
	v_mov_b64_e32 v[14:15], 0
	s_mov_b64 s[10:11], s[0:1]
.LBB5_83:                               ;   Parent Loop BB5_2 Depth=1
                                        ;     Parent Loop BB5_33 Depth=2
                                        ; =>    This Inner Loop Header: Depth=3
	global_load_ubyte v16, v55, s[10:11]
	s_add_i32 s13, s13, -1
	s_waitcnt vmcnt(0)
	v_and_b32_e32 v54, 0xffff, v16
	v_lshlrev_b64 v[16:17], s8, v[54:55]
	s_add_u32 s8, s8, 8
	s_addc_u32 s9, s9, 0
	s_add_u32 s10, s10, 1
	s_addc_u32 s11, s11, 0
	v_or_b32_e32 v14, v16, v14
	s_cmp_lg_u32 s13, 0
	v_or_b32_e32 v15, v17, v15
	s_cbranch_scc1 .LBB5_83
	s_branch .LBB5_86
.LBB5_84:                               ;   in Loop: Header=BB5_33 Depth=2
	s_branch .LBB5_87
.LBB5_85:                               ;   in Loop: Header=BB5_33 Depth=2
	v_mov_b64_e32 v[14:15], 0
.LBB5_86:                               ;   in Loop: Header=BB5_33 Depth=2
	s_cbranch_execnz .LBB5_88
.LBB5_87:                               ;   in Loop: Header=BB5_33 Depth=2
	global_load_dwordx2 v[14:15], v55, s[0:1]
.LBB5_88:                               ;   in Loop: Header=BB5_33 Depth=2
	v_readfirstlane_b32 s0, v46
	v_mov_b64_e32 v[22:23], 0
	s_nop 0
	v_cmp_eq_u32_e64 s[0:1], s0, v46
	s_and_saveexec_b64 s[8:9], s[0:1]
	s_cbranch_execz .LBB5_94
; %bb.89:                               ;   in Loop: Header=BB5_33 Depth=2
	global_load_dwordx2 v[18:19], v55, s[26:27] offset:24 sc0 sc1
	s_waitcnt vmcnt(0)
	buffer_inv sc0 sc1
	global_load_dwordx2 v[16:17], v55, s[26:27] offset:40
	global_load_dwordx2 v[22:23], v55, s[26:27]
	s_waitcnt vmcnt(1)
	v_and_b32_e32 v16, v16, v18
	v_and_b32_e32 v17, v17, v19
	v_mul_lo_u32 v17, v17, 24
	v_mul_hi_u32 v24, v16, 24
	v_add_u32_e32 v17, v24, v17
	v_mul_lo_u32 v16, v16, 24
	s_waitcnt vmcnt(0)
	v_lshl_add_u64 v[16:17], v[22:23], 0, v[16:17]
	global_load_dwordx2 v[16:17], v[16:17], off sc0 sc1
	s_waitcnt vmcnt(0)
	global_atomic_cmpswap_x2 v[22:23], v55, v[16:19], s[26:27] offset:24 sc0 sc1
	s_waitcnt vmcnt(0)
	buffer_inv sc0 sc1
	v_cmp_ne_u64_e32 vcc, v[22:23], v[18:19]
	s_and_saveexec_b64 s[10:11], vcc
	s_cbranch_execz .LBB5_93
; %bb.90:                               ;   in Loop: Header=BB5_33 Depth=2
	s_mov_b64 s[12:13], 0
.LBB5_91:                               ;   Parent Loop BB5_2 Depth=1
                                        ;     Parent Loop BB5_33 Depth=2
                                        ; =>    This Inner Loop Header: Depth=3
	s_sleep 1
	global_load_dwordx2 v[16:17], v55, s[26:27] offset:40
	global_load_dwordx2 v[24:25], v55, s[26:27]
	v_mov_b64_e32 v[18:19], v[22:23]
	s_waitcnt vmcnt(1)
	v_and_b32_e32 v16, v16, v18
	v_and_b32_e32 v23, v17, v19
	s_waitcnt vmcnt(0)
	v_mad_u64_u32 v[16:17], s[14:15], v16, 24, v[24:25]
	v_mov_b32_e32 v22, v17
	v_mad_u64_u32 v[22:23], s[14:15], v23, 24, v[22:23]
	v_mov_b32_e32 v17, v22
	global_load_dwordx2 v[16:17], v[16:17], off sc0 sc1
	s_waitcnt vmcnt(0)
	global_atomic_cmpswap_x2 v[22:23], v55, v[16:19], s[26:27] offset:24 sc0 sc1
	s_waitcnt vmcnt(0)
	buffer_inv sc0 sc1
	v_cmp_eq_u64_e32 vcc, v[22:23], v[18:19]
	s_or_b64 s[12:13], vcc, s[12:13]
	s_andn2_b64 exec, exec, s[12:13]
	s_cbranch_execnz .LBB5_91
; %bb.92:                               ;   in Loop: Header=BB5_33 Depth=2
	s_or_b64 exec, exec, s[12:13]
.LBB5_93:                               ;   in Loop: Header=BB5_33 Depth=2
	s_or_b64 exec, exec, s[10:11]
.LBB5_94:                               ;   in Loop: Header=BB5_33 Depth=2
	s_or_b64 exec, exec, s[8:9]
	global_load_dwordx2 v[24:25], v55, s[26:27] offset:40
	global_load_dwordx4 v[16:19], v55, s[26:27]
	v_readfirstlane_b32 s8, v22
	v_readfirstlane_b32 s9, v23
	s_mov_b64 s[10:11], exec
	s_waitcnt vmcnt(1)
	v_readfirstlane_b32 s12, v24
	v_readfirstlane_b32 s13, v25
	s_and_b64 s[12:13], s[8:9], s[12:13]
	s_mul_i32 s14, s13, 24
	s_mul_hi_u32 s15, s12, 24
	s_add_i32 s15, s15, s14
	s_mul_i32 s14, s12, 24
	s_waitcnt vmcnt(0)
	v_lshl_add_u64 v[22:23], v[16:17], 0, s[14:15]
	s_and_saveexec_b64 s[14:15], s[0:1]
	s_cbranch_execz .LBB5_96
; %bb.95:                               ;   in Loop: Header=BB5_33 Depth=2
	v_mov_b64_e32 v[48:49], s[10:11]
	global_store_dwordx4 v[22:23], v[48:51], off offset:8
.LBB5_96:                               ;   in Loop: Header=BB5_33 Depth=2
	s_or_b64 exec, exec, s[14:15]
	s_lshl_b64 s[10:11], s[12:13], 12
	v_lshl_add_u64 v[18:19], v[18:19], 0, s[10:11]
	v_or_b32_e32 v25, v0, v20
	v_cmp_gt_u64_e64 vcc, s[4:5], 56
	s_lshl_b32 s10, s6, 2
	s_add_i32 s10, s10, 28
	v_cndmask_b32_e32 v0, v25, v0, vcc
	v_or_b32_e32 v24, 0, v1
	s_and_b32 s10, s10, 0x1e0
	v_and_b32_e32 v0, 0xffffff1f, v0
	v_cndmask_b32_e32 v1, v24, v1, vcc
	v_or_b32_e32 v0, s10, v0
	v_lshlrev_b32_e32 v54, 6, v46
	v_readfirstlane_b32 s10, v18
	v_readfirstlane_b32 s11, v19
	s_nop 4
	global_store_dwordx4 v54, v[0:3], s[10:11]
	global_store_dwordx4 v54, v[4:7], s[10:11] offset:16
	global_store_dwordx4 v54, v[8:11], s[10:11] offset:32
	;; [unrolled: 1-line block ×3, first 2 shown]
	s_and_saveexec_b64 s[10:11], s[0:1]
	s_cbranch_execz .LBB5_104
; %bb.97:                               ;   in Loop: Header=BB5_33 Depth=2
	global_load_dwordx2 v[8:9], v55, s[26:27] offset:32 sc0 sc1
	global_load_dwordx2 v[0:1], v55, s[26:27] offset:40
	v_mov_b32_e32 v6, s8
	v_mov_b32_e32 v7, s9
	s_waitcnt vmcnt(0)
	v_readfirstlane_b32 s12, v0
	v_readfirstlane_b32 s13, v1
	s_and_b64 s[12:13], s[12:13], s[8:9]
	s_mul_i32 s13, s13, 24
	s_mul_hi_u32 s14, s12, 24
	s_mul_i32 s12, s12, 24
	s_add_i32 s13, s14, s13
	v_lshl_add_u64 v[4:5], v[16:17], 0, s[12:13]
	global_store_dwordx2 v[4:5], v[8:9], off
	buffer_wbl2 sc0 sc1
	s_waitcnt vmcnt(0)
	global_atomic_cmpswap_x2 v[2:3], v55, v[6:9], s[26:27] offset:32 sc0 sc1
	s_waitcnt vmcnt(0)
	v_cmp_ne_u64_e32 vcc, v[2:3], v[8:9]
	s_and_saveexec_b64 s[12:13], vcc
	s_cbranch_execz .LBB5_100
; %bb.98:                               ;   in Loop: Header=BB5_33 Depth=2
	s_mov_b64 s[14:15], 0
.LBB5_99:                               ;   Parent Loop BB5_2 Depth=1
                                        ;     Parent Loop BB5_33 Depth=2
                                        ; =>    This Inner Loop Header: Depth=3
	s_sleep 1
	global_store_dwordx2 v[4:5], v[2:3], off
	v_mov_b32_e32 v0, s8
	v_mov_b32_e32 v1, s9
	buffer_wbl2 sc0 sc1
	s_waitcnt vmcnt(0)
	global_atomic_cmpswap_x2 v[0:1], v55, v[0:3], s[26:27] offset:32 sc0 sc1
	s_waitcnt vmcnt(0)
	v_cmp_eq_u64_e32 vcc, v[0:1], v[2:3]
	s_or_b64 s[14:15], vcc, s[14:15]
	v_mov_b64_e32 v[2:3], v[0:1]
	s_andn2_b64 exec, exec, s[14:15]
	s_cbranch_execnz .LBB5_99
.LBB5_100:                              ;   in Loop: Header=BB5_33 Depth=2
	s_or_b64 exec, exec, s[12:13]
	global_load_dwordx2 v[0:1], v55, s[26:27] offset:16
	s_mov_b64 s[14:15], exec
	v_mbcnt_lo_u32_b32 v2, s14, 0
	v_mbcnt_hi_u32_b32 v2, s15, v2
	v_cmp_eq_u32_e32 vcc, 0, v2
	s_and_saveexec_b64 s[12:13], vcc
	s_cbranch_execz .LBB5_102
; %bb.101:                              ;   in Loop: Header=BB5_33 Depth=2
	s_bcnt1_i32_b64 s14, s[14:15]
	v_mov_b32_e32 v2, s14
	v_mov_b32_e32 v3, v55
	buffer_wbl2 sc0 sc1
	s_waitcnt vmcnt(0)
	global_atomic_add_x2 v[0:1], v[2:3], off offset:8 sc1
.LBB5_102:                              ;   in Loop: Header=BB5_33 Depth=2
	s_or_b64 exec, exec, s[12:13]
	s_waitcnt vmcnt(0)
	global_load_dwordx2 v[2:3], v[0:1], off offset:16
	s_waitcnt vmcnt(0)
	v_cmp_eq_u64_e32 vcc, 0, v[2:3]
	s_cbranch_vccnz .LBB5_104
; %bb.103:                              ;   in Loop: Header=BB5_33 Depth=2
	global_load_dword v0, v[0:1], off offset:24
	v_mov_b32_e32 v1, v55
	buffer_wbl2 sc0 sc1
	s_waitcnt vmcnt(0)
	global_store_dwordx2 v[2:3], v[0:1], off sc0 sc1
	v_and_b32_e32 v0, 0xffffff, v0
	s_nop 0
	v_readfirstlane_b32 m0, v0
	s_sendmsg sendmsg(MSG_INTERRUPT)
.LBB5_104:                              ;   in Loop: Header=BB5_33 Depth=2
	s_or_b64 exec, exec, s[10:11]
	v_lshl_add_u64 v[0:1], v[18:19], 0, v[54:55]
	s_branch .LBB5_108
.LBB5_105:                              ;   in Loop: Header=BB5_108 Depth=3
	s_or_b64 exec, exec, s[10:11]
	v_readfirstlane_b32 s10, v2
	s_cmp_eq_u32 s10, 0
	s_cbranch_scc1 .LBB5_107
; %bb.106:                              ;   in Loop: Header=BB5_108 Depth=3
	s_sleep 1
	s_cbranch_execnz .LBB5_108
	s_branch .LBB5_110
.LBB5_107:                              ;   in Loop: Header=BB5_33 Depth=2
	s_branch .LBB5_110
.LBB5_108:                              ;   Parent Loop BB5_2 Depth=1
                                        ;     Parent Loop BB5_33 Depth=2
                                        ; =>    This Inner Loop Header: Depth=3
	v_mov_b32_e32 v2, 1
	s_and_saveexec_b64 s[10:11], s[0:1]
	s_cbranch_execz .LBB5_105
; %bb.109:                              ;   in Loop: Header=BB5_108 Depth=3
	global_load_dword v2, v[22:23], off offset:20 sc0 sc1
	s_waitcnt vmcnt(0)
	buffer_inv sc0 sc1
	v_and_b32_e32 v2, 1, v2
	s_branch .LBB5_105
.LBB5_110:                              ;   in Loop: Header=BB5_33 Depth=2
	global_load_dwordx4 v[0:3], v[0:1], off
	s_and_saveexec_b64 s[10:11], s[0:1]
	s_cbranch_execz .LBB5_32
; %bb.111:                              ;   in Loop: Header=BB5_33 Depth=2
	global_load_dwordx2 v[6:7], v55, s[26:27] offset:40
	global_load_dwordx2 v[8:9], v55, s[26:27] offset:24 sc0 sc1
	global_load_dwordx2 v[10:11], v55, s[26:27]
	s_waitcnt vmcnt(2)
	v_lshl_add_u64 v[2:3], v[6:7], 0, 1
	v_lshl_add_u64 v[12:13], v[2:3], 0, s[8:9]
	v_cmp_eq_u64_e32 vcc, 0, v[12:13]
	s_waitcnt vmcnt(1)
	v_mov_b32_e32 v4, v8
	v_cndmask_b32_e32 v3, v13, v3, vcc
	v_cndmask_b32_e32 v2, v12, v2, vcc
	v_and_b32_e32 v5, v3, v7
	v_and_b32_e32 v6, v2, v6
	v_mul_lo_u32 v5, v5, 24
	v_mul_hi_u32 v7, v6, 24
	v_mul_lo_u32 v6, v6, 24
	v_add_u32_e32 v7, v7, v5
	s_waitcnt vmcnt(0)
	v_lshl_add_u64 v[6:7], v[10:11], 0, v[6:7]
	global_store_dwordx2 v[6:7], v[8:9], off
	v_mov_b32_e32 v5, v9
	buffer_wbl2 sc0 sc1
	s_waitcnt vmcnt(0)
	global_atomic_cmpswap_x2 v[4:5], v55, v[2:5], s[26:27] offset:24 sc0 sc1
	s_waitcnt vmcnt(0)
	v_cmp_ne_u64_e32 vcc, v[4:5], v[8:9]
	s_and_b64 exec, exec, vcc
	s_cbranch_execz .LBB5_32
; %bb.112:                              ;   in Loop: Header=BB5_33 Depth=2
	s_mov_b64 s[0:1], 0
.LBB5_113:                              ;   Parent Loop BB5_2 Depth=1
                                        ;     Parent Loop BB5_33 Depth=2
                                        ; =>    This Inner Loop Header: Depth=3
	s_sleep 1
	global_store_dwordx2 v[6:7], v[4:5], off
	buffer_wbl2 sc0 sc1
	s_waitcnt vmcnt(0)
	global_atomic_cmpswap_x2 v[8:9], v55, v[2:5], s[26:27] offset:24 sc0 sc1
	s_waitcnt vmcnt(0)
	v_cmp_eq_u64_e32 vcc, v[8:9], v[4:5]
	s_or_b64 s[0:1], vcc, s[0:1]
	v_mov_b64_e32 v[4:5], v[8:9]
	s_andn2_b64 exec, exec, s[0:1]
	s_cbranch_execnz .LBB5_113
	s_branch .LBB5_32
.LBB5_114:                              ;   in Loop: Header=BB5_2 Depth=1
	s_branch .LBB5_143
.LBB5_115:                              ;   in Loop: Header=BB5_2 Depth=1
                                        ; implicit-def: $vgpr0_vgpr1
	s_cbranch_execz .LBB5_143
; %bb.116:                              ;   in Loop: Header=BB5_2 Depth=1
	v_readfirstlane_b32 s0, v46
	v_mov_b64_e32 v[4:5], 0
	s_nop 0
	v_cmp_eq_u32_e64 s[0:1], s0, v46
	s_and_saveexec_b64 s[2:3], s[0:1]
	s_cbranch_execz .LBB5_122
; %bb.117:                              ;   in Loop: Header=BB5_2 Depth=1
	global_load_dwordx2 v[2:3], v55, s[26:27] offset:24 sc0 sc1
	s_waitcnt vmcnt(0)
	buffer_inv sc0 sc1
	global_load_dwordx2 v[0:1], v55, s[26:27] offset:40
	global_load_dwordx2 v[4:5], v55, s[26:27]
	s_waitcnt vmcnt(1)
	v_and_b32_e32 v0, v0, v2
	v_and_b32_e32 v1, v1, v3
	v_mul_lo_u32 v1, v1, 24
	v_mul_hi_u32 v6, v0, 24
	v_add_u32_e32 v1, v6, v1
	v_mul_lo_u32 v0, v0, 24
	s_waitcnt vmcnt(0)
	v_lshl_add_u64 v[0:1], v[4:5], 0, v[0:1]
	global_load_dwordx2 v[0:1], v[0:1], off sc0 sc1
	s_waitcnt vmcnt(0)
	global_atomic_cmpswap_x2 v[4:5], v55, v[0:3], s[26:27] offset:24 sc0 sc1
	s_waitcnt vmcnt(0)
	buffer_inv sc0 sc1
	v_cmp_ne_u64_e32 vcc, v[4:5], v[2:3]
	s_and_saveexec_b64 s[4:5], vcc
	s_cbranch_execz .LBB5_121
; %bb.118:                              ;   in Loop: Header=BB5_2 Depth=1
	s_mov_b64 s[6:7], 0
.LBB5_119:                              ;   Parent Loop BB5_2 Depth=1
                                        ; =>  This Inner Loop Header: Depth=2
	s_sleep 1
	global_load_dwordx2 v[0:1], v55, s[26:27] offset:40
	global_load_dwordx2 v[6:7], v55, s[26:27]
	v_mov_b64_e32 v[2:3], v[4:5]
	s_waitcnt vmcnt(1)
	v_and_b32_e32 v0, v0, v2
	v_and_b32_e32 v5, v1, v3
	s_waitcnt vmcnt(0)
	v_mad_u64_u32 v[0:1], s[8:9], v0, 24, v[6:7]
	v_mov_b32_e32 v4, v1
	v_mad_u64_u32 v[4:5], s[8:9], v5, 24, v[4:5]
	v_mov_b32_e32 v1, v4
	global_load_dwordx2 v[0:1], v[0:1], off sc0 sc1
	s_waitcnt vmcnt(0)
	global_atomic_cmpswap_x2 v[4:5], v55, v[0:3], s[26:27] offset:24 sc0 sc1
	s_waitcnt vmcnt(0)
	buffer_inv sc0 sc1
	v_cmp_eq_u64_e32 vcc, v[4:5], v[2:3]
	s_or_b64 s[6:7], vcc, s[6:7]
	s_andn2_b64 exec, exec, s[6:7]
	s_cbranch_execnz .LBB5_119
; %bb.120:                              ;   in Loop: Header=BB5_2 Depth=1
	s_or_b64 exec, exec, s[6:7]
.LBB5_121:                              ;   in Loop: Header=BB5_2 Depth=1
	s_or_b64 exec, exec, s[4:5]
.LBB5_122:                              ;   in Loop: Header=BB5_2 Depth=1
	s_or_b64 exec, exec, s[2:3]
	global_load_dwordx2 v[6:7], v55, s[26:27] offset:40
	global_load_dwordx4 v[0:3], v55, s[26:27]
	v_readfirstlane_b32 s2, v4
	v_readfirstlane_b32 s3, v5
	s_mov_b64 s[4:5], exec
	s_waitcnt vmcnt(1)
	v_readfirstlane_b32 s6, v6
	v_readfirstlane_b32 s7, v7
	s_and_b64 s[6:7], s[2:3], s[6:7]
	s_mul_i32 s8, s7, 24
	s_mul_hi_u32 s9, s6, 24
	s_add_i32 s9, s9, s8
	s_mul_i32 s8, s6, 24
	s_waitcnt vmcnt(0)
	v_lshl_add_u64 v[4:5], v[0:1], 0, s[8:9]
	s_and_saveexec_b64 s[8:9], s[0:1]
	s_cbranch_execz .LBB5_124
; %bb.123:                              ;   in Loop: Header=BB5_2 Depth=1
	v_mov_b64_e32 v[48:49], s[4:5]
	global_store_dwordx4 v[4:5], v[48:51], off offset:8
.LBB5_124:                              ;   in Loop: Header=BB5_2 Depth=1
	s_or_b64 exec, exec, s[8:9]
	s_lshl_b64 s[4:5], s[6:7], 12
	v_lshl_add_u64 v[6:7], v[2:3], 0, s[4:5]
	v_mov_b64_e32 v[10:11], s[20:21]
	v_and_or_b32 v52, v52, s34, 32
	v_lshlrev_b32_e32 v8, 6, v46
	v_mov_b32_e32 v54, v55
	v_readfirstlane_b32 s4, v6
	v_readfirstlane_b32 s5, v7
	v_mov_b64_e32 v[12:13], s[22:23]
	s_nop 3
	global_store_dwordx4 v8, v[52:55], s[4:5]
	global_store_dwordx4 v8, v[10:13], s[4:5] offset:16
	global_store_dwordx4 v8, v[10:13], s[4:5] offset:32
	;; [unrolled: 1-line block ×3, first 2 shown]
	s_and_saveexec_b64 s[4:5], s[0:1]
	s_cbranch_execz .LBB5_132
; %bb.125:                              ;   in Loop: Header=BB5_2 Depth=1
	global_load_dwordx2 v[14:15], v55, s[26:27] offset:32 sc0 sc1
	global_load_dwordx2 v[2:3], v55, s[26:27] offset:40
	v_mov_b32_e32 v12, s2
	v_mov_b32_e32 v13, s3
	s_waitcnt vmcnt(0)
	v_readfirstlane_b32 s6, v2
	v_readfirstlane_b32 s7, v3
	s_and_b64 s[6:7], s[6:7], s[2:3]
	s_mul_i32 s7, s7, 24
	s_mul_hi_u32 s8, s6, 24
	s_mul_i32 s6, s6, 24
	s_add_i32 s7, s8, s7
	v_lshl_add_u64 v[10:11], v[0:1], 0, s[6:7]
	global_store_dwordx2 v[10:11], v[14:15], off
	buffer_wbl2 sc0 sc1
	s_waitcnt vmcnt(0)
	global_atomic_cmpswap_x2 v[2:3], v55, v[12:15], s[26:27] offset:32 sc0 sc1
	s_waitcnt vmcnt(0)
	v_cmp_ne_u64_e32 vcc, v[2:3], v[14:15]
	s_and_saveexec_b64 s[6:7], vcc
	s_cbranch_execz .LBB5_128
; %bb.126:                              ;   in Loop: Header=BB5_2 Depth=1
	s_mov_b64 s[8:9], 0
.LBB5_127:                              ;   Parent Loop BB5_2 Depth=1
                                        ; =>  This Inner Loop Header: Depth=2
	s_sleep 1
	global_store_dwordx2 v[10:11], v[2:3], off
	v_mov_b32_e32 v0, s2
	v_mov_b32_e32 v1, s3
	buffer_wbl2 sc0 sc1
	s_waitcnt vmcnt(0)
	global_atomic_cmpswap_x2 v[0:1], v55, v[0:3], s[26:27] offset:32 sc0 sc1
	s_waitcnt vmcnt(0)
	v_cmp_eq_u64_e32 vcc, v[0:1], v[2:3]
	s_or_b64 s[8:9], vcc, s[8:9]
	v_mov_b64_e32 v[2:3], v[0:1]
	s_andn2_b64 exec, exec, s[8:9]
	s_cbranch_execnz .LBB5_127
.LBB5_128:                              ;   in Loop: Header=BB5_2 Depth=1
	s_or_b64 exec, exec, s[6:7]
	global_load_dwordx2 v[0:1], v55, s[26:27] offset:16
	s_mov_b64 s[8:9], exec
	v_mbcnt_lo_u32_b32 v2, s8, 0
	v_mbcnt_hi_u32_b32 v2, s9, v2
	v_cmp_eq_u32_e32 vcc, 0, v2
	s_and_saveexec_b64 s[6:7], vcc
	s_cbranch_execz .LBB5_130
; %bb.129:                              ;   in Loop: Header=BB5_2 Depth=1
	s_bcnt1_i32_b64 s8, s[8:9]
	v_mov_b32_e32 v54, s8
	buffer_wbl2 sc0 sc1
	s_waitcnt vmcnt(0)
	global_atomic_add_x2 v[0:1], v[54:55], off offset:8 sc1
.LBB5_130:                              ;   in Loop: Header=BB5_2 Depth=1
	s_or_b64 exec, exec, s[6:7]
	s_waitcnt vmcnt(0)
	global_load_dwordx2 v[2:3], v[0:1], off offset:16
	s_waitcnt vmcnt(0)
	v_cmp_eq_u64_e32 vcc, 0, v[2:3]
	s_cbranch_vccnz .LBB5_132
; %bb.131:                              ;   in Loop: Header=BB5_2 Depth=1
	global_load_dword v54, v[0:1], off offset:24
	s_waitcnt vmcnt(0)
	v_and_b32_e32 v0, 0xffffff, v54
	s_nop 0
	v_readfirstlane_b32 m0, v0
	buffer_wbl2 sc0 sc1
	global_store_dwordx2 v[2:3], v[54:55], off sc0 sc1
	s_sendmsg sendmsg(MSG_INTERRUPT)
.LBB5_132:                              ;   in Loop: Header=BB5_2 Depth=1
	s_or_b64 exec, exec, s[4:5]
	v_mov_b32_e32 v9, v55
	v_lshl_add_u64 v[0:1], v[6:7], 0, v[8:9]
	s_branch .LBB5_136
.LBB5_133:                              ;   in Loop: Header=BB5_136 Depth=2
	s_or_b64 exec, exec, s[4:5]
	v_readfirstlane_b32 s4, v2
	s_cmp_eq_u32 s4, 0
	s_cbranch_scc1 .LBB5_135
; %bb.134:                              ;   in Loop: Header=BB5_136 Depth=2
	s_sleep 1
	s_cbranch_execnz .LBB5_136
	s_branch .LBB5_138
.LBB5_135:                              ;   in Loop: Header=BB5_2 Depth=1
	s_branch .LBB5_138
.LBB5_136:                              ;   Parent Loop BB5_2 Depth=1
                                        ; =>  This Inner Loop Header: Depth=2
	v_mov_b32_e32 v2, 1
	s_and_saveexec_b64 s[4:5], s[0:1]
	s_cbranch_execz .LBB5_133
; %bb.137:                              ;   in Loop: Header=BB5_136 Depth=2
	global_load_dword v2, v[4:5], off offset:20 sc0 sc1
	s_waitcnt vmcnt(0)
	buffer_inv sc0 sc1
	v_and_b32_e32 v2, 1, v2
	s_branch .LBB5_133
.LBB5_138:                              ;   in Loop: Header=BB5_2 Depth=1
	global_load_dwordx2 v[0:1], v[0:1], off
	s_and_saveexec_b64 s[4:5], s[0:1]
	s_cbranch_execz .LBB5_142
; %bb.139:                              ;   in Loop: Header=BB5_2 Depth=1
	global_load_dwordx2 v[6:7], v55, s[26:27] offset:40
	global_load_dwordx2 v[8:9], v55, s[26:27] offset:24 sc0 sc1
	global_load_dwordx2 v[10:11], v55, s[26:27]
	s_waitcnt vmcnt(2)
	v_lshl_add_u64 v[2:3], v[6:7], 0, 1
	v_lshl_add_u64 v[12:13], v[2:3], 0, s[2:3]
	v_cmp_eq_u64_e32 vcc, 0, v[12:13]
	s_waitcnt vmcnt(1)
	v_mov_b32_e32 v4, v8
	v_cndmask_b32_e32 v3, v13, v3, vcc
	v_cndmask_b32_e32 v2, v12, v2, vcc
	v_and_b32_e32 v5, v3, v7
	v_and_b32_e32 v6, v2, v6
	v_mul_lo_u32 v5, v5, 24
	v_mul_hi_u32 v7, v6, 24
	v_mul_lo_u32 v6, v6, 24
	v_add_u32_e32 v7, v7, v5
	s_waitcnt vmcnt(0)
	v_lshl_add_u64 v[6:7], v[10:11], 0, v[6:7]
	global_store_dwordx2 v[6:7], v[8:9], off
	v_mov_b32_e32 v5, v9
	buffer_wbl2 sc0 sc1
	s_waitcnt vmcnt(0)
	global_atomic_cmpswap_x2 v[4:5], v55, v[2:5], s[26:27] offset:24 sc0 sc1
	s_waitcnt vmcnt(0)
	v_cmp_ne_u64_e32 vcc, v[4:5], v[8:9]
	s_and_b64 exec, exec, vcc
	s_cbranch_execz .LBB5_142
; %bb.140:                              ;   in Loop: Header=BB5_2 Depth=1
	s_mov_b64 s[0:1], 0
.LBB5_141:                              ;   Parent Loop BB5_2 Depth=1
                                        ; =>  This Inner Loop Header: Depth=2
	s_sleep 1
	global_store_dwordx2 v[6:7], v[4:5], off
	buffer_wbl2 sc0 sc1
	s_waitcnt vmcnt(0)
	global_atomic_cmpswap_x2 v[8:9], v55, v[2:5], s[26:27] offset:24 sc0 sc1
	s_waitcnt vmcnt(0)
	v_cmp_eq_u64_e32 vcc, v[8:9], v[4:5]
	s_or_b64 s[0:1], vcc, s[0:1]
	v_mov_b64_e32 v[4:5], v[8:9]
	s_andn2_b64 exec, exec, s[0:1]
	s_cbranch_execnz .LBB5_141
.LBB5_142:                              ;   in Loop: Header=BB5_2 Depth=1
	s_or_b64 exec, exec, s[4:5]
.LBB5_143:                              ;   in Loop: Header=BB5_2 Depth=1
	v_readfirstlane_b32 s0, v46
	s_waitcnt vmcnt(0)
	v_mov_b64_e32 v[2:3], 0
	v_cmp_eq_u32_e64 s[0:1], s0, v46
	s_and_saveexec_b64 s[2:3], s[0:1]
	s_cbranch_execz .LBB5_149
; %bb.144:                              ;   in Loop: Header=BB5_2 Depth=1
	global_load_dwordx2 v[4:5], v55, s[26:27] offset:24 sc0 sc1
	s_waitcnt vmcnt(0)
	buffer_inv sc0 sc1
	global_load_dwordx2 v[2:3], v55, s[26:27] offset:40
	global_load_dwordx2 v[6:7], v55, s[26:27]
	s_waitcnt vmcnt(1)
	v_and_b32_e32 v2, v2, v4
	v_and_b32_e32 v3, v3, v5
	v_mul_lo_u32 v3, v3, 24
	v_mul_hi_u32 v8, v2, 24
	v_add_u32_e32 v3, v8, v3
	v_mul_lo_u32 v2, v2, 24
	s_waitcnt vmcnt(0)
	v_lshl_add_u64 v[2:3], v[6:7], 0, v[2:3]
	global_load_dwordx2 v[2:3], v[2:3], off sc0 sc1
	s_waitcnt vmcnt(0)
	global_atomic_cmpswap_x2 v[2:3], v55, v[2:5], s[26:27] offset:24 sc0 sc1
	s_waitcnt vmcnt(0)
	buffer_inv sc0 sc1
	v_cmp_ne_u64_e32 vcc, v[2:3], v[4:5]
	s_and_saveexec_b64 s[4:5], vcc
	s_cbranch_execz .LBB5_148
; %bb.145:                              ;   in Loop: Header=BB5_2 Depth=1
	s_mov_b64 s[6:7], 0
.LBB5_146:                              ;   Parent Loop BB5_2 Depth=1
                                        ; =>  This Inner Loop Header: Depth=2
	s_sleep 1
	global_load_dwordx2 v[6:7], v55, s[26:27] offset:40
	global_load_dwordx2 v[8:9], v55, s[26:27]
	v_mov_b64_e32 v[4:5], v[2:3]
	s_waitcnt vmcnt(1)
	v_and_b32_e32 v2, v6, v4
	s_waitcnt vmcnt(0)
	v_mad_u64_u32 v[2:3], s[8:9], v2, 24, v[8:9]
	v_and_b32_e32 v7, v7, v5
	v_mov_b32_e32 v6, v3
	v_mad_u64_u32 v[6:7], s[8:9], v7, 24, v[6:7]
	v_mov_b32_e32 v3, v6
	global_load_dwordx2 v[2:3], v[2:3], off sc0 sc1
	s_waitcnt vmcnt(0)
	global_atomic_cmpswap_x2 v[2:3], v55, v[2:5], s[26:27] offset:24 sc0 sc1
	s_waitcnt vmcnt(0)
	buffer_inv sc0 sc1
	v_cmp_eq_u64_e32 vcc, v[2:3], v[4:5]
	s_or_b64 s[6:7], vcc, s[6:7]
	s_andn2_b64 exec, exec, s[6:7]
	s_cbranch_execnz .LBB5_146
; %bb.147:                              ;   in Loop: Header=BB5_2 Depth=1
	s_or_b64 exec, exec, s[6:7]
.LBB5_148:                              ;   in Loop: Header=BB5_2 Depth=1
	s_or_b64 exec, exec, s[4:5]
.LBB5_149:                              ;   in Loop: Header=BB5_2 Depth=1
	s_or_b64 exec, exec, s[2:3]
	global_load_dwordx2 v[8:9], v55, s[26:27] offset:40
	global_load_dwordx4 v[4:7], v55, s[26:27]
	v_readfirstlane_b32 s2, v2
	v_readfirstlane_b32 s3, v3
	s_mov_b64 s[4:5], exec
	s_waitcnt vmcnt(1)
	v_readfirstlane_b32 s6, v8
	v_readfirstlane_b32 s7, v9
	s_and_b64 s[6:7], s[2:3], s[6:7]
	s_mul_i32 s8, s7, 24
	s_mul_hi_u32 s9, s6, 24
	s_add_i32 s9, s9, s8
	s_mul_i32 s8, s6, 24
	s_waitcnt vmcnt(0)
	v_lshl_add_u64 v[8:9], v[4:5], 0, s[8:9]
	s_and_saveexec_b64 s[8:9], s[0:1]
	s_cbranch_execz .LBB5_151
; %bb.150:                              ;   in Loop: Header=BB5_2 Depth=1
	v_mov_b64_e32 v[48:49], s[4:5]
	global_store_dwordx4 v[8:9], v[48:51], off offset:8
.LBB5_151:                              ;   in Loop: Header=BB5_2 Depth=1
	s_or_b64 exec, exec, s[8:9]
	s_lshl_b64 s[4:5], s[6:7], 12
	v_lshl_add_u64 v[6:7], v[6:7], 0, s[4:5]
	v_and_or_b32 v0, v0, s35, 34
	v_ashrrev_i32_e32 v3, 31, v21
	v_lshlrev_b32_e32 v10, 6, v46
	v_mov_b32_e32 v2, v21
	v_readfirstlane_b32 s4, v6
	v_readfirstlane_b32 s5, v7
	s_nop 4
	global_store_dwordx4 v10, v[0:3], s[4:5]
	s_nop 1
	v_mov_b64_e32 v[0:1], s[20:21]
	v_mov_b64_e32 v[2:3], s[22:23]
	global_store_dwordx4 v10, v[0:3], s[4:5] offset:16
	global_store_dwordx4 v10, v[0:3], s[4:5] offset:32
	;; [unrolled: 1-line block ×3, first 2 shown]
	s_and_saveexec_b64 s[4:5], s[0:1]
	s_cbranch_execz .LBB5_159
; %bb.152:                              ;   in Loop: Header=BB5_2 Depth=1
	global_load_dwordx2 v[12:13], v55, s[26:27] offset:32 sc0 sc1
	global_load_dwordx2 v[0:1], v55, s[26:27] offset:40
	v_mov_b32_e32 v10, s2
	v_mov_b32_e32 v11, s3
	s_waitcnt vmcnt(0)
	v_readfirstlane_b32 s6, v0
	v_readfirstlane_b32 s7, v1
	s_and_b64 s[6:7], s[6:7], s[2:3]
	s_mul_i32 s7, s7, 24
	s_mul_hi_u32 s8, s6, 24
	s_mul_i32 s6, s6, 24
	s_add_i32 s7, s8, s7
	v_lshl_add_u64 v[4:5], v[4:5], 0, s[6:7]
	global_store_dwordx2 v[4:5], v[12:13], off
	buffer_wbl2 sc0 sc1
	s_waitcnt vmcnt(0)
	global_atomic_cmpswap_x2 v[2:3], v55, v[10:13], s[26:27] offset:32 sc0 sc1
	s_waitcnt vmcnt(0)
	v_cmp_ne_u64_e32 vcc, v[2:3], v[12:13]
	s_and_saveexec_b64 s[6:7], vcc
	s_cbranch_execz .LBB5_155
; %bb.153:                              ;   in Loop: Header=BB5_2 Depth=1
	s_mov_b64 s[8:9], 0
.LBB5_154:                              ;   Parent Loop BB5_2 Depth=1
                                        ; =>  This Inner Loop Header: Depth=2
	s_sleep 1
	global_store_dwordx2 v[4:5], v[2:3], off
	v_mov_b32_e32 v0, s2
	v_mov_b32_e32 v1, s3
	buffer_wbl2 sc0 sc1
	s_waitcnt vmcnt(0)
	global_atomic_cmpswap_x2 v[0:1], v55, v[0:3], s[26:27] offset:32 sc0 sc1
	s_waitcnt vmcnt(0)
	v_cmp_eq_u64_e32 vcc, v[0:1], v[2:3]
	s_or_b64 s[8:9], vcc, s[8:9]
	v_mov_b64_e32 v[2:3], v[0:1]
	s_andn2_b64 exec, exec, s[8:9]
	s_cbranch_execnz .LBB5_154
.LBB5_155:                              ;   in Loop: Header=BB5_2 Depth=1
	s_or_b64 exec, exec, s[6:7]
	global_load_dwordx2 v[0:1], v55, s[26:27] offset:16
	s_mov_b64 s[8:9], exec
	v_mbcnt_lo_u32_b32 v2, s8, 0
	v_mbcnt_hi_u32_b32 v2, s9, v2
	v_cmp_eq_u32_e32 vcc, 0, v2
	s_and_saveexec_b64 s[6:7], vcc
	s_cbranch_execz .LBB5_157
; %bb.156:                              ;   in Loop: Header=BB5_2 Depth=1
	s_bcnt1_i32_b64 s8, s[8:9]
	v_mov_b32_e32 v54, s8
	buffer_wbl2 sc0 sc1
	s_waitcnt vmcnt(0)
	global_atomic_add_x2 v[0:1], v[54:55], off offset:8 sc1
.LBB5_157:                              ;   in Loop: Header=BB5_2 Depth=1
	s_or_b64 exec, exec, s[6:7]
	s_waitcnt vmcnt(0)
	global_load_dwordx2 v[2:3], v[0:1], off offset:16
	s_waitcnt vmcnt(0)
	v_cmp_eq_u64_e32 vcc, 0, v[2:3]
	s_cbranch_vccnz .LBB5_159
; %bb.158:                              ;   in Loop: Header=BB5_2 Depth=1
	global_load_dword v54, v[0:1], off offset:24
	s_waitcnt vmcnt(0)
	v_and_b32_e32 v0, 0xffffff, v54
	s_nop 0
	v_readfirstlane_b32 m0, v0
	buffer_wbl2 sc0 sc1
	global_store_dwordx2 v[2:3], v[54:55], off sc0 sc1
	s_sendmsg sendmsg(MSG_INTERRUPT)
.LBB5_159:                              ;   in Loop: Header=BB5_2 Depth=1
	s_or_b64 exec, exec, s[4:5]
	s_branch .LBB5_163
.LBB5_160:                              ;   in Loop: Header=BB5_163 Depth=2
	s_or_b64 exec, exec, s[4:5]
	v_readfirstlane_b32 s4, v0
	s_cmp_eq_u32 s4, 0
	s_cbranch_scc1 .LBB5_162
; %bb.161:                              ;   in Loop: Header=BB5_163 Depth=2
	s_sleep 1
	s_cbranch_execnz .LBB5_163
	s_branch .LBB5_165
.LBB5_162:                              ;   in Loop: Header=BB5_2 Depth=1
	s_branch .LBB5_165
.LBB5_163:                              ;   Parent Loop BB5_2 Depth=1
                                        ; =>  This Inner Loop Header: Depth=2
	v_mov_b32_e32 v0, 1
	s_and_saveexec_b64 s[4:5], s[0:1]
	s_cbranch_execz .LBB5_160
; %bb.164:                              ;   in Loop: Header=BB5_163 Depth=2
	global_load_dword v0, v[8:9], off offset:20 sc0 sc1
	s_waitcnt vmcnt(0)
	buffer_inv sc0 sc1
	v_and_b32_e32 v0, 1, v0
	s_branch .LBB5_160
.LBB5_165:                              ;   in Loop: Header=BB5_2 Depth=1
	s_and_saveexec_b64 s[4:5], s[0:1]
	s_cbranch_execz .LBB5_1
; %bb.166:                              ;   in Loop: Header=BB5_2 Depth=1
	global_load_dwordx2 v[4:5], v55, s[26:27] offset:40
	global_load_dwordx2 v[6:7], v55, s[26:27] offset:24 sc0 sc1
	global_load_dwordx2 v[8:9], v55, s[26:27]
	s_waitcnt vmcnt(2)
	v_lshl_add_u64 v[0:1], v[4:5], 0, 1
	v_lshl_add_u64 v[10:11], v[0:1], 0, s[2:3]
	v_cmp_eq_u64_e32 vcc, 0, v[10:11]
	s_waitcnt vmcnt(1)
	v_mov_b32_e32 v2, v6
	v_cndmask_b32_e32 v1, v11, v1, vcc
	v_cndmask_b32_e32 v0, v10, v0, vcc
	v_and_b32_e32 v3, v1, v5
	v_and_b32_e32 v4, v0, v4
	v_mul_lo_u32 v3, v3, 24
	v_mul_hi_u32 v5, v4, 24
	v_mul_lo_u32 v4, v4, 24
	v_add_u32_e32 v5, v5, v3
	s_waitcnt vmcnt(0)
	v_lshl_add_u64 v[4:5], v[8:9], 0, v[4:5]
	global_store_dwordx2 v[4:5], v[6:7], off
	v_mov_b32_e32 v3, v7
	buffer_wbl2 sc0 sc1
	s_waitcnt vmcnt(0)
	global_atomic_cmpswap_x2 v[2:3], v55, v[0:3], s[26:27] offset:24 sc0 sc1
	s_waitcnt vmcnt(0)
	v_cmp_ne_u64_e32 vcc, v[2:3], v[6:7]
	s_and_b64 exec, exec, vcc
	s_cbranch_execz .LBB5_1
; %bb.167:                              ;   in Loop: Header=BB5_2 Depth=1
	s_mov_b64 s[0:1], 0
.LBB5_168:                              ;   Parent Loop BB5_2 Depth=1
                                        ; =>  This Inner Loop Header: Depth=2
	s_sleep 1
	global_store_dwordx2 v[4:5], v[2:3], off
	buffer_wbl2 sc0 sc1
	s_waitcnt vmcnt(0)
	global_atomic_cmpswap_x2 v[6:7], v55, v[0:3], s[26:27] offset:24 sc0 sc1
	s_waitcnt vmcnt(0)
	v_cmp_eq_u64_e32 vcc, v[6:7], v[2:3]
	s_or_b64 s[0:1], vcc, s[0:1]
	v_mov_b64_e32 v[2:3], v[6:7]
	s_andn2_b64 exec, exec, s[0:1]
	s_cbranch_execnz .LBB5_168
	s_branch .LBB5_1
.LBB5_169:
	s_getpc_b64 s[20:21]
	s_add_u32 s20, s20, .str.8@rel32@lo+4
	s_addc_u32 s21, s21, .str.8@rel32@hi+12
	s_mov_b64 s[8:9], s[18:19]
	v_mov_b32_e32 v0, s20
	v_mov_b32_e32 v1, s21
	s_getpc_b64 s[22:23]
	s_add_u32 s22, s22, _ZNK8migraphx13basic_printerIZNS_4coutEvEUlT_E_ElsEPKc@rel32@lo+4
	s_addc_u32 s23, s23, _ZNK8migraphx13basic_printerIZNS_4coutEvEUlT_E_ElsEPKc@rel32@hi+12
	s_swappc_b64 s[30:31], s[22:23]
	s_getpc_b64 s[0:1]
	s_add_u32 s0, s0, .str.10@rel32@lo+4
	s_addc_u32 s1, s1, .str.10@rel32@hi+12
	s_mov_b64 s[8:9], s[18:19]
	v_mov_b32_e32 v0, s0
	v_mov_b32_e32 v1, s1
	s_swappc_b64 s[30:31], s[22:23]
	s_mov_b64 s[8:9], s[18:19]
	v_mov_b32_e32 v0, s20
	v_mov_b32_e32 v1, s21
	s_swappc_b64 s[30:31], s[22:23]
	flat_load_dwordx2 v[58:59], v[38:39] offset:8
	s_mov_b32 s29, 0
	s_mov_b32 s22, s29
	;; [unrolled: 1-line block ×3, first 2 shown]
	v_mov_b32_e32 v55, 0
	s_mov_b32 s20, s29
	s_mov_b32 s21, s29
	v_mov_b64_e32 v[44:45], s[22:23]
	v_mov_b32_e32 v50, 2
	v_mov_b32_e32 v60, v56
	;; [unrolled: 1-line block ×7, first 2 shown]
	v_mov_b64_e32 v[42:43], s[20:21]
	s_movk_i32 s34, 0xff1f
	s_movk_i32 s35, 0xff1d
	v_mov_b32_e32 v51, 1
	s_mov_b32 s28, s29
	s_branch .LBB5_171
.LBB5_170:                              ;   in Loop: Header=BB5_171 Depth=1
	s_or_b64 exec, exec, s[4:5]
	s_add_i32 s28, s28, 1
	s_cmp_lg_u32 s28, 8
	s_cbranch_scc0 .LBB5_338
.LBB5_171:                              ; =>This Loop Header: Depth=1
                                        ;     Child Loop BB5_176 Depth 2
                                        ;     Child Loop BB5_184 Depth 2
	;; [unrolled: 1-line block ×9, first 2 shown]
                                        ;       Child Loop BB5_205 Depth 3
                                        ;       Child Loop BB5_212 Depth 3
	;; [unrolled: 1-line block ×11, first 2 shown]
                                        ;     Child Loop BB5_315 Depth 2
                                        ;     Child Loop BB5_323 Depth 2
	;; [unrolled: 1-line block ×4, first 2 shown]
	s_cmp_eq_u32 s28, 0
	s_cbranch_scc1 .LBB5_173
; %bb.172:                              ;   in Loop: Header=BB5_171 Depth=1
	s_getpc_b64 s[0:1]
	s_add_u32 s0, s0, .str.11@rel32@lo+4
	s_addc_u32 s1, s1, .str.11@rel32@hi+12
	s_mov_b64 s[8:9], s[18:19]
	v_mov_b32_e32 v0, s0
	v_mov_b32_e32 v1, s1
	s_getpc_b64 s[2:3]
	s_add_u32 s2, s2, _ZNK8migraphx13basic_printerIZNS_4coutEvEUlT_E_ElsEPKc@rel32@lo+4
	s_addc_u32 s3, s3, _ZNK8migraphx13basic_printerIZNS_4coutEvEUlT_E_ElsEPKc@rel32@hi+12
	s_swappc_b64 s[30:31], s[2:3]
.LBB5_173:                              ;   in Loop: Header=BB5_171 Depth=1
	s_waitcnt vmcnt(0) lgkmcnt(0)
	v_lshl_add_u64 v[0:1], s[28:29], 2, v[58:59]
	flat_load_dword v21, v[0:1]
	v_readfirstlane_b32 s0, v46
	v_mov_b64_e32 v[4:5], 0
	s_nop 0
	v_cmp_eq_u32_e64 s[0:1], s0, v46
	s_and_saveexec_b64 s[2:3], s[0:1]
	s_cbranch_execz .LBB5_179
; %bb.174:                              ;   in Loop: Header=BB5_171 Depth=1
	global_load_dwordx2 v[2:3], v55, s[26:27] offset:24 sc0 sc1
	s_waitcnt vmcnt(0)
	buffer_inv sc0 sc1
	global_load_dwordx2 v[0:1], v55, s[26:27] offset:40
	global_load_dwordx2 v[4:5], v55, s[26:27]
	s_waitcnt vmcnt(0)
	v_and_b32_e32 v0, v0, v2
	v_and_b32_e32 v1, v1, v3
	v_mul_lo_u32 v1, v1, 24
	v_mul_hi_u32 v6, v0, 24
	v_add_u32_e32 v1, v6, v1
	v_mul_lo_u32 v0, v0, 24
	v_lshl_add_u64 v[0:1], v[4:5], 0, v[0:1]
	global_load_dwordx2 v[0:1], v[0:1], off sc0 sc1
	s_waitcnt vmcnt(0)
	global_atomic_cmpswap_x2 v[4:5], v55, v[0:3], s[26:27] offset:24 sc0 sc1
	s_waitcnt vmcnt(0)
	buffer_inv sc0 sc1
	v_cmp_ne_u64_e32 vcc, v[4:5], v[2:3]
	s_and_saveexec_b64 s[4:5], vcc
	s_cbranch_execz .LBB5_178
; %bb.175:                              ;   in Loop: Header=BB5_171 Depth=1
	s_mov_b64 s[6:7], 0
.LBB5_176:                              ;   Parent Loop BB5_171 Depth=1
                                        ; =>  This Inner Loop Header: Depth=2
	s_sleep 1
	global_load_dwordx2 v[0:1], v55, s[26:27] offset:40
	global_load_dwordx2 v[6:7], v55, s[26:27]
	v_mov_b64_e32 v[2:3], v[4:5]
	s_waitcnt vmcnt(0)
	v_and_b32_e32 v0, v0, v2
	v_and_b32_e32 v5, v1, v3
	v_mad_u64_u32 v[0:1], s[8:9], v0, 24, v[6:7]
	v_mov_b32_e32 v4, v1
	v_mad_u64_u32 v[4:5], s[8:9], v5, 24, v[4:5]
	v_mov_b32_e32 v1, v4
	global_load_dwordx2 v[0:1], v[0:1], off sc0 sc1
	s_waitcnt vmcnt(0)
	global_atomic_cmpswap_x2 v[4:5], v55, v[0:3], s[26:27] offset:24 sc0 sc1
	s_waitcnt vmcnt(0)
	buffer_inv sc0 sc1
	v_cmp_eq_u64_e32 vcc, v[4:5], v[2:3]
	s_or_b64 s[6:7], vcc, s[6:7]
	s_andn2_b64 exec, exec, s[6:7]
	s_cbranch_execnz .LBB5_176
; %bb.177:                              ;   in Loop: Header=BB5_171 Depth=1
	s_or_b64 exec, exec, s[6:7]
.LBB5_178:                              ;   in Loop: Header=BB5_171 Depth=1
	s_or_b64 exec, exec, s[4:5]
.LBB5_179:                              ;   in Loop: Header=BB5_171 Depth=1
	s_or_b64 exec, exec, s[2:3]
	global_load_dwordx2 v[6:7], v55, s[26:27] offset:40
	global_load_dwordx4 v[0:3], v55, s[26:27]
	v_readfirstlane_b32 s2, v4
	v_readfirstlane_b32 s3, v5
	s_mov_b64 s[4:5], exec
	s_waitcnt vmcnt(0)
	v_readfirstlane_b32 s6, v6
	v_readfirstlane_b32 s7, v7
	s_and_b64 s[6:7], s[2:3], s[6:7]
	s_mul_i32 s8, s7, 24
	s_mul_hi_u32 s9, s6, 24
	s_add_i32 s9, s9, s8
	s_mul_i32 s8, s6, 24
	v_lshl_add_u64 v[4:5], v[0:1], 0, s[8:9]
	s_and_saveexec_b64 s[8:9], s[0:1]
	s_cbranch_execz .LBB5_181
; %bb.180:                              ;   in Loop: Header=BB5_171 Depth=1
	v_mov_b64_e32 v[48:49], s[4:5]
	global_store_dwordx4 v[4:5], v[48:51], off offset:8
.LBB5_181:                              ;   in Loop: Header=BB5_171 Depth=1
	s_or_b64 exec, exec, s[8:9]
	s_lshl_b64 s[4:5], s[6:7], 12
	v_lshl_add_u64 v[6:7], v[2:3], 0, s[4:5]
	v_mov_b64_e32 v[8:9], s[20:21]
	v_readfirstlane_b32 s4, v6
	v_readfirstlane_b32 s5, v7
	v_mov_b64_e32 v[10:11], s[22:23]
	s_nop 3
	global_store_dwordx4 v56, v[38:41], s[4:5]
	global_store_dwordx4 v56, v[42:45], s[4:5] offset:16
	global_store_dwordx4 v56, v[8:11], s[4:5] offset:32
	;; [unrolled: 1-line block ×3, first 2 shown]
	s_and_saveexec_b64 s[4:5], s[0:1]
	s_cbranch_execz .LBB5_189
; %bb.182:                              ;   in Loop: Header=BB5_171 Depth=1
	global_load_dwordx2 v[12:13], v55, s[26:27] offset:32 sc0 sc1
	global_load_dwordx2 v[2:3], v55, s[26:27] offset:40
	v_mov_b32_e32 v10, s2
	v_mov_b32_e32 v11, s3
	s_waitcnt vmcnt(0)
	v_readfirstlane_b32 s6, v2
	v_readfirstlane_b32 s7, v3
	s_and_b64 s[6:7], s[6:7], s[2:3]
	s_mul_i32 s7, s7, 24
	s_mul_hi_u32 s8, s6, 24
	s_mul_i32 s6, s6, 24
	s_add_i32 s7, s8, s7
	v_lshl_add_u64 v[8:9], v[0:1], 0, s[6:7]
	global_store_dwordx2 v[8:9], v[12:13], off
	buffer_wbl2 sc0 sc1
	s_waitcnt vmcnt(0)
	global_atomic_cmpswap_x2 v[2:3], v55, v[10:13], s[26:27] offset:32 sc0 sc1
	s_waitcnt vmcnt(0)
	v_cmp_ne_u64_e32 vcc, v[2:3], v[12:13]
	s_and_saveexec_b64 s[6:7], vcc
	s_cbranch_execz .LBB5_185
; %bb.183:                              ;   in Loop: Header=BB5_171 Depth=1
	s_mov_b64 s[8:9], 0
.LBB5_184:                              ;   Parent Loop BB5_171 Depth=1
                                        ; =>  This Inner Loop Header: Depth=2
	s_sleep 1
	global_store_dwordx2 v[8:9], v[2:3], off
	v_mov_b32_e32 v0, s2
	v_mov_b32_e32 v1, s3
	buffer_wbl2 sc0 sc1
	s_waitcnt vmcnt(0)
	global_atomic_cmpswap_x2 v[0:1], v55, v[0:3], s[26:27] offset:32 sc0 sc1
	s_waitcnt vmcnt(0)
	v_cmp_eq_u64_e32 vcc, v[0:1], v[2:3]
	s_or_b64 s[8:9], vcc, s[8:9]
	v_mov_b64_e32 v[2:3], v[0:1]
	s_andn2_b64 exec, exec, s[8:9]
	s_cbranch_execnz .LBB5_184
.LBB5_185:                              ;   in Loop: Header=BB5_171 Depth=1
	s_or_b64 exec, exec, s[6:7]
	global_load_dwordx2 v[0:1], v55, s[26:27] offset:16
	s_mov_b64 s[8:9], exec
	v_mbcnt_lo_u32_b32 v2, s8, 0
	v_mbcnt_hi_u32_b32 v2, s9, v2
	v_cmp_eq_u32_e32 vcc, 0, v2
	s_and_saveexec_b64 s[6:7], vcc
	s_cbranch_execz .LBB5_187
; %bb.186:                              ;   in Loop: Header=BB5_171 Depth=1
	s_bcnt1_i32_b64 s8, s[8:9]
	v_mov_b32_e32 v54, s8
	buffer_wbl2 sc0 sc1
	s_waitcnt vmcnt(0)
	global_atomic_add_x2 v[0:1], v[54:55], off offset:8 sc1
.LBB5_187:                              ;   in Loop: Header=BB5_171 Depth=1
	s_or_b64 exec, exec, s[6:7]
	s_waitcnt vmcnt(0)
	global_load_dwordx2 v[2:3], v[0:1], off offset:16
	s_waitcnt vmcnt(0)
	v_cmp_eq_u64_e32 vcc, 0, v[2:3]
	s_cbranch_vccnz .LBB5_189
; %bb.188:                              ;   in Loop: Header=BB5_171 Depth=1
	global_load_dword v54, v[0:1], off offset:24
	s_waitcnt vmcnt(0)
	v_and_b32_e32 v0, 0xffffff, v54
	s_nop 0
	v_readfirstlane_b32 m0, v0
	buffer_wbl2 sc0 sc1
	global_store_dwordx2 v[2:3], v[54:55], off sc0 sc1
	s_sendmsg sendmsg(MSG_INTERRUPT)
.LBB5_189:                              ;   in Loop: Header=BB5_171 Depth=1
	s_or_b64 exec, exec, s[4:5]
	v_lshl_add_u64 v[0:1], v[6:7], 0, v[60:61]
	s_branch .LBB5_193
.LBB5_190:                              ;   in Loop: Header=BB5_193 Depth=2
	s_or_b64 exec, exec, s[4:5]
	v_readfirstlane_b32 s4, v2
	s_cmp_eq_u32 s4, 0
	s_cbranch_scc1 .LBB5_192
; %bb.191:                              ;   in Loop: Header=BB5_193 Depth=2
	s_sleep 1
	s_cbranch_execnz .LBB5_193
	s_branch .LBB5_195
.LBB5_192:                              ;   in Loop: Header=BB5_171 Depth=1
	s_branch .LBB5_195
.LBB5_193:                              ;   Parent Loop BB5_171 Depth=1
                                        ; =>  This Inner Loop Header: Depth=2
	v_mov_b32_e32 v2, 1
	s_and_saveexec_b64 s[4:5], s[0:1]
	s_cbranch_execz .LBB5_190
; %bb.194:                              ;   in Loop: Header=BB5_193 Depth=2
	global_load_dword v2, v[4:5], off offset:20 sc0 sc1
	s_waitcnt vmcnt(0)
	buffer_inv sc0 sc1
	v_and_b32_e32 v2, 1, v2
	s_branch .LBB5_190
.LBB5_195:                              ;   in Loop: Header=BB5_171 Depth=1
	global_load_dwordx2 v[52:53], v[0:1], off
	s_and_saveexec_b64 s[4:5], s[0:1]
	s_cbranch_execz .LBB5_199
; %bb.196:                              ;   in Loop: Header=BB5_171 Depth=1
	global_load_dwordx2 v[4:5], v55, s[26:27] offset:40
	global_load_dwordx2 v[6:7], v55, s[26:27] offset:24 sc0 sc1
	global_load_dwordx2 v[8:9], v55, s[26:27]
	s_waitcnt vmcnt(0)
	v_lshl_add_u64 v[0:1], v[4:5], 0, 1
	v_lshl_add_u64 v[10:11], v[0:1], 0, s[2:3]
	v_cmp_eq_u64_e32 vcc, 0, v[10:11]
	v_mov_b32_e32 v2, v6
	s_nop 0
	v_cndmask_b32_e32 v1, v11, v1, vcc
	v_cndmask_b32_e32 v0, v10, v0, vcc
	v_and_b32_e32 v3, v1, v5
	v_and_b32_e32 v4, v0, v4
	v_mul_lo_u32 v3, v3, 24
	v_mul_hi_u32 v5, v4, 24
	v_mul_lo_u32 v4, v4, 24
	v_add_u32_e32 v5, v5, v3
	v_lshl_add_u64 v[4:5], v[8:9], 0, v[4:5]
	global_store_dwordx2 v[4:5], v[6:7], off
	v_mov_b32_e32 v3, v7
	buffer_wbl2 sc0 sc1
	s_waitcnt vmcnt(0)
	global_atomic_cmpswap_x2 v[2:3], v55, v[0:3], s[26:27] offset:24 sc0 sc1
	s_waitcnt vmcnt(0)
	v_cmp_ne_u64_e32 vcc, v[2:3], v[6:7]
	s_and_b64 exec, exec, vcc
	s_cbranch_execz .LBB5_199
; %bb.197:                              ;   in Loop: Header=BB5_171 Depth=1
	s_mov_b64 s[0:1], 0
.LBB5_198:                              ;   Parent Loop BB5_171 Depth=1
                                        ; =>  This Inner Loop Header: Depth=2
	s_sleep 1
	global_store_dwordx2 v[4:5], v[2:3], off
	buffer_wbl2 sc0 sc1
	s_waitcnt vmcnt(0)
	global_atomic_cmpswap_x2 v[6:7], v55, v[0:3], s[26:27] offset:24 sc0 sc1
	s_waitcnt vmcnt(0)
	v_cmp_eq_u64_e32 vcc, v[6:7], v[2:3]
	s_or_b64 s[0:1], vcc, s[0:1]
	v_mov_b64_e32 v[2:3], v[6:7]
	s_andn2_b64 exec, exec, s[0:1]
	s_cbranch_execnz .LBB5_198
.LBB5_199:                              ;   in Loop: Header=BB5_171 Depth=1
	s_or_b64 exec, exec, s[4:5]
	s_and_b64 vcc, exec, s[24:25]
	s_cbranch_vccz .LBB5_284
; %bb.200:                              ;   in Loop: Header=BB5_171 Depth=1
	s_waitcnt vmcnt(0)
	v_and_b32_e32 v20, 2, v52
	v_and_b32_e32 v0, -3, v52
	v_mov_b32_e32 v1, v53
	s_mov_b64 s[4:5], 4
	s_getpc_b64 s[2:3]
	s_add_u32 s2, s2, .str.7@rel32@lo+4
	s_addc_u32 s3, s3, .str.7@rel32@hi+12
	s_branch .LBB5_202
.LBB5_201:                              ;   in Loop: Header=BB5_202 Depth=2
	s_or_b64 exec, exec, s[10:11]
	s_sub_u32 s4, s4, s6
	s_subb_u32 s5, s5, s7
	s_add_u32 s2, s2, s6
	s_addc_u32 s3, s3, s7
	s_cmp_lg_u64 s[4:5], 0
	s_cbranch_scc0 .LBB5_283
.LBB5_202:                              ;   Parent Loop BB5_171 Depth=1
                                        ; =>  This Loop Header: Depth=2
                                        ;       Child Loop BB5_205 Depth 3
                                        ;       Child Loop BB5_212 Depth 3
	;; [unrolled: 1-line block ×11, first 2 shown]
	v_cmp_lt_u64_e64 s[0:1], s[4:5], 56
	s_and_b64 s[0:1], s[0:1], exec
	v_cmp_gt_u64_e64 s[0:1], s[4:5], 7
	s_cselect_b32 s7, s5, 0
	s_cselect_b32 s6, s4, 56
	s_and_b64 vcc, exec, s[0:1]
	s_cbranch_vccnz .LBB5_207
; %bb.203:                              ;   in Loop: Header=BB5_202 Depth=2
	s_mov_b64 s[0:1], 0
	s_cmp_eq_u64 s[4:5], 0
	s_waitcnt vmcnt(0)
	v_mov_b64_e32 v[2:3], 0
	s_cbranch_scc1 .LBB5_206
; %bb.204:                              ;   in Loop: Header=BB5_202 Depth=2
	s_lshl_b64 s[8:9], s[6:7], 3
	s_mov_b64 s[10:11], 0
	v_mov_b64_e32 v[2:3], 0
	s_mov_b64 s[12:13], s[2:3]
.LBB5_205:                              ;   Parent Loop BB5_171 Depth=1
                                        ;     Parent Loop BB5_202 Depth=2
                                        ; =>    This Inner Loop Header: Depth=3
	global_load_ubyte v4, v55, s[12:13]
	s_waitcnt vmcnt(0)
	v_and_b32_e32 v54, 0xffff, v4
	v_lshlrev_b64 v[4:5], s10, v[54:55]
	s_add_u32 s10, s10, 8
	s_addc_u32 s11, s11, 0
	s_add_u32 s12, s12, 1
	s_addc_u32 s13, s13, 0
	v_or_b32_e32 v2, v4, v2
	s_cmp_lg_u32 s8, s10
	v_or_b32_e32 v3, v5, v3
	s_cbranch_scc1 .LBB5_205
.LBB5_206:                              ;   in Loop: Header=BB5_202 Depth=2
	s_mov_b32 s12, 0
	s_andn2_b64 vcc, exec, s[0:1]
	s_mov_b64 s[0:1], s[2:3]
	s_cbranch_vccz .LBB5_208
	s_branch .LBB5_209
.LBB5_207:                              ;   in Loop: Header=BB5_202 Depth=2
                                        ; implicit-def: $vgpr2_vgpr3
                                        ; implicit-def: $sgpr12
	s_mov_b64 s[0:1], s[2:3]
.LBB5_208:                              ;   in Loop: Header=BB5_202 Depth=2
	global_load_dwordx2 v[2:3], v55, s[2:3]
	s_add_i32 s12, s6, -8
	s_add_u32 s0, s2, 8
	s_addc_u32 s1, s3, 0
.LBB5_209:                              ;   in Loop: Header=BB5_202 Depth=2
	s_cmp_gt_u32 s12, 7
	s_cbranch_scc1 .LBB5_213
; %bb.210:                              ;   in Loop: Header=BB5_202 Depth=2
	s_cmp_eq_u32 s12, 0
	s_cbranch_scc1 .LBB5_214
; %bb.211:                              ;   in Loop: Header=BB5_202 Depth=2
	s_mov_b64 s[8:9], 0
	v_mov_b64_e32 v[4:5], 0
	s_mov_b64 s[10:11], 0
.LBB5_212:                              ;   Parent Loop BB5_171 Depth=1
                                        ;     Parent Loop BB5_202 Depth=2
                                        ; =>    This Inner Loop Header: Depth=3
	s_add_u32 s14, s0, s10
	s_addc_u32 s15, s1, s11
	global_load_ubyte v6, v55, s[14:15]
	s_add_u32 s10, s10, 1
	s_addc_u32 s11, s11, 0
	s_waitcnt vmcnt(0)
	v_and_b32_e32 v54, 0xffff, v6
	v_lshlrev_b64 v[6:7], s8, v[54:55]
	s_add_u32 s8, s8, 8
	s_addc_u32 s9, s9, 0
	v_or_b32_e32 v4, v6, v4
	s_cmp_lg_u32 s12, s10
	v_or_b32_e32 v5, v7, v5
	s_cbranch_scc1 .LBB5_212
	s_branch .LBB5_215
.LBB5_213:                              ;   in Loop: Header=BB5_202 Depth=2
                                        ; implicit-def: $vgpr4_vgpr5
                                        ; implicit-def: $sgpr13
	s_branch .LBB5_216
.LBB5_214:                              ;   in Loop: Header=BB5_202 Depth=2
	v_mov_b64_e32 v[4:5], 0
.LBB5_215:                              ;   in Loop: Header=BB5_202 Depth=2
	s_mov_b32 s13, 0
	s_cbranch_execnz .LBB5_217
.LBB5_216:                              ;   in Loop: Header=BB5_202 Depth=2
	global_load_dwordx2 v[4:5], v55, s[0:1]
	s_add_i32 s13, s12, -8
	s_add_u32 s0, s0, 8
	s_addc_u32 s1, s1, 0
.LBB5_217:                              ;   in Loop: Header=BB5_202 Depth=2
	s_cmp_gt_u32 s13, 7
	s_cbranch_scc1 .LBB5_221
; %bb.218:                              ;   in Loop: Header=BB5_202 Depth=2
	s_cmp_eq_u32 s13, 0
	s_cbranch_scc1 .LBB5_222
; %bb.219:                              ;   in Loop: Header=BB5_202 Depth=2
	s_mov_b64 s[8:9], 0
	v_mov_b64_e32 v[6:7], 0
	s_mov_b64 s[10:11], 0
.LBB5_220:                              ;   Parent Loop BB5_171 Depth=1
                                        ;     Parent Loop BB5_202 Depth=2
                                        ; =>    This Inner Loop Header: Depth=3
	s_add_u32 s14, s0, s10
	s_addc_u32 s15, s1, s11
	global_load_ubyte v8, v55, s[14:15]
	s_add_u32 s10, s10, 1
	s_addc_u32 s11, s11, 0
	s_waitcnt vmcnt(0)
	v_and_b32_e32 v54, 0xffff, v8
	v_lshlrev_b64 v[8:9], s8, v[54:55]
	s_add_u32 s8, s8, 8
	s_addc_u32 s9, s9, 0
	v_or_b32_e32 v6, v8, v6
	s_cmp_lg_u32 s13, s10
	v_or_b32_e32 v7, v9, v7
	s_cbranch_scc1 .LBB5_220
	s_branch .LBB5_223
.LBB5_221:                              ;   in Loop: Header=BB5_202 Depth=2
                                        ; implicit-def: $sgpr12
	s_branch .LBB5_224
.LBB5_222:                              ;   in Loop: Header=BB5_202 Depth=2
	v_mov_b64_e32 v[6:7], 0
.LBB5_223:                              ;   in Loop: Header=BB5_202 Depth=2
	s_mov_b32 s12, 0
	s_cbranch_execnz .LBB5_225
.LBB5_224:                              ;   in Loop: Header=BB5_202 Depth=2
	global_load_dwordx2 v[6:7], v55, s[0:1]
	s_add_i32 s12, s13, -8
	s_add_u32 s0, s0, 8
	s_addc_u32 s1, s1, 0
.LBB5_225:                              ;   in Loop: Header=BB5_202 Depth=2
	s_cmp_gt_u32 s12, 7
	s_cbranch_scc1 .LBB5_229
; %bb.226:                              ;   in Loop: Header=BB5_202 Depth=2
	s_cmp_eq_u32 s12, 0
	s_cbranch_scc1 .LBB5_230
; %bb.227:                              ;   in Loop: Header=BB5_202 Depth=2
	s_mov_b64 s[8:9], 0
	v_mov_b64_e32 v[8:9], 0
	s_mov_b64 s[10:11], 0
.LBB5_228:                              ;   Parent Loop BB5_171 Depth=1
                                        ;     Parent Loop BB5_202 Depth=2
                                        ; =>    This Inner Loop Header: Depth=3
	s_add_u32 s14, s0, s10
	s_addc_u32 s15, s1, s11
	global_load_ubyte v10, v55, s[14:15]
	s_add_u32 s10, s10, 1
	s_addc_u32 s11, s11, 0
	s_waitcnt vmcnt(0)
	v_and_b32_e32 v54, 0xffff, v10
	v_lshlrev_b64 v[10:11], s8, v[54:55]
	s_add_u32 s8, s8, 8
	s_addc_u32 s9, s9, 0
	v_or_b32_e32 v8, v10, v8
	s_cmp_lg_u32 s12, s10
	v_or_b32_e32 v9, v11, v9
	s_cbranch_scc1 .LBB5_228
	s_branch .LBB5_231
.LBB5_229:                              ;   in Loop: Header=BB5_202 Depth=2
                                        ; implicit-def: $vgpr8_vgpr9
                                        ; implicit-def: $sgpr13
	s_branch .LBB5_232
.LBB5_230:                              ;   in Loop: Header=BB5_202 Depth=2
	v_mov_b64_e32 v[8:9], 0
.LBB5_231:                              ;   in Loop: Header=BB5_202 Depth=2
	s_mov_b32 s13, 0
	s_cbranch_execnz .LBB5_233
.LBB5_232:                              ;   in Loop: Header=BB5_202 Depth=2
	global_load_dwordx2 v[8:9], v55, s[0:1]
	s_add_i32 s13, s12, -8
	s_add_u32 s0, s0, 8
	s_addc_u32 s1, s1, 0
.LBB5_233:                              ;   in Loop: Header=BB5_202 Depth=2
	s_cmp_gt_u32 s13, 7
	s_cbranch_scc1 .LBB5_237
; %bb.234:                              ;   in Loop: Header=BB5_202 Depth=2
	s_cmp_eq_u32 s13, 0
	s_cbranch_scc1 .LBB5_238
; %bb.235:                              ;   in Loop: Header=BB5_202 Depth=2
	s_mov_b64 s[8:9], 0
	v_mov_b64_e32 v[10:11], 0
	s_mov_b64 s[10:11], 0
.LBB5_236:                              ;   Parent Loop BB5_171 Depth=1
                                        ;     Parent Loop BB5_202 Depth=2
                                        ; =>    This Inner Loop Header: Depth=3
	s_add_u32 s14, s0, s10
	s_addc_u32 s15, s1, s11
	global_load_ubyte v12, v55, s[14:15]
	s_add_u32 s10, s10, 1
	s_addc_u32 s11, s11, 0
	s_waitcnt vmcnt(0)
	v_and_b32_e32 v54, 0xffff, v12
	v_lshlrev_b64 v[12:13], s8, v[54:55]
	s_add_u32 s8, s8, 8
	s_addc_u32 s9, s9, 0
	v_or_b32_e32 v10, v12, v10
	s_cmp_lg_u32 s13, s10
	v_or_b32_e32 v11, v13, v11
	s_cbranch_scc1 .LBB5_236
	s_branch .LBB5_239
.LBB5_237:                              ;   in Loop: Header=BB5_202 Depth=2
                                        ; implicit-def: $sgpr12
	s_branch .LBB5_240
.LBB5_238:                              ;   in Loop: Header=BB5_202 Depth=2
	v_mov_b64_e32 v[10:11], 0
.LBB5_239:                              ;   in Loop: Header=BB5_202 Depth=2
	s_mov_b32 s12, 0
	s_cbranch_execnz .LBB5_241
.LBB5_240:                              ;   in Loop: Header=BB5_202 Depth=2
	global_load_dwordx2 v[10:11], v55, s[0:1]
	s_add_i32 s12, s13, -8
	s_add_u32 s0, s0, 8
	s_addc_u32 s1, s1, 0
.LBB5_241:                              ;   in Loop: Header=BB5_202 Depth=2
	s_cmp_gt_u32 s12, 7
	s_cbranch_scc1 .LBB5_245
; %bb.242:                              ;   in Loop: Header=BB5_202 Depth=2
	s_cmp_eq_u32 s12, 0
	s_cbranch_scc1 .LBB5_246
; %bb.243:                              ;   in Loop: Header=BB5_202 Depth=2
	s_mov_b64 s[8:9], 0
	v_mov_b64_e32 v[12:13], 0
	s_mov_b64 s[10:11], 0
.LBB5_244:                              ;   Parent Loop BB5_171 Depth=1
                                        ;     Parent Loop BB5_202 Depth=2
                                        ; =>    This Inner Loop Header: Depth=3
	s_add_u32 s14, s0, s10
	s_addc_u32 s15, s1, s11
	global_load_ubyte v14, v55, s[14:15]
	s_add_u32 s10, s10, 1
	s_addc_u32 s11, s11, 0
	s_waitcnt vmcnt(0)
	v_and_b32_e32 v54, 0xffff, v14
	v_lshlrev_b64 v[14:15], s8, v[54:55]
	s_add_u32 s8, s8, 8
	s_addc_u32 s9, s9, 0
	v_or_b32_e32 v12, v14, v12
	s_cmp_lg_u32 s12, s10
	v_or_b32_e32 v13, v15, v13
	s_cbranch_scc1 .LBB5_244
	s_branch .LBB5_247
.LBB5_245:                              ;   in Loop: Header=BB5_202 Depth=2
                                        ; implicit-def: $vgpr12_vgpr13
                                        ; implicit-def: $sgpr13
	s_branch .LBB5_248
.LBB5_246:                              ;   in Loop: Header=BB5_202 Depth=2
	v_mov_b64_e32 v[12:13], 0
.LBB5_247:                              ;   in Loop: Header=BB5_202 Depth=2
	s_mov_b32 s13, 0
	s_cbranch_execnz .LBB5_249
.LBB5_248:                              ;   in Loop: Header=BB5_202 Depth=2
	global_load_dwordx2 v[12:13], v55, s[0:1]
	s_add_i32 s13, s12, -8
	s_add_u32 s0, s0, 8
	s_addc_u32 s1, s1, 0
.LBB5_249:                              ;   in Loop: Header=BB5_202 Depth=2
	s_cmp_gt_u32 s13, 7
	s_cbranch_scc1 .LBB5_253
; %bb.250:                              ;   in Loop: Header=BB5_202 Depth=2
	s_cmp_eq_u32 s13, 0
	s_cbranch_scc1 .LBB5_254
; %bb.251:                              ;   in Loop: Header=BB5_202 Depth=2
	s_mov_b64 s[8:9], 0
	v_mov_b64_e32 v[14:15], 0
	s_mov_b64 s[10:11], s[0:1]
.LBB5_252:                              ;   Parent Loop BB5_171 Depth=1
                                        ;     Parent Loop BB5_202 Depth=2
                                        ; =>    This Inner Loop Header: Depth=3
	global_load_ubyte v16, v55, s[10:11]
	s_add_i32 s13, s13, -1
	s_waitcnt vmcnt(0)
	v_and_b32_e32 v54, 0xffff, v16
	v_lshlrev_b64 v[16:17], s8, v[54:55]
	s_add_u32 s8, s8, 8
	s_addc_u32 s9, s9, 0
	s_add_u32 s10, s10, 1
	s_addc_u32 s11, s11, 0
	v_or_b32_e32 v14, v16, v14
	s_cmp_lg_u32 s13, 0
	v_or_b32_e32 v15, v17, v15
	s_cbranch_scc1 .LBB5_252
	s_branch .LBB5_255
.LBB5_253:                              ;   in Loop: Header=BB5_202 Depth=2
	s_branch .LBB5_256
.LBB5_254:                              ;   in Loop: Header=BB5_202 Depth=2
	v_mov_b64_e32 v[14:15], 0
.LBB5_255:                              ;   in Loop: Header=BB5_202 Depth=2
	s_cbranch_execnz .LBB5_257
.LBB5_256:                              ;   in Loop: Header=BB5_202 Depth=2
	global_load_dwordx2 v[14:15], v55, s[0:1]
.LBB5_257:                              ;   in Loop: Header=BB5_202 Depth=2
	v_readfirstlane_b32 s0, v46
	v_mov_b64_e32 v[22:23], 0
	s_nop 0
	v_cmp_eq_u32_e64 s[0:1], s0, v46
	s_and_saveexec_b64 s[8:9], s[0:1]
	s_cbranch_execz .LBB5_263
; %bb.258:                              ;   in Loop: Header=BB5_202 Depth=2
	global_load_dwordx2 v[18:19], v55, s[26:27] offset:24 sc0 sc1
	s_waitcnt vmcnt(0)
	buffer_inv sc0 sc1
	global_load_dwordx2 v[16:17], v55, s[26:27] offset:40
	global_load_dwordx2 v[22:23], v55, s[26:27]
	s_waitcnt vmcnt(0)
	v_and_b32_e32 v16, v16, v18
	v_and_b32_e32 v17, v17, v19
	v_mul_lo_u32 v17, v17, 24
	v_mul_hi_u32 v24, v16, 24
	v_add_u32_e32 v17, v24, v17
	v_mul_lo_u32 v16, v16, 24
	v_lshl_add_u64 v[16:17], v[22:23], 0, v[16:17]
	global_load_dwordx2 v[16:17], v[16:17], off sc0 sc1
	s_waitcnt vmcnt(0)
	global_atomic_cmpswap_x2 v[22:23], v55, v[16:19], s[26:27] offset:24 sc0 sc1
	s_waitcnt vmcnt(0)
	buffer_inv sc0 sc1
	v_cmp_ne_u64_e32 vcc, v[22:23], v[18:19]
	s_and_saveexec_b64 s[10:11], vcc
	s_cbranch_execz .LBB5_262
; %bb.259:                              ;   in Loop: Header=BB5_202 Depth=2
	s_mov_b64 s[12:13], 0
.LBB5_260:                              ;   Parent Loop BB5_171 Depth=1
                                        ;     Parent Loop BB5_202 Depth=2
                                        ; =>    This Inner Loop Header: Depth=3
	s_sleep 1
	global_load_dwordx2 v[16:17], v55, s[26:27] offset:40
	global_load_dwordx2 v[24:25], v55, s[26:27]
	v_mov_b64_e32 v[18:19], v[22:23]
	s_waitcnt vmcnt(0)
	v_and_b32_e32 v16, v16, v18
	v_and_b32_e32 v23, v17, v19
	v_mad_u64_u32 v[16:17], s[14:15], v16, 24, v[24:25]
	v_mov_b32_e32 v22, v17
	v_mad_u64_u32 v[22:23], s[14:15], v23, 24, v[22:23]
	v_mov_b32_e32 v17, v22
	global_load_dwordx2 v[16:17], v[16:17], off sc0 sc1
	s_waitcnt vmcnt(0)
	global_atomic_cmpswap_x2 v[22:23], v55, v[16:19], s[26:27] offset:24 sc0 sc1
	s_waitcnt vmcnt(0)
	buffer_inv sc0 sc1
	v_cmp_eq_u64_e32 vcc, v[22:23], v[18:19]
	s_or_b64 s[12:13], vcc, s[12:13]
	s_andn2_b64 exec, exec, s[12:13]
	s_cbranch_execnz .LBB5_260
; %bb.261:                              ;   in Loop: Header=BB5_202 Depth=2
	s_or_b64 exec, exec, s[12:13]
.LBB5_262:                              ;   in Loop: Header=BB5_202 Depth=2
	s_or_b64 exec, exec, s[10:11]
.LBB5_263:                              ;   in Loop: Header=BB5_202 Depth=2
	s_or_b64 exec, exec, s[8:9]
	global_load_dwordx2 v[24:25], v55, s[26:27] offset:40
	global_load_dwordx4 v[16:19], v55, s[26:27]
	v_readfirstlane_b32 s8, v22
	v_readfirstlane_b32 s9, v23
	s_mov_b64 s[10:11], exec
	s_waitcnt vmcnt(0)
	v_readfirstlane_b32 s12, v24
	v_readfirstlane_b32 s13, v25
	s_and_b64 s[12:13], s[8:9], s[12:13]
	s_mul_i32 s14, s13, 24
	s_mul_hi_u32 s15, s12, 24
	s_add_i32 s15, s15, s14
	s_mul_i32 s14, s12, 24
	v_lshl_add_u64 v[22:23], v[16:17], 0, s[14:15]
	s_and_saveexec_b64 s[14:15], s[0:1]
	s_cbranch_execz .LBB5_265
; %bb.264:                              ;   in Loop: Header=BB5_202 Depth=2
	v_mov_b64_e32 v[48:49], s[10:11]
	global_store_dwordx4 v[22:23], v[48:51], off offset:8
.LBB5_265:                              ;   in Loop: Header=BB5_202 Depth=2
	s_or_b64 exec, exec, s[14:15]
	s_lshl_b64 s[10:11], s[12:13], 12
	v_lshl_add_u64 v[18:19], v[18:19], 0, s[10:11]
	v_or_b32_e32 v25, v0, v20
	v_cmp_gt_u64_e64 vcc, s[4:5], 56
	s_lshl_b32 s10, s6, 2
	s_add_i32 s10, s10, 28
	v_cndmask_b32_e32 v0, v25, v0, vcc
	v_or_b32_e32 v24, 0, v1
	s_and_b32 s10, s10, 0x1e0
	v_and_b32_e32 v0, 0xffffff1f, v0
	v_cndmask_b32_e32 v1, v24, v1, vcc
	v_or_b32_e32 v0, s10, v0
	v_readfirstlane_b32 s10, v18
	v_readfirstlane_b32 s11, v19
	s_nop 4
	global_store_dwordx4 v56, v[0:3], s[10:11]
	global_store_dwordx4 v56, v[4:7], s[10:11] offset:16
	global_store_dwordx4 v56, v[8:11], s[10:11] offset:32
	;; [unrolled: 1-line block ×3, first 2 shown]
	s_and_saveexec_b64 s[10:11], s[0:1]
	s_cbranch_execz .LBB5_273
; %bb.266:                              ;   in Loop: Header=BB5_202 Depth=2
	global_load_dwordx2 v[8:9], v55, s[26:27] offset:32 sc0 sc1
	global_load_dwordx2 v[0:1], v55, s[26:27] offset:40
	v_mov_b32_e32 v6, s8
	v_mov_b32_e32 v7, s9
	s_waitcnt vmcnt(0)
	v_readfirstlane_b32 s12, v0
	v_readfirstlane_b32 s13, v1
	s_and_b64 s[12:13], s[12:13], s[8:9]
	s_mul_i32 s13, s13, 24
	s_mul_hi_u32 s14, s12, 24
	s_mul_i32 s12, s12, 24
	s_add_i32 s13, s14, s13
	v_lshl_add_u64 v[4:5], v[16:17], 0, s[12:13]
	global_store_dwordx2 v[4:5], v[8:9], off
	buffer_wbl2 sc0 sc1
	s_waitcnt vmcnt(0)
	global_atomic_cmpswap_x2 v[2:3], v55, v[6:9], s[26:27] offset:32 sc0 sc1
	s_waitcnt vmcnt(0)
	v_cmp_ne_u64_e32 vcc, v[2:3], v[8:9]
	s_and_saveexec_b64 s[12:13], vcc
	s_cbranch_execz .LBB5_269
; %bb.267:                              ;   in Loop: Header=BB5_202 Depth=2
	s_mov_b64 s[14:15], 0
.LBB5_268:                              ;   Parent Loop BB5_171 Depth=1
                                        ;     Parent Loop BB5_202 Depth=2
                                        ; =>    This Inner Loop Header: Depth=3
	s_sleep 1
	global_store_dwordx2 v[4:5], v[2:3], off
	v_mov_b32_e32 v0, s8
	v_mov_b32_e32 v1, s9
	buffer_wbl2 sc0 sc1
	s_waitcnt vmcnt(0)
	global_atomic_cmpswap_x2 v[0:1], v55, v[0:3], s[26:27] offset:32 sc0 sc1
	s_waitcnt vmcnt(0)
	v_cmp_eq_u64_e32 vcc, v[0:1], v[2:3]
	s_or_b64 s[14:15], vcc, s[14:15]
	v_mov_b64_e32 v[2:3], v[0:1]
	s_andn2_b64 exec, exec, s[14:15]
	s_cbranch_execnz .LBB5_268
.LBB5_269:                              ;   in Loop: Header=BB5_202 Depth=2
	s_or_b64 exec, exec, s[12:13]
	global_load_dwordx2 v[0:1], v55, s[26:27] offset:16
	s_mov_b64 s[14:15], exec
	v_mbcnt_lo_u32_b32 v2, s14, 0
	v_mbcnt_hi_u32_b32 v2, s15, v2
	v_cmp_eq_u32_e32 vcc, 0, v2
	s_and_saveexec_b64 s[12:13], vcc
	s_cbranch_execz .LBB5_271
; %bb.270:                              ;   in Loop: Header=BB5_202 Depth=2
	s_bcnt1_i32_b64 s14, s[14:15]
	v_mov_b32_e32 v54, s14
	buffer_wbl2 sc0 sc1
	s_waitcnt vmcnt(0)
	global_atomic_add_x2 v[0:1], v[54:55], off offset:8 sc1
.LBB5_271:                              ;   in Loop: Header=BB5_202 Depth=2
	s_or_b64 exec, exec, s[12:13]
	s_waitcnt vmcnt(0)
	global_load_dwordx2 v[2:3], v[0:1], off offset:16
	s_waitcnt vmcnt(0)
	v_cmp_eq_u64_e32 vcc, 0, v[2:3]
	s_cbranch_vccnz .LBB5_273
; %bb.272:                              ;   in Loop: Header=BB5_202 Depth=2
	global_load_dword v54, v[0:1], off offset:24
	s_waitcnt vmcnt(0)
	v_and_b32_e32 v0, 0xffffff, v54
	s_nop 0
	v_readfirstlane_b32 m0, v0
	buffer_wbl2 sc0 sc1
	global_store_dwordx2 v[2:3], v[54:55], off sc0 sc1
	s_sendmsg sendmsg(MSG_INTERRUPT)
.LBB5_273:                              ;   in Loop: Header=BB5_202 Depth=2
	s_or_b64 exec, exec, s[10:11]
	v_mov_b32_e32 v57, v55
	v_lshl_add_u64 v[0:1], v[18:19], 0, v[56:57]
	s_branch .LBB5_277
.LBB5_274:                              ;   in Loop: Header=BB5_277 Depth=3
	s_or_b64 exec, exec, s[10:11]
	v_readfirstlane_b32 s10, v2
	s_cmp_eq_u32 s10, 0
	s_cbranch_scc1 .LBB5_276
; %bb.275:                              ;   in Loop: Header=BB5_277 Depth=3
	s_sleep 1
	s_cbranch_execnz .LBB5_277
	s_branch .LBB5_279
.LBB5_276:                              ;   in Loop: Header=BB5_202 Depth=2
	s_branch .LBB5_279
.LBB5_277:                              ;   Parent Loop BB5_171 Depth=1
                                        ;     Parent Loop BB5_202 Depth=2
                                        ; =>    This Inner Loop Header: Depth=3
	v_mov_b32_e32 v2, 1
	s_and_saveexec_b64 s[10:11], s[0:1]
	s_cbranch_execz .LBB5_274
; %bb.278:                              ;   in Loop: Header=BB5_277 Depth=3
	global_load_dword v2, v[22:23], off offset:20 sc0 sc1
	s_waitcnt vmcnt(0)
	buffer_inv sc0 sc1
	v_and_b32_e32 v2, 1, v2
	s_branch .LBB5_274
.LBB5_279:                              ;   in Loop: Header=BB5_202 Depth=2
	global_load_dwordx4 v[0:3], v[0:1], off
	s_and_saveexec_b64 s[10:11], s[0:1]
	s_cbranch_execz .LBB5_201
; %bb.280:                              ;   in Loop: Header=BB5_202 Depth=2
	global_load_dwordx2 v[6:7], v55, s[26:27] offset:40
	global_load_dwordx2 v[8:9], v55, s[26:27] offset:24 sc0 sc1
	global_load_dwordx2 v[10:11], v55, s[26:27]
	s_waitcnt vmcnt(0)
	v_lshl_add_u64 v[2:3], v[6:7], 0, 1
	v_lshl_add_u64 v[12:13], v[2:3], 0, s[8:9]
	v_cmp_eq_u64_e32 vcc, 0, v[12:13]
	v_mov_b32_e32 v4, v8
	s_nop 0
	v_cndmask_b32_e32 v3, v13, v3, vcc
	v_cndmask_b32_e32 v2, v12, v2, vcc
	v_and_b32_e32 v5, v3, v7
	v_and_b32_e32 v6, v2, v6
	v_mul_lo_u32 v5, v5, 24
	v_mul_hi_u32 v7, v6, 24
	v_mul_lo_u32 v6, v6, 24
	v_add_u32_e32 v7, v7, v5
	v_lshl_add_u64 v[6:7], v[10:11], 0, v[6:7]
	global_store_dwordx2 v[6:7], v[8:9], off
	v_mov_b32_e32 v5, v9
	buffer_wbl2 sc0 sc1
	s_waitcnt vmcnt(0)
	global_atomic_cmpswap_x2 v[4:5], v55, v[2:5], s[26:27] offset:24 sc0 sc1
	s_waitcnt vmcnt(0)
	v_cmp_ne_u64_e32 vcc, v[4:5], v[8:9]
	s_and_b64 exec, exec, vcc
	s_cbranch_execz .LBB5_201
; %bb.281:                              ;   in Loop: Header=BB5_202 Depth=2
	s_mov_b64 s[0:1], 0
.LBB5_282:                              ;   Parent Loop BB5_171 Depth=1
                                        ;     Parent Loop BB5_202 Depth=2
                                        ; =>    This Inner Loop Header: Depth=3
	s_sleep 1
	global_store_dwordx2 v[6:7], v[4:5], off
	buffer_wbl2 sc0 sc1
	s_waitcnt vmcnt(0)
	global_atomic_cmpswap_x2 v[8:9], v55, v[2:5], s[26:27] offset:24 sc0 sc1
	s_waitcnt vmcnt(0)
	v_cmp_eq_u64_e32 vcc, v[8:9], v[4:5]
	s_or_b64 s[0:1], vcc, s[0:1]
	v_mov_b64_e32 v[4:5], v[8:9]
	s_andn2_b64 exec, exec, s[0:1]
	s_cbranch_execnz .LBB5_282
	s_branch .LBB5_201
.LBB5_283:                              ;   in Loop: Header=BB5_171 Depth=1
	s_branch .LBB5_312
.LBB5_284:                              ;   in Loop: Header=BB5_171 Depth=1
                                        ; implicit-def: $vgpr0_vgpr1
	s_cbranch_execz .LBB5_312
; %bb.285:                              ;   in Loop: Header=BB5_171 Depth=1
	v_readfirstlane_b32 s0, v46
	v_mov_b64_e32 v[4:5], 0
	s_nop 0
	v_cmp_eq_u32_e64 s[0:1], s0, v46
	s_and_saveexec_b64 s[2:3], s[0:1]
	s_cbranch_execz .LBB5_291
; %bb.286:                              ;   in Loop: Header=BB5_171 Depth=1
	global_load_dwordx2 v[2:3], v55, s[26:27] offset:24 sc0 sc1
	s_waitcnt vmcnt(0)
	buffer_inv sc0 sc1
	global_load_dwordx2 v[0:1], v55, s[26:27] offset:40
	global_load_dwordx2 v[4:5], v55, s[26:27]
	s_waitcnt vmcnt(0)
	v_and_b32_e32 v0, v0, v2
	v_and_b32_e32 v1, v1, v3
	v_mul_lo_u32 v1, v1, 24
	v_mul_hi_u32 v6, v0, 24
	v_add_u32_e32 v1, v6, v1
	v_mul_lo_u32 v0, v0, 24
	v_lshl_add_u64 v[0:1], v[4:5], 0, v[0:1]
	global_load_dwordx2 v[0:1], v[0:1], off sc0 sc1
	s_waitcnt vmcnt(0)
	global_atomic_cmpswap_x2 v[4:5], v55, v[0:3], s[26:27] offset:24 sc0 sc1
	s_waitcnt vmcnt(0)
	buffer_inv sc0 sc1
	v_cmp_ne_u64_e32 vcc, v[4:5], v[2:3]
	s_and_saveexec_b64 s[4:5], vcc
	s_cbranch_execz .LBB5_290
; %bb.287:                              ;   in Loop: Header=BB5_171 Depth=1
	s_mov_b64 s[6:7], 0
.LBB5_288:                              ;   Parent Loop BB5_171 Depth=1
                                        ; =>  This Inner Loop Header: Depth=2
	s_sleep 1
	global_load_dwordx2 v[0:1], v55, s[26:27] offset:40
	global_load_dwordx2 v[6:7], v55, s[26:27]
	v_mov_b64_e32 v[2:3], v[4:5]
	s_waitcnt vmcnt(0)
	v_and_b32_e32 v0, v0, v2
	v_and_b32_e32 v5, v1, v3
	v_mad_u64_u32 v[0:1], s[8:9], v0, 24, v[6:7]
	v_mov_b32_e32 v4, v1
	v_mad_u64_u32 v[4:5], s[8:9], v5, 24, v[4:5]
	v_mov_b32_e32 v1, v4
	global_load_dwordx2 v[0:1], v[0:1], off sc0 sc1
	s_waitcnt vmcnt(0)
	global_atomic_cmpswap_x2 v[4:5], v55, v[0:3], s[26:27] offset:24 sc0 sc1
	s_waitcnt vmcnt(0)
	buffer_inv sc0 sc1
	v_cmp_eq_u64_e32 vcc, v[4:5], v[2:3]
	s_or_b64 s[6:7], vcc, s[6:7]
	s_andn2_b64 exec, exec, s[6:7]
	s_cbranch_execnz .LBB5_288
; %bb.289:                              ;   in Loop: Header=BB5_171 Depth=1
	s_or_b64 exec, exec, s[6:7]
.LBB5_290:                              ;   in Loop: Header=BB5_171 Depth=1
	s_or_b64 exec, exec, s[4:5]
.LBB5_291:                              ;   in Loop: Header=BB5_171 Depth=1
	s_or_b64 exec, exec, s[2:3]
	global_load_dwordx2 v[6:7], v55, s[26:27] offset:40
	global_load_dwordx4 v[0:3], v55, s[26:27]
	v_readfirstlane_b32 s2, v4
	v_readfirstlane_b32 s3, v5
	s_mov_b64 s[4:5], exec
	s_waitcnt vmcnt(0)
	v_readfirstlane_b32 s6, v6
	v_readfirstlane_b32 s7, v7
	s_and_b64 s[6:7], s[2:3], s[6:7]
	s_mul_i32 s8, s7, 24
	s_mul_hi_u32 s9, s6, 24
	s_add_i32 s9, s9, s8
	s_mul_i32 s8, s6, 24
	v_lshl_add_u64 v[4:5], v[0:1], 0, s[8:9]
	s_and_saveexec_b64 s[8:9], s[0:1]
	s_cbranch_execz .LBB5_293
; %bb.292:                              ;   in Loop: Header=BB5_171 Depth=1
	v_mov_b64_e32 v[48:49], s[4:5]
	global_store_dwordx4 v[4:5], v[48:51], off offset:8
.LBB5_293:                              ;   in Loop: Header=BB5_171 Depth=1
	s_or_b64 exec, exec, s[8:9]
	s_lshl_b64 s[4:5], s[6:7], 12
	v_lshl_add_u64 v[6:7], v[2:3], 0, s[4:5]
	v_mov_b64_e32 v[8:9], s[20:21]
	v_and_or_b32 v52, v52, s34, 32
	v_mov_b32_e32 v54, v55
	v_readfirstlane_b32 s4, v6
	v_readfirstlane_b32 s5, v7
	v_mov_b64_e32 v[10:11], s[22:23]
	s_nop 3
	global_store_dwordx4 v56, v[52:55], s[4:5]
	global_store_dwordx4 v56, v[8:11], s[4:5] offset:16
	global_store_dwordx4 v56, v[8:11], s[4:5] offset:32
	global_store_dwordx4 v56, v[8:11], s[4:5] offset:48
	s_and_saveexec_b64 s[4:5], s[0:1]
	s_cbranch_execz .LBB5_301
; %bb.294:                              ;   in Loop: Header=BB5_171 Depth=1
	global_load_dwordx2 v[12:13], v55, s[26:27] offset:32 sc0 sc1
	global_load_dwordx2 v[2:3], v55, s[26:27] offset:40
	v_mov_b32_e32 v10, s2
	v_mov_b32_e32 v11, s3
	s_waitcnt vmcnt(0)
	v_readfirstlane_b32 s6, v2
	v_readfirstlane_b32 s7, v3
	s_and_b64 s[6:7], s[6:7], s[2:3]
	s_mul_i32 s7, s7, 24
	s_mul_hi_u32 s8, s6, 24
	s_mul_i32 s6, s6, 24
	s_add_i32 s7, s8, s7
	v_lshl_add_u64 v[8:9], v[0:1], 0, s[6:7]
	global_store_dwordx2 v[8:9], v[12:13], off
	buffer_wbl2 sc0 sc1
	s_waitcnt vmcnt(0)
	global_atomic_cmpswap_x2 v[2:3], v55, v[10:13], s[26:27] offset:32 sc0 sc1
	s_waitcnt vmcnt(0)
	v_cmp_ne_u64_e32 vcc, v[2:3], v[12:13]
	s_and_saveexec_b64 s[6:7], vcc
	s_cbranch_execz .LBB5_297
; %bb.295:                              ;   in Loop: Header=BB5_171 Depth=1
	s_mov_b64 s[8:9], 0
.LBB5_296:                              ;   Parent Loop BB5_171 Depth=1
                                        ; =>  This Inner Loop Header: Depth=2
	s_sleep 1
	global_store_dwordx2 v[8:9], v[2:3], off
	v_mov_b32_e32 v0, s2
	v_mov_b32_e32 v1, s3
	buffer_wbl2 sc0 sc1
	s_waitcnt vmcnt(0)
	global_atomic_cmpswap_x2 v[0:1], v55, v[0:3], s[26:27] offset:32 sc0 sc1
	s_waitcnt vmcnt(0)
	v_cmp_eq_u64_e32 vcc, v[0:1], v[2:3]
	s_or_b64 s[8:9], vcc, s[8:9]
	v_mov_b64_e32 v[2:3], v[0:1]
	s_andn2_b64 exec, exec, s[8:9]
	s_cbranch_execnz .LBB5_296
.LBB5_297:                              ;   in Loop: Header=BB5_171 Depth=1
	s_or_b64 exec, exec, s[6:7]
	global_load_dwordx2 v[0:1], v55, s[26:27] offset:16
	s_mov_b64 s[8:9], exec
	v_mbcnt_lo_u32_b32 v2, s8, 0
	v_mbcnt_hi_u32_b32 v2, s9, v2
	v_cmp_eq_u32_e32 vcc, 0, v2
	s_and_saveexec_b64 s[6:7], vcc
	s_cbranch_execz .LBB5_299
; %bb.298:                              ;   in Loop: Header=BB5_171 Depth=1
	s_bcnt1_i32_b64 s8, s[8:9]
	v_mov_b32_e32 v54, s8
	buffer_wbl2 sc0 sc1
	s_waitcnt vmcnt(0)
	global_atomic_add_x2 v[0:1], v[54:55], off offset:8 sc1
.LBB5_299:                              ;   in Loop: Header=BB5_171 Depth=1
	s_or_b64 exec, exec, s[6:7]
	s_waitcnt vmcnt(0)
	global_load_dwordx2 v[2:3], v[0:1], off offset:16
	s_waitcnt vmcnt(0)
	v_cmp_eq_u64_e32 vcc, 0, v[2:3]
	s_cbranch_vccnz .LBB5_301
; %bb.300:                              ;   in Loop: Header=BB5_171 Depth=1
	global_load_dword v54, v[0:1], off offset:24
	s_waitcnt vmcnt(0)
	v_and_b32_e32 v0, 0xffffff, v54
	s_nop 0
	v_readfirstlane_b32 m0, v0
	buffer_wbl2 sc0 sc1
	global_store_dwordx2 v[2:3], v[54:55], off sc0 sc1
	s_sendmsg sendmsg(MSG_INTERRUPT)
.LBB5_301:                              ;   in Loop: Header=BB5_171 Depth=1
	s_or_b64 exec, exec, s[4:5]
	v_mov_b32_e32 v57, v55
	v_lshl_add_u64 v[0:1], v[6:7], 0, v[56:57]
	s_branch .LBB5_305
.LBB5_302:                              ;   in Loop: Header=BB5_305 Depth=2
	s_or_b64 exec, exec, s[4:5]
	v_readfirstlane_b32 s4, v2
	s_cmp_eq_u32 s4, 0
	s_cbranch_scc1 .LBB5_304
; %bb.303:                              ;   in Loop: Header=BB5_305 Depth=2
	s_sleep 1
	s_cbranch_execnz .LBB5_305
	s_branch .LBB5_307
.LBB5_304:                              ;   in Loop: Header=BB5_171 Depth=1
	s_branch .LBB5_307
.LBB5_305:                              ;   Parent Loop BB5_171 Depth=1
                                        ; =>  This Inner Loop Header: Depth=2
	v_mov_b32_e32 v2, 1
	s_and_saveexec_b64 s[4:5], s[0:1]
	s_cbranch_execz .LBB5_302
; %bb.306:                              ;   in Loop: Header=BB5_305 Depth=2
	global_load_dword v2, v[4:5], off offset:20 sc0 sc1
	s_waitcnt vmcnt(0)
	buffer_inv sc0 sc1
	v_and_b32_e32 v2, 1, v2
	s_branch .LBB5_302
.LBB5_307:                              ;   in Loop: Header=BB5_171 Depth=1
	global_load_dwordx2 v[0:1], v[0:1], off
	s_and_saveexec_b64 s[4:5], s[0:1]
	s_cbranch_execz .LBB5_311
; %bb.308:                              ;   in Loop: Header=BB5_171 Depth=1
	global_load_dwordx2 v[6:7], v55, s[26:27] offset:40
	global_load_dwordx2 v[8:9], v55, s[26:27] offset:24 sc0 sc1
	global_load_dwordx2 v[10:11], v55, s[26:27]
	s_waitcnt vmcnt(0)
	v_lshl_add_u64 v[2:3], v[6:7], 0, 1
	v_lshl_add_u64 v[12:13], v[2:3], 0, s[2:3]
	v_cmp_eq_u64_e32 vcc, 0, v[12:13]
	v_mov_b32_e32 v4, v8
	s_nop 0
	v_cndmask_b32_e32 v3, v13, v3, vcc
	v_cndmask_b32_e32 v2, v12, v2, vcc
	v_and_b32_e32 v5, v3, v7
	v_and_b32_e32 v6, v2, v6
	v_mul_lo_u32 v5, v5, 24
	v_mul_hi_u32 v7, v6, 24
	v_mul_lo_u32 v6, v6, 24
	v_add_u32_e32 v7, v7, v5
	v_lshl_add_u64 v[6:7], v[10:11], 0, v[6:7]
	global_store_dwordx2 v[6:7], v[8:9], off
	v_mov_b32_e32 v5, v9
	buffer_wbl2 sc0 sc1
	s_waitcnt vmcnt(0)
	global_atomic_cmpswap_x2 v[4:5], v55, v[2:5], s[26:27] offset:24 sc0 sc1
	s_waitcnt vmcnt(0)
	v_cmp_ne_u64_e32 vcc, v[4:5], v[8:9]
	s_and_b64 exec, exec, vcc
	s_cbranch_execz .LBB5_311
; %bb.309:                              ;   in Loop: Header=BB5_171 Depth=1
	s_mov_b64 s[0:1], 0
.LBB5_310:                              ;   Parent Loop BB5_171 Depth=1
                                        ; =>  This Inner Loop Header: Depth=2
	s_sleep 1
	global_store_dwordx2 v[6:7], v[4:5], off
	buffer_wbl2 sc0 sc1
	s_waitcnt vmcnt(0)
	global_atomic_cmpswap_x2 v[8:9], v55, v[2:5], s[26:27] offset:24 sc0 sc1
	s_waitcnt vmcnt(0)
	v_cmp_eq_u64_e32 vcc, v[8:9], v[4:5]
	s_or_b64 s[0:1], vcc, s[0:1]
	v_mov_b64_e32 v[4:5], v[8:9]
	s_andn2_b64 exec, exec, s[0:1]
	s_cbranch_execnz .LBB5_310
.LBB5_311:                              ;   in Loop: Header=BB5_171 Depth=1
	s_or_b64 exec, exec, s[4:5]
.LBB5_312:                              ;   in Loop: Header=BB5_171 Depth=1
	v_readfirstlane_b32 s0, v46
	s_waitcnt vmcnt(0)
	v_mov_b64_e32 v[2:3], 0
	v_cmp_eq_u32_e64 s[0:1], s0, v46
	s_and_saveexec_b64 s[2:3], s[0:1]
	s_cbranch_execz .LBB5_318
; %bb.313:                              ;   in Loop: Header=BB5_171 Depth=1
	global_load_dwordx2 v[4:5], v55, s[26:27] offset:24 sc0 sc1
	s_waitcnt vmcnt(0)
	buffer_inv sc0 sc1
	global_load_dwordx2 v[2:3], v55, s[26:27] offset:40
	global_load_dwordx2 v[6:7], v55, s[26:27]
	s_waitcnt vmcnt(0)
	v_and_b32_e32 v2, v2, v4
	v_and_b32_e32 v3, v3, v5
	v_mul_lo_u32 v3, v3, 24
	v_mul_hi_u32 v8, v2, 24
	v_add_u32_e32 v3, v8, v3
	v_mul_lo_u32 v2, v2, 24
	v_lshl_add_u64 v[2:3], v[6:7], 0, v[2:3]
	global_load_dwordx2 v[2:3], v[2:3], off sc0 sc1
	s_waitcnt vmcnt(0)
	global_atomic_cmpswap_x2 v[2:3], v55, v[2:5], s[26:27] offset:24 sc0 sc1
	s_waitcnt vmcnt(0)
	buffer_inv sc0 sc1
	v_cmp_ne_u64_e32 vcc, v[2:3], v[4:5]
	s_and_saveexec_b64 s[4:5], vcc
	s_cbranch_execz .LBB5_317
; %bb.314:                              ;   in Loop: Header=BB5_171 Depth=1
	s_mov_b64 s[6:7], 0
.LBB5_315:                              ;   Parent Loop BB5_171 Depth=1
                                        ; =>  This Inner Loop Header: Depth=2
	s_sleep 1
	global_load_dwordx2 v[6:7], v55, s[26:27] offset:40
	global_load_dwordx2 v[8:9], v55, s[26:27]
	v_mov_b64_e32 v[4:5], v[2:3]
	s_waitcnt vmcnt(0)
	v_and_b32_e32 v2, v6, v4
	v_mad_u64_u32 v[2:3], s[8:9], v2, 24, v[8:9]
	v_and_b32_e32 v7, v7, v5
	v_mov_b32_e32 v6, v3
	v_mad_u64_u32 v[6:7], s[8:9], v7, 24, v[6:7]
	v_mov_b32_e32 v3, v6
	global_load_dwordx2 v[2:3], v[2:3], off sc0 sc1
	s_waitcnt vmcnt(0)
	global_atomic_cmpswap_x2 v[2:3], v55, v[2:5], s[26:27] offset:24 sc0 sc1
	s_waitcnt vmcnt(0)
	buffer_inv sc0 sc1
	v_cmp_eq_u64_e32 vcc, v[2:3], v[4:5]
	s_or_b64 s[6:7], vcc, s[6:7]
	s_andn2_b64 exec, exec, s[6:7]
	s_cbranch_execnz .LBB5_315
; %bb.316:                              ;   in Loop: Header=BB5_171 Depth=1
	s_or_b64 exec, exec, s[6:7]
.LBB5_317:                              ;   in Loop: Header=BB5_171 Depth=1
	s_or_b64 exec, exec, s[4:5]
.LBB5_318:                              ;   in Loop: Header=BB5_171 Depth=1
	s_or_b64 exec, exec, s[2:3]
	global_load_dwordx2 v[8:9], v55, s[26:27] offset:40
	global_load_dwordx4 v[4:7], v55, s[26:27]
	v_readfirstlane_b32 s2, v2
	v_readfirstlane_b32 s3, v3
	s_mov_b64 s[4:5], exec
	s_waitcnt vmcnt(0)
	v_readfirstlane_b32 s6, v8
	v_readfirstlane_b32 s7, v9
	s_and_b64 s[6:7], s[2:3], s[6:7]
	s_mul_i32 s8, s7, 24
	s_mul_hi_u32 s9, s6, 24
	s_add_i32 s9, s9, s8
	s_mul_i32 s8, s6, 24
	v_lshl_add_u64 v[8:9], v[4:5], 0, s[8:9]
	s_and_saveexec_b64 s[8:9], s[0:1]
	s_cbranch_execz .LBB5_320
; %bb.319:                              ;   in Loop: Header=BB5_171 Depth=1
	v_mov_b64_e32 v[48:49], s[4:5]
	global_store_dwordx4 v[8:9], v[48:51], off offset:8
.LBB5_320:                              ;   in Loop: Header=BB5_171 Depth=1
	s_or_b64 exec, exec, s[8:9]
	s_lshl_b64 s[4:5], s[6:7], 12
	v_lshl_add_u64 v[6:7], v[6:7], 0, s[4:5]
	v_and_or_b32 v0, v0, s35, 34
	s_waitcnt lgkmcnt(0)
	v_ashrrev_i32_e32 v3, 31, v21
	v_mov_b32_e32 v2, v21
	v_readfirstlane_b32 s4, v6
	v_readfirstlane_b32 s5, v7
	s_nop 4
	global_store_dwordx4 v56, v[0:3], s[4:5]
	s_nop 1
	v_mov_b64_e32 v[0:1], s[20:21]
	v_mov_b64_e32 v[2:3], s[22:23]
	global_store_dwordx4 v56, v[0:3], s[4:5] offset:16
	global_store_dwordx4 v56, v[0:3], s[4:5] offset:32
	;; [unrolled: 1-line block ×3, first 2 shown]
	s_and_saveexec_b64 s[4:5], s[0:1]
	s_cbranch_execz .LBB5_328
; %bb.321:                              ;   in Loop: Header=BB5_171 Depth=1
	global_load_dwordx2 v[12:13], v55, s[26:27] offset:32 sc0 sc1
	global_load_dwordx2 v[0:1], v55, s[26:27] offset:40
	v_mov_b32_e32 v10, s2
	v_mov_b32_e32 v11, s3
	s_waitcnt vmcnt(0)
	v_readfirstlane_b32 s6, v0
	v_readfirstlane_b32 s7, v1
	s_and_b64 s[6:7], s[6:7], s[2:3]
	s_mul_i32 s7, s7, 24
	s_mul_hi_u32 s8, s6, 24
	s_mul_i32 s6, s6, 24
	s_add_i32 s7, s8, s7
	v_lshl_add_u64 v[4:5], v[4:5], 0, s[6:7]
	global_store_dwordx2 v[4:5], v[12:13], off
	buffer_wbl2 sc0 sc1
	s_waitcnt vmcnt(0)
	global_atomic_cmpswap_x2 v[2:3], v55, v[10:13], s[26:27] offset:32 sc0 sc1
	s_waitcnt vmcnt(0)
	v_cmp_ne_u64_e32 vcc, v[2:3], v[12:13]
	s_and_saveexec_b64 s[6:7], vcc
	s_cbranch_execz .LBB5_324
; %bb.322:                              ;   in Loop: Header=BB5_171 Depth=1
	s_mov_b64 s[8:9], 0
.LBB5_323:                              ;   Parent Loop BB5_171 Depth=1
                                        ; =>  This Inner Loop Header: Depth=2
	s_sleep 1
	global_store_dwordx2 v[4:5], v[2:3], off
	v_mov_b32_e32 v0, s2
	v_mov_b32_e32 v1, s3
	buffer_wbl2 sc0 sc1
	s_waitcnt vmcnt(0)
	global_atomic_cmpswap_x2 v[0:1], v55, v[0:3], s[26:27] offset:32 sc0 sc1
	s_waitcnt vmcnt(0)
	v_cmp_eq_u64_e32 vcc, v[0:1], v[2:3]
	s_or_b64 s[8:9], vcc, s[8:9]
	v_mov_b64_e32 v[2:3], v[0:1]
	s_andn2_b64 exec, exec, s[8:9]
	s_cbranch_execnz .LBB5_323
.LBB5_324:                              ;   in Loop: Header=BB5_171 Depth=1
	s_or_b64 exec, exec, s[6:7]
	global_load_dwordx2 v[0:1], v55, s[26:27] offset:16
	s_mov_b64 s[8:9], exec
	v_mbcnt_lo_u32_b32 v2, s8, 0
	v_mbcnt_hi_u32_b32 v2, s9, v2
	v_cmp_eq_u32_e32 vcc, 0, v2
	s_and_saveexec_b64 s[6:7], vcc
	s_cbranch_execz .LBB5_326
; %bb.325:                              ;   in Loop: Header=BB5_171 Depth=1
	s_bcnt1_i32_b64 s8, s[8:9]
	v_mov_b32_e32 v54, s8
	buffer_wbl2 sc0 sc1
	s_waitcnt vmcnt(0)
	global_atomic_add_x2 v[0:1], v[54:55], off offset:8 sc1
.LBB5_326:                              ;   in Loop: Header=BB5_171 Depth=1
	s_or_b64 exec, exec, s[6:7]
	s_waitcnt vmcnt(0)
	global_load_dwordx2 v[2:3], v[0:1], off offset:16
	s_waitcnt vmcnt(0)
	v_cmp_eq_u64_e32 vcc, 0, v[2:3]
	s_cbranch_vccnz .LBB5_328
; %bb.327:                              ;   in Loop: Header=BB5_171 Depth=1
	global_load_dword v54, v[0:1], off offset:24
	s_waitcnt vmcnt(0)
	v_and_b32_e32 v0, 0xffffff, v54
	s_nop 0
	v_readfirstlane_b32 m0, v0
	buffer_wbl2 sc0 sc1
	global_store_dwordx2 v[2:3], v[54:55], off sc0 sc1
	s_sendmsg sendmsg(MSG_INTERRUPT)
.LBB5_328:                              ;   in Loop: Header=BB5_171 Depth=1
	s_or_b64 exec, exec, s[4:5]
	s_branch .LBB5_332
.LBB5_329:                              ;   in Loop: Header=BB5_332 Depth=2
	s_or_b64 exec, exec, s[4:5]
	v_readfirstlane_b32 s4, v0
	s_cmp_eq_u32 s4, 0
	s_cbranch_scc1 .LBB5_331
; %bb.330:                              ;   in Loop: Header=BB5_332 Depth=2
	s_sleep 1
	s_cbranch_execnz .LBB5_332
	s_branch .LBB5_334
.LBB5_331:                              ;   in Loop: Header=BB5_171 Depth=1
	s_branch .LBB5_334
.LBB5_332:                              ;   Parent Loop BB5_171 Depth=1
                                        ; =>  This Inner Loop Header: Depth=2
	v_mov_b32_e32 v0, 1
	s_and_saveexec_b64 s[4:5], s[0:1]
	s_cbranch_execz .LBB5_329
; %bb.333:                              ;   in Loop: Header=BB5_332 Depth=2
	global_load_dword v0, v[8:9], off offset:20 sc0 sc1
	s_waitcnt vmcnt(0)
	buffer_inv sc0 sc1
	v_and_b32_e32 v0, 1, v0
	s_branch .LBB5_329
.LBB5_334:                              ;   in Loop: Header=BB5_171 Depth=1
	s_and_saveexec_b64 s[4:5], s[0:1]
	s_cbranch_execz .LBB5_170
; %bb.335:                              ;   in Loop: Header=BB5_171 Depth=1
	global_load_dwordx2 v[4:5], v55, s[26:27] offset:40
	global_load_dwordx2 v[6:7], v55, s[26:27] offset:24 sc0 sc1
	global_load_dwordx2 v[8:9], v55, s[26:27]
	s_waitcnt vmcnt(2)
	v_lshl_add_u64 v[0:1], v[4:5], 0, 1
	v_lshl_add_u64 v[10:11], v[0:1], 0, s[2:3]
	v_cmp_eq_u64_e32 vcc, 0, v[10:11]
	s_waitcnt vmcnt(1)
	v_mov_b32_e32 v2, v6
	v_cndmask_b32_e32 v1, v11, v1, vcc
	v_cndmask_b32_e32 v0, v10, v0, vcc
	v_and_b32_e32 v3, v1, v5
	v_and_b32_e32 v4, v0, v4
	v_mul_lo_u32 v3, v3, 24
	v_mul_hi_u32 v5, v4, 24
	v_mul_lo_u32 v4, v4, 24
	v_add_u32_e32 v5, v5, v3
	s_waitcnt vmcnt(0)
	v_lshl_add_u64 v[4:5], v[8:9], 0, v[4:5]
	global_store_dwordx2 v[4:5], v[6:7], off
	v_mov_b32_e32 v3, v7
	buffer_wbl2 sc0 sc1
	s_waitcnt vmcnt(0)
	global_atomic_cmpswap_x2 v[2:3], v55, v[0:3], s[26:27] offset:24 sc0 sc1
	s_waitcnt vmcnt(0)
	v_cmp_ne_u64_e32 vcc, v[2:3], v[6:7]
	s_and_b64 exec, exec, vcc
	s_cbranch_execz .LBB5_170
; %bb.336:                              ;   in Loop: Header=BB5_171 Depth=1
	s_mov_b64 s[0:1], 0
.LBB5_337:                              ;   Parent Loop BB5_171 Depth=1
                                        ; =>  This Inner Loop Header: Depth=2
	s_sleep 1
	global_store_dwordx2 v[4:5], v[2:3], off
	buffer_wbl2 sc0 sc1
	s_waitcnt vmcnt(0)
	global_atomic_cmpswap_x2 v[6:7], v55, v[0:3], s[26:27] offset:24 sc0 sc1
	s_waitcnt vmcnt(0)
	v_cmp_eq_u64_e32 vcc, v[6:7], v[2:3]
	s_or_b64 s[0:1], vcc, s[0:1]
	v_mov_b64_e32 v[2:3], v[6:7]
	s_andn2_b64 exec, exec, s[0:1]
	s_cbranch_execnz .LBB5_337
	s_branch .LBB5_170
.LBB5_338:
	v_readlane_b32 s30, v37, 0
	v_readlane_b32 s31, v37, 1
	;; [unrolled: 1-line block ×3, first 2 shown]
	s_xor_saveexec_b64 s[2:3], -1
	scratch_load_dword v37, off, s33        ; 4-byte Folded Reload
	s_mov_b64 exec, s[2:3]
	s_add_i32 s32, s32, -16
	s_mov_b32 s33, s0
	s_waitcnt vmcnt(0) lgkmcnt(0)
	s_setpc_b64 s[30:31]
.Lfunc_end5:
	.size	_ZN8migraphx4testlsIKNS_13basic_printerIZNS_4coutEvEUlT_E_EEEERS3_S7_RKNS0_10expressionINS0_14lhs_expressionIRNS_5arrayIiLj8EEENS0_3nopEEESC_NS0_5equalEEE, .Lfunc_end5-_ZN8migraphx4testlsIKNS_13basic_printerIZNS_4coutEvEUlT_E_EEEERS3_S7_RKNS0_10expressionINS0_14lhs_expressionIRNS_5arrayIiLj8EEENS0_3nopEEESC_NS0_5equalEEE
                                        ; -- End function
	.section	.AMDGPU.csdata,"",@progbits
; Function info:
; codeLenInByte = 11748
; NumSgprs: 42
; NumVgprs: 62
; NumAgprs: 0
; TotalNumVgprs: 62
; ScratchSize: 16
; MemoryBound: 0
	.text
	.p2align	2                               ; -- Begin function _ZL17merge_interleavedRN8migraphx4test12test_managerE
	.type	_ZL17merge_interleavedRN8migraphx4test12test_managerE,@function
_ZL17merge_interleavedRN8migraphx4test12test_managerE: ; @_ZL17merge_interleavedRN8migraphx4test12test_managerE
; %bb.0:
	s_waitcnt vmcnt(0) expcnt(0) lgkmcnt(0)
	s_mov_b32 s0, s33
	s_mov_b32 s33, s32
	s_or_saveexec_b64 s[2:3], -1
	scratch_store_dword off, v47, s33 offset:112 ; 4-byte Folded Spill
	s_mov_b64 exec, s[2:3]
	v_writelane_b32 v47, s0, 2
	v_writelane_b32 v47, s30, 0
	s_addk_i32 s32, 0x80
	s_nop 0
	v_writelane_b32 v47, s31, 1
	v_mov_b32_e32 v21, v1
	v_mov_b32_e32 v20, v0
	;; [unrolled: 1-line block ×6, first 2 shown]
	s_mov_b32 s0, 0
	scratch_store_dwordx4 off, v[0:3], s33
	s_mov_b32 s1, s0
	s_mov_b32 s2, s0
	v_mov_b32_e32 v0, 2
	v_mov_b32_e32 v1, 4
	;; [unrolled: 1-line block ×4, first 2 shown]
	scratch_store_dwordx4 off, v[0:3], s33 offset:16
	s_mov_b32 s3, s0
	v_mov_b32_e32 v6, 0
	v_mov_b64_e32 v[0:1], s[0:1]
	v_mov_b64_e32 v[2:3], s[2:3]
	s_add_i32 s0, s33, 32
	scratch_store_dwordx4 off, v[0:3], s33 offset:32
	scratch_store_dwordx4 off, v[0:3], s33 offset:48
                                        ; implicit-def: $sgpr2_sgpr3
                                        ; implicit-def: $sgpr6_sgpr7
                                        ; implicit-def: $sgpr4_sgpr5
	s_nop 1
	v_mov_b32_e32 v2, s0
	s_mov_b64 s[0:1], 0
	v_mov_b32_e32 v3, 0
	s_branch .LBB6_2
.LBB6_1:                                ;   in Loop: Header=BB6_2 Depth=1
	s_or_b64 exec, exec, s[10:11]
	s_and_b64 s[10:11], exec, s[6:7]
	s_or_b64 s[0:1], s[10:11], s[0:1]
	s_andn2_b64 s[2:3], s[2:3], exec
	s_and_b64 s[10:11], s[4:5], exec
	s_or_b64 s[2:3], s[2:3], s[10:11]
	s_andn2_b64 exec, exec, s[0:1]
	s_cbranch_execz .LBB6_4
.LBB6_2:                                ; =>This Inner Loop Header: Depth=1
	v_mov_b32_e32 v1, v6
	v_mov_b32_e32 v0, v2
	v_cmp_ne_u32_e32 vcc, 16, v3
	s_or_b64 s[4:5], s[4:5], exec
	s_or_b64 s[6:7], s[6:7], exec
                                        ; implicit-def: $vgpr6
                                        ; implicit-def: $vgpr2
                                        ; implicit-def: $vgpr4
                                        ; implicit-def: $vgpr5
	s_and_saveexec_b64 s[10:11], vcc
	s_cbranch_execz .LBB6_1
; %bb.3:                                ;   in Loop: Header=BB6_2 Depth=1
	s_add_i32 s15, s33, 16
	v_add_u32_e32 v4, s15, v3
	v_add_u32_e32 v2, s33, v1
	scratch_load_dword v5, v4, off
	scratch_load_dword v6, v2, off
	s_andn2_b64 s[6:7], s[6:7], exec
	v_add_u32_e32 v2, 4, v0
	s_andn2_b64 s[4:5], s[4:5], exec
	s_waitcnt vmcnt(0)
	v_cmp_ge_i32_e32 vcc, v5, v6
	s_nop 1
	v_cndmask_b32_e64 v8, 0, 1, vcc
	v_min_i32_e32 v7, v5, v6
	v_cmp_lt_i32_e32 vcc, v5, v6
	v_lshl_add_u32 v6, v8, 2, v1
	scratch_store_dword v0, v7, off
	v_cndmask_b32_e64 v5, 0, 1, vcc
	v_cmp_eq_u32_e32 vcc, 16, v6
	v_lshlrev_b32_e32 v5, 2, v5
	s_and_b64 s[16:17], vcc, exec
	v_add_u32_e32 v3, v5, v3
	s_or_b64 s[6:7], s[6:7], s[16:17]
	s_branch .LBB6_1
.LBB6_4:
	s_or_b64 exec, exec, s[0:1]
	s_xor_b64 s[0:1], s[2:3], -1
	s_and_saveexec_b64 s[2:3], s[0:1]
	s_xor_b64 s[0:1], exec, s[2:3]
	s_cbranch_execz .LBB6_14
; %bb.5:
	v_cmp_ne_u32_e32 vcc, 16, v3
	s_and_saveexec_b64 s[2:3], vcc
	s_cbranch_execz .LBB6_13
; %bb.6:
	v_cmp_ne_u32_e32 vcc, 12, v3
	s_mov_b64 s[6:7], -1
	v_mov_b32_e32 v6, 12
	s_and_saveexec_b64 s[4:5], vcc
	s_cbranch_execz .LBB6_10
; %bb.7:
	v_sub_u32_e32 v6, 12, v3
	v_lshrrev_b32_e32 v6, 2, v6
	v_add_u32_e32 v7, 1, v6
	v_and_b32_e32 v8, 0x7ffffffe, v7
	v_add_u32_e32 v4, v4, v5
	s_mov_b32 s10, 0
	s_mov_b64 s[6:7], 0
	v_mov_b32_e32 v5, v8
.LBB6_8:                                ; =>This Inner Loop Header: Depth=1
	v_add_u32_e32 v6, s10, v4
	scratch_load_dwordx2 v[10:11], v6, off
	v_add_u32_e32 v5, -2, v5
	v_add_u32_e32 v6, s10, v2
	s_add_i32 s10, s10, 8
	v_cmp_eq_u32_e32 vcc, 0, v5
	s_or_b64 s[6:7], vcc, s[6:7]
	s_waitcnt vmcnt(0)
	scratch_store_dwordx2 v6, v[10:11], off
	s_andn2_b64 exec, exec, s[6:7]
	s_cbranch_execnz .LBB6_8
; %bb.9:
	s_or_b64 exec, exec, s[6:7]
	v_lshlrev_b32_e32 v4, 2, v8
	v_cmp_ne_u32_e32 vcc, v7, v8
	v_add_u32_e32 v2, v2, v4
	v_add_u32_e32 v6, v3, v4
	s_orn2_b64 s[6:7], vcc, exec
.LBB6_10:
	s_or_b64 exec, exec, s[4:5]
	s_and_b64 exec, exec, s[6:7]
	s_cbranch_execz .LBB6_13
; %bb.11:
	s_mov_b64 s[4:5], 0
.LBB6_12:                               ; =>This Inner Loop Header: Depth=1
	s_add_i32 s6, s33, 16
	v_add_u32_e32 v3, s6, v6
	scratch_load_dword v3, v3, off
	v_add_u32_e32 v6, 4, v6
	v_add_u32_e32 v4, 4, v2
	v_cmp_eq_u32_e32 vcc, 16, v6
	s_or_b64 s[4:5], vcc, s[4:5]
	s_waitcnt vmcnt(0)
	scratch_store_dword v2, v3, off
	v_mov_b32_e32 v2, v4
	s_andn2_b64 exec, exec, s[4:5]
	s_cbranch_execnz .LBB6_12
.LBB6_13:
	s_or_b64 exec, exec, s[2:3]
.LBB6_14:
	s_andn2_saveexec_b64 s[0:1], s[0:1]
	s_cbranch_execz .LBB6_23
; %bb.15:
	v_cmp_ne_u32_e32 vcc, 12, v1
	s_mov_b64 s[4:5], -1
	v_mov_b32_e32 v2, 12
	s_and_saveexec_b64 s[2:3], vcc
	s_cbranch_execz .LBB6_19
; %bb.16:
	v_sub_u32_e32 v2, 12, v1
	v_lshrrev_b32_e32 v2, 2, v2
	v_add_u32_e32 v3, 1, v2
	v_and_b32_e32 v4, 0x7ffffffe, v3
	v_add_u32_e32 v2, s33, v1
	s_mov_b32 s6, 0
	s_mov_b64 s[4:5], 0
	v_mov_b32_e32 v5, v4
.LBB6_17:                               ; =>This Inner Loop Header: Depth=1
	v_add_u32_e32 v6, s6, v2
	scratch_load_dwordx2 v[6:7], v6, off
	v_add_u32_e32 v5, -2, v5
	v_add_u32_e32 v8, s6, v0
	s_add_i32 s6, s6, 8
	v_cmp_eq_u32_e32 vcc, 0, v5
	s_or_b64 s[4:5], vcc, s[4:5]
	s_waitcnt vmcnt(0)
	scratch_store_dwordx2 v8, v[6:7], off
	s_andn2_b64 exec, exec, s[4:5]
	s_cbranch_execnz .LBB6_17
; %bb.18:
	s_or_b64 exec, exec, s[4:5]
	v_lshlrev_b32_e32 v2, 2, v4
	v_cmp_ne_u32_e32 vcc, v3, v4
	v_add_u32_e32 v0, v0, v2
	v_add_u32_e32 v2, v1, v2
	s_orn2_b64 s[4:5], vcc, exec
.LBB6_19:
	s_or_b64 exec, exec, s[2:3]
	s_and_saveexec_b64 s[2:3], s[4:5]
	s_cbranch_execz .LBB6_22
; %bb.20:
	s_mov_b64 s[4:5], 0
.LBB6_21:                               ; =>This Inner Loop Header: Depth=1
	v_add_u32_e32 v1, s33, v2
	scratch_load_dword v1, v1, off
	v_add_u32_e32 v2, 4, v2
	v_add_u32_e32 v3, 4, v0
	v_cmp_eq_u32_e32 vcc, 16, v2
	s_or_b64 s[4:5], vcc, s[4:5]
	s_waitcnt vmcnt(0)
	scratch_store_dword v0, v1, off
	v_mov_b32_e32 v0, v3
	s_andn2_b64 exec, exec, s[4:5]
	s_cbranch_execnz .LBB6_21
.LBB6_22:
	s_or_b64 exec, exec, s[2:3]
.LBB6_23:
	s_or_b64 exec, exec, s[0:1]
	scratch_load_dwordx4 v[0:3], off, s33 offset:32
	scratch_load_dwordx4 v[4:7], off, s33 offset:48
	s_mov_b64 s[0:1], src_private_base
	s_add_i32 s0, s33, 32
	v_mov_b32_e32 v16, s0
	s_add_i32 s0, s33, 64
	v_mov_b32_e32 v18, s0
	s_movk_i32 s0, 0xff
	v_mov_b32_e32 v8, 1
	v_mov_b32_e32 v9, 2
	;; [unrolled: 1-line block ×10, first 2 shown]
	scratch_store_dwordx4 off, v[8:11], s33 offset:64
	scratch_store_dwordx4 off, v[12:15], s33 offset:80
	;; [unrolled: 1-line block ×3, first 2 shown]
	s_waitcnt vmcnt(4)
	v_cmp_ne_u32_e32 vcc, 2, v1
	s_nop 1
	v_cndmask_b32_e64 v1, 0, 1, vcc
	v_cmp_ne_u32_e32 vcc, 1, v0
	v_lshlrev_b16_e32 v1, 1, v1
	s_nop 0
	v_cndmask_b32_e64 v0, 0, 1, vcc
	v_cmp_ne_u32_e32 vcc, 3, v2
	v_bitop3_b16 v0, v0, 3, v1 bitop3:0xc8
	s_nop 0
	v_cndmask_b32_e64 v2, 0, 1, vcc
	v_cmp_ne_u32_e32 vcc, 4, v3
	v_lshlrev_b16_e32 v2, 2, v2
	s_nop 0
	v_cndmask_b32_e64 v3, 0, 1, vcc
	s_waitcnt vmcnt(3)
	v_cmp_ne_u32_e32 vcc, 7, v6
	v_lshlrev_b16_e32 v3, 3, v3
	v_or_b32_e32 v1, v3, v2
	v_cndmask_b32_e64 v6, 0, 1, vcc
	v_cmp_ne_u32_e32 vcc, 8, v7
	v_lshlrev_b16_e32 v6, 2, v6
	v_bitop3_b16 v0, v0, 15, v1 bitop3:0xc8
	v_cndmask_b32_e64 v7, 0, 1, vcc
	v_cmp_ne_u32_e32 vcc, 6, v5
	v_lshlrev_b16_e32 v7, 3, v7
	v_or_b32_e32 v2, v7, v6
	v_cndmask_b32_e64 v5, 0, 1, vcc
	v_cmp_ne_u32_e32 vcc, 5, v4
	v_lshlrev_b16_e32 v5, 1, v5
	s_nop 0
	v_cndmask_b32_e64 v4, 0, 1, vcc
	v_or_b32_e32 v3, v4, v5
	v_bitop3_b16 v1, v3, v2, 3 bitop3:0xec
	v_lshlrev_b16_e32 v1, 4, v1
	v_bitop3_b16 v0, v0, s0, v1 bitop3:0xc8
	v_cmp_ne_u16_e32 vcc, 0, v0
	s_and_saveexec_b64 s[0:1], vcc
	s_xor_b64 s[38:39], exec, s[0:1]
	s_cbranch_execz .LBB6_1585
; %bb.24:
	v_and_b32_e32 v0, 0x3ff, v31
	v_cmp_eq_u32_e32 vcc, 0, v0
	s_and_saveexec_b64 s[40:41], vcc
	s_cbranch_execz .LBB6_1584
; %bb.25:
	s_load_dwordx2 s[2:3], s[8:9], 0x50
	v_mbcnt_lo_u32_b32 v0, -1, 0
	v_mbcnt_hi_u32_b32 v36, -1, v0
	v_accvgpr_write_b32 a0, v20
	v_readfirstlane_b32 s0, v36
	v_accvgpr_write_b32 a1, v21
	v_mov_b64_e32 v[4:5], 0
	v_cmp_eq_u32_e64 s[0:1], s0, v36
	s_and_saveexec_b64 s[4:5], s[0:1]
	s_cbranch_execz .LBB6_31
; %bb.26:
	v_mov_b32_e32 v0, 0
	s_waitcnt lgkmcnt(0)
	global_load_dwordx2 v[6:7], v0, s[2:3] offset:24 sc0 sc1
	s_waitcnt vmcnt(0)
	buffer_inv sc0 sc1
	global_load_dwordx2 v[2:3], v0, s[2:3] offset:40
	global_load_dwordx2 v[4:5], v0, s[2:3]
	s_waitcnt vmcnt(1)
	v_and_b32_e32 v1, v2, v6
	v_and_b32_e32 v2, v3, v7
	v_mul_lo_u32 v2, v2, 24
	v_mul_hi_u32 v3, v1, 24
	v_add_u32_e32 v3, v3, v2
	v_mul_lo_u32 v2, v1, 24
	s_waitcnt vmcnt(0)
	v_lshl_add_u64 v[2:3], v[4:5], 0, v[2:3]
	global_load_dwordx2 v[4:5], v[2:3], off sc0 sc1
	s_waitcnt vmcnt(0)
	global_atomic_cmpswap_x2 v[4:5], v0, v[4:7], s[2:3] offset:24 sc0 sc1
	s_waitcnt vmcnt(0)
	buffer_inv sc0 sc1
	v_cmp_ne_u64_e32 vcc, v[4:5], v[6:7]
	s_and_saveexec_b64 s[6:7], vcc
	s_cbranch_execz .LBB6_30
; %bb.27:
	s_mov_b64 s[10:11], 0
.LBB6_28:                               ; =>This Inner Loop Header: Depth=1
	s_sleep 1
	global_load_dwordx2 v[2:3], v0, s[2:3] offset:40
	global_load_dwordx2 v[8:9], v0, s[2:3]
	v_mov_b64_e32 v[6:7], v[4:5]
	s_waitcnt vmcnt(1)
	v_and_b32_e32 v2, v2, v6
	v_and_b32_e32 v1, v3, v7
	s_waitcnt vmcnt(0)
	v_mad_u64_u32 v[2:3], s[16:17], v2, 24, v[8:9]
	v_mov_b32_e32 v4, v3
	v_mad_u64_u32 v[4:5], s[16:17], v1, 24, v[4:5]
	v_mov_b32_e32 v3, v4
	global_load_dwordx2 v[4:5], v[2:3], off sc0 sc1
	s_waitcnt vmcnt(0)
	global_atomic_cmpswap_x2 v[4:5], v0, v[4:7], s[2:3] offset:24 sc0 sc1
	s_waitcnt vmcnt(0)
	buffer_inv sc0 sc1
	v_cmp_eq_u64_e32 vcc, v[4:5], v[6:7]
	s_or_b64 s[10:11], vcc, s[10:11]
	s_andn2_b64 exec, exec, s[10:11]
	s_cbranch_execnz .LBB6_28
; %bb.29:
	s_or_b64 exec, exec, s[10:11]
.LBB6_30:
	s_or_b64 exec, exec, s[6:7]
.LBB6_31:
	s_or_b64 exec, exec, s[4:5]
	v_mov_b32_e32 v29, 0
	s_waitcnt lgkmcnt(0)
	global_load_dwordx2 v[6:7], v29, s[2:3] offset:40
	global_load_dwordx4 v[0:3], v29, s[2:3]
	v_readfirstlane_b32 s4, v4
	v_readfirstlane_b32 s5, v5
	s_mov_b64 s[6:7], exec
	s_waitcnt vmcnt(1)
	v_readfirstlane_b32 s10, v6
	v_readfirstlane_b32 s11, v7
	s_and_b64 s[10:11], s[4:5], s[10:11]
	s_mul_i32 s15, s11, 24
	s_mul_hi_u32 s16, s10, 24
	s_add_i32 s17, s16, s15
	s_mul_i32 s16, s10, 24
	s_waitcnt vmcnt(0)
	v_lshl_add_u64 v[4:5], v[0:1], 0, s[16:17]
	s_and_saveexec_b64 s[16:17], s[0:1]
	s_cbranch_execz .LBB6_33
; %bb.32:
	v_mov_b64_e32 v[6:7], s[6:7]
	v_mov_b32_e32 v8, 2
	v_mov_b32_e32 v9, 1
	global_store_dwordx4 v[4:5], v[6:9], off offset:8
.LBB6_33:
	s_or_b64 exec, exec, s[16:17]
	s_lshl_b64 s[6:7], s[10:11], 12
	v_lshl_add_u64 v[6:7], v[2:3], 0, s[6:7]
	s_mov_b32 s16, 0
	v_lshlrev_b32_e32 v28, 6, v36
	v_mov_b32_e32 v8, 33
	v_mov_b32_e32 v9, v29
	;; [unrolled: 1-line block ×4, first 2 shown]
	v_readfirstlane_b32 s6, v6
	v_readfirstlane_b32 s7, v7
	s_mov_b32 s17, s16
	s_mov_b32 s18, s16
	s_mov_b32 s19, s16
	s_nop 1
	global_store_dwordx4 v28, v[8:11], s[6:7]
	s_nop 1
	v_mov_b64_e32 v[8:9], s[16:17]
	v_mov_b64_e32 v[10:11], s[18:19]
	global_store_dwordx4 v28, v[8:11], s[6:7] offset:16
	global_store_dwordx4 v28, v[8:11], s[6:7] offset:32
	;; [unrolled: 1-line block ×3, first 2 shown]
	s_and_saveexec_b64 s[6:7], s[0:1]
	s_cbranch_execz .LBB6_41
; %bb.34:
	v_mov_b32_e32 v10, 0
	global_load_dwordx2 v[14:15], v10, s[2:3] offset:32 sc0 sc1
	global_load_dwordx2 v[2:3], v10, s[2:3] offset:40
	v_mov_b32_e32 v12, s4
	v_mov_b32_e32 v13, s5
	s_waitcnt vmcnt(0)
	v_and_b32_e32 v2, s4, v2
	v_and_b32_e32 v3, s5, v3
	v_mul_lo_u32 v3, v3, 24
	v_mul_hi_u32 v8, v2, 24
	v_mul_lo_u32 v2, v2, 24
	v_add_u32_e32 v3, v8, v3
	v_lshl_add_u64 v[8:9], v[0:1], 0, v[2:3]
	global_store_dwordx2 v[8:9], v[14:15], off
	buffer_wbl2 sc0 sc1
	s_waitcnt vmcnt(0)
	global_atomic_cmpswap_x2 v[2:3], v10, v[12:15], s[2:3] offset:32 sc0 sc1
	s_waitcnt vmcnt(0)
	v_cmp_ne_u64_e32 vcc, v[2:3], v[14:15]
	s_and_saveexec_b64 s[10:11], vcc
	s_cbranch_execz .LBB6_37
; %bb.35:
	s_mov_b64 s[16:17], 0
.LBB6_36:                               ; =>This Inner Loop Header: Depth=1
	s_sleep 1
	global_store_dwordx2 v[8:9], v[2:3], off
	v_mov_b32_e32 v0, s4
	v_mov_b32_e32 v1, s5
	buffer_wbl2 sc0 sc1
	s_waitcnt vmcnt(0)
	global_atomic_cmpswap_x2 v[0:1], v10, v[0:3], s[2:3] offset:32 sc0 sc1
	s_waitcnt vmcnt(0)
	v_cmp_eq_u64_e32 vcc, v[0:1], v[2:3]
	s_or_b64 s[16:17], vcc, s[16:17]
	v_mov_b64_e32 v[2:3], v[0:1]
	s_andn2_b64 exec, exec, s[16:17]
	s_cbranch_execnz .LBB6_36
.LBB6_37:
	s_or_b64 exec, exec, s[10:11]
	v_mov_b32_e32 v3, 0
	global_load_dwordx2 v[0:1], v3, s[2:3] offset:16
	s_mov_b64 s[10:11], exec
	v_mbcnt_lo_u32_b32 v2, s10, 0
	v_mbcnt_hi_u32_b32 v2, s11, v2
	v_cmp_eq_u32_e32 vcc, 0, v2
	s_and_saveexec_b64 s[16:17], vcc
	s_cbranch_execz .LBB6_39
; %bb.38:
	s_bcnt1_i32_b64 s10, s[10:11]
	v_mov_b32_e32 v2, s10
	buffer_wbl2 sc0 sc1
	s_waitcnt vmcnt(0)
	global_atomic_add_x2 v[0:1], v[2:3], off offset:8 sc1
.LBB6_39:
	s_or_b64 exec, exec, s[16:17]
	s_waitcnt vmcnt(0)
	global_load_dwordx2 v[2:3], v[0:1], off offset:16
	s_waitcnt vmcnt(0)
	v_cmp_eq_u64_e32 vcc, 0, v[2:3]
	s_cbranch_vccnz .LBB6_41
; %bb.40:
	global_load_dword v0, v[0:1], off offset:24
	v_mov_b32_e32 v1, 0
	buffer_wbl2 sc0 sc1
	s_waitcnt vmcnt(0)
	global_store_dwordx2 v[2:3], v[0:1], off sc0 sc1
	v_and_b32_e32 v0, 0xffffff, v0
	s_nop 0
	v_readfirstlane_b32 m0, v0
	s_sendmsg sendmsg(MSG_INTERRUPT)
.LBB6_41:
	s_or_b64 exec, exec, s[6:7]
	v_lshl_add_u64 v[0:1], v[6:7], 0, v[28:29]
	s_branch .LBB6_45
.LBB6_42:                               ;   in Loop: Header=BB6_45 Depth=1
	s_or_b64 exec, exec, s[6:7]
	v_readfirstlane_b32 s6, v2
	s_cmp_eq_u32 s6, 0
	s_cbranch_scc1 .LBB6_44
; %bb.43:                               ;   in Loop: Header=BB6_45 Depth=1
	s_sleep 1
	s_cbranch_execnz .LBB6_45
	s_branch .LBB6_47
.LBB6_44:
	s_branch .LBB6_47
.LBB6_45:                               ; =>This Inner Loop Header: Depth=1
	v_mov_b32_e32 v2, 1
	s_and_saveexec_b64 s[6:7], s[0:1]
	s_cbranch_execz .LBB6_42
; %bb.46:                               ;   in Loop: Header=BB6_45 Depth=1
	global_load_dword v2, v[4:5], off offset:20 sc0 sc1
	s_waitcnt vmcnt(0)
	buffer_inv sc0 sc1
	v_and_b32_e32 v2, 1, v2
	s_branch .LBB6_42
.LBB6_47:
	global_load_dwordx2 v[4:5], v[0:1], off
	s_and_saveexec_b64 s[6:7], s[0:1]
	s_cbranch_execz .LBB6_50
; %bb.48:
	v_mov_b32_e32 v8, 0
	global_load_dwordx2 v[6:7], v8, s[2:3] offset:40
	global_load_dwordx2 v[10:11], v8, s[2:3] offset:24 sc0 sc1
	global_load_dwordx2 v[12:13], v8, s[2:3]
	s_mov_b64 s[0:1], 0
	s_waitcnt vmcnt(2)
	v_lshl_add_u64 v[0:1], v[6:7], 0, 1
	v_lshl_add_u64 v[14:15], v[0:1], 0, s[4:5]
	v_cmp_eq_u64_e32 vcc, 0, v[14:15]
	s_waitcnt vmcnt(1)
	v_mov_b32_e32 v2, v10
	v_cndmask_b32_e32 v1, v15, v1, vcc
	v_cndmask_b32_e32 v0, v14, v0, vcc
	v_and_b32_e32 v3, v1, v7
	v_and_b32_e32 v6, v0, v6
	v_mul_lo_u32 v3, v3, 24
	v_mul_hi_u32 v7, v6, 24
	v_mul_lo_u32 v6, v6, 24
	v_add_u32_e32 v7, v7, v3
	s_waitcnt vmcnt(0)
	v_lshl_add_u64 v[6:7], v[12:13], 0, v[6:7]
	global_store_dwordx2 v[6:7], v[10:11], off
	v_mov_b32_e32 v3, v11
	buffer_wbl2 sc0 sc1
	s_waitcnt vmcnt(0)
	global_atomic_cmpswap_x2 v[2:3], v8, v[0:3], s[2:3] offset:24 sc0 sc1
	s_waitcnt vmcnt(0)
	v_cmp_ne_u64_e32 vcc, v[2:3], v[10:11]
	s_and_b64 exec, exec, vcc
	s_cbranch_execz .LBB6_50
.LBB6_49:                               ; =>This Inner Loop Header: Depth=1
	s_sleep 1
	global_store_dwordx2 v[6:7], v[2:3], off
	buffer_wbl2 sc0 sc1
	s_waitcnt vmcnt(0)
	global_atomic_cmpswap_x2 v[10:11], v8, v[0:3], s[2:3] offset:24 sc0 sc1
	s_waitcnt vmcnt(0)
	v_cmp_eq_u64_e32 vcc, v[10:11], v[2:3]
	s_or_b64 s[0:1], vcc, s[0:1]
	v_mov_b64_e32 v[2:3], v[10:11]
	s_andn2_b64 exec, exec, s[0:1]
	s_cbranch_execnz .LBB6_49
.LBB6_50:
	s_or_b64 exec, exec, s[6:7]
	s_getpc_b64 s[6:7]
	s_add_u32 s6, s6, .str.5@rel32@lo+4
	s_addc_u32 s7, s7, .str.5@rel32@hi+12
	s_cmp_lg_u64 s[6:7], 0
	s_cselect_b64 s[4:5], -1, 0
	s_and_b64 vcc, exec, s[4:5]
	s_cbranch_vccz .LBB6_135
; %bb.51:
	s_waitcnt vmcnt(0)
	v_and_b32_e32 v26, 2, v4
	v_mov_b32_e32 v31, 0
	v_and_b32_e32 v0, -3, v4
	v_mov_b32_e32 v1, v5
	s_mov_b64 s[10:11], 3
	v_mov_b32_e32 v8, 2
	v_mov_b32_e32 v9, 1
	s_branch .LBB6_53
.LBB6_52:                               ;   in Loop: Header=BB6_53 Depth=1
	s_or_b64 exec, exec, s[20:21]
	s_sub_u32 s10, s10, s16
	s_subb_u32 s11, s11, s17
	s_add_u32 s6, s6, s16
	s_addc_u32 s7, s7, s17
	s_cmp_lg_u64 s[10:11], 0
	s_cbranch_scc0 .LBB6_134
.LBB6_53:                               ; =>This Loop Header: Depth=1
                                        ;     Child Loop BB6_56 Depth 2
                                        ;     Child Loop BB6_63 Depth 2
	;; [unrolled: 1-line block ×11, first 2 shown]
	v_cmp_lt_u64_e64 s[0:1], s[10:11], 56
	s_and_b64 s[0:1], s[0:1], exec
	v_cmp_gt_u64_e64 s[0:1], s[10:11], 7
	s_cselect_b32 s17, s11, 0
	s_cselect_b32 s16, s10, 56
	s_and_b64 vcc, exec, s[0:1]
	s_cbranch_vccnz .LBB6_58
; %bb.54:                               ;   in Loop: Header=BB6_53 Depth=1
	s_mov_b64 s[0:1], 0
	s_cmp_eq_u64 s[10:11], 0
	s_waitcnt vmcnt(0)
	v_mov_b64_e32 v[2:3], 0
	s_cbranch_scc1 .LBB6_57
; %bb.55:                               ;   in Loop: Header=BB6_53 Depth=1
	s_lshl_b64 s[18:19], s[16:17], 3
	s_mov_b64 s[20:21], 0
	v_mov_b64_e32 v[2:3], 0
	s_mov_b64 s[22:23], s[6:7]
.LBB6_56:                               ;   Parent Loop BB6_53 Depth=1
                                        ; =>  This Inner Loop Header: Depth=2
	global_load_ubyte v6, v31, s[22:23]
	s_waitcnt vmcnt(0)
	v_and_b32_e32 v30, 0xffff, v6
	v_lshlrev_b64 v[6:7], s20, v[30:31]
	s_add_u32 s20, s20, 8
	s_addc_u32 s21, s21, 0
	s_add_u32 s22, s22, 1
	s_addc_u32 s23, s23, 0
	v_or_b32_e32 v2, v6, v2
	s_cmp_lg_u32 s18, s20
	v_or_b32_e32 v3, v7, v3
	s_cbranch_scc1 .LBB6_56
.LBB6_57:                               ;   in Loop: Header=BB6_53 Depth=1
	s_mov_b32 s15, 0
	s_andn2_b64 vcc, exec, s[0:1]
	s_mov_b64 s[0:1], s[6:7]
	s_cbranch_vccz .LBB6_59
	s_branch .LBB6_60
.LBB6_58:                               ;   in Loop: Header=BB6_53 Depth=1
                                        ; implicit-def: $vgpr2_vgpr3
                                        ; implicit-def: $sgpr15
	s_mov_b64 s[0:1], s[6:7]
.LBB6_59:                               ;   in Loop: Header=BB6_53 Depth=1
	global_load_dwordx2 v[2:3], v31, s[6:7]
	s_add_i32 s15, s16, -8
	s_add_u32 s0, s6, 8
	s_addc_u32 s1, s7, 0
.LBB6_60:                               ;   in Loop: Header=BB6_53 Depth=1
	s_cmp_gt_u32 s15, 7
	s_cbranch_scc1 .LBB6_64
; %bb.61:                               ;   in Loop: Header=BB6_53 Depth=1
	s_cmp_eq_u32 s15, 0
	s_cbranch_scc1 .LBB6_65
; %bb.62:                               ;   in Loop: Header=BB6_53 Depth=1
	s_mov_b64 s[18:19], 0
	v_mov_b64_e32 v[10:11], 0
	s_mov_b64 s[20:21], 0
.LBB6_63:                               ;   Parent Loop BB6_53 Depth=1
                                        ; =>  This Inner Loop Header: Depth=2
	s_add_u32 s22, s0, s20
	s_addc_u32 s23, s1, s21
	global_load_ubyte v6, v31, s[22:23]
	s_add_u32 s20, s20, 1
	s_addc_u32 s21, s21, 0
	s_waitcnt vmcnt(0)
	v_and_b32_e32 v30, 0xffff, v6
	v_lshlrev_b64 v[6:7], s18, v[30:31]
	s_add_u32 s18, s18, 8
	s_addc_u32 s19, s19, 0
	v_or_b32_e32 v10, v6, v10
	s_cmp_lg_u32 s15, s20
	v_or_b32_e32 v11, v7, v11
	s_cbranch_scc1 .LBB6_63
	s_branch .LBB6_66
.LBB6_64:                               ;   in Loop: Header=BB6_53 Depth=1
                                        ; implicit-def: $vgpr10_vgpr11
                                        ; implicit-def: $sgpr22
	s_branch .LBB6_67
.LBB6_65:                               ;   in Loop: Header=BB6_53 Depth=1
	v_mov_b64_e32 v[10:11], 0
.LBB6_66:                               ;   in Loop: Header=BB6_53 Depth=1
	s_mov_b32 s22, 0
	s_cbranch_execnz .LBB6_68
.LBB6_67:                               ;   in Loop: Header=BB6_53 Depth=1
	global_load_dwordx2 v[10:11], v31, s[0:1]
	s_add_i32 s22, s15, -8
	s_add_u32 s0, s0, 8
	s_addc_u32 s1, s1, 0
.LBB6_68:                               ;   in Loop: Header=BB6_53 Depth=1
	s_cmp_gt_u32 s22, 7
	s_cbranch_scc1 .LBB6_72
; %bb.69:                               ;   in Loop: Header=BB6_53 Depth=1
	s_cmp_eq_u32 s22, 0
	s_cbranch_scc1 .LBB6_73
; %bb.70:                               ;   in Loop: Header=BB6_53 Depth=1
	s_mov_b64 s[18:19], 0
	v_mov_b64_e32 v[12:13], 0
	s_mov_b64 s[20:21], 0
.LBB6_71:                               ;   Parent Loop BB6_53 Depth=1
                                        ; =>  This Inner Loop Header: Depth=2
	s_add_u32 s24, s0, s20
	s_addc_u32 s25, s1, s21
	global_load_ubyte v6, v31, s[24:25]
	s_add_u32 s20, s20, 1
	s_addc_u32 s21, s21, 0
	s_waitcnt vmcnt(0)
	v_and_b32_e32 v30, 0xffff, v6
	v_lshlrev_b64 v[6:7], s18, v[30:31]
	s_add_u32 s18, s18, 8
	s_addc_u32 s19, s19, 0
	v_or_b32_e32 v12, v6, v12
	s_cmp_lg_u32 s22, s20
	v_or_b32_e32 v13, v7, v13
	s_cbranch_scc1 .LBB6_71
	s_branch .LBB6_74
.LBB6_72:                               ;   in Loop: Header=BB6_53 Depth=1
                                        ; implicit-def: $sgpr15
	s_branch .LBB6_75
.LBB6_73:                               ;   in Loop: Header=BB6_53 Depth=1
	v_mov_b64_e32 v[12:13], 0
.LBB6_74:                               ;   in Loop: Header=BB6_53 Depth=1
	s_mov_b32 s15, 0
	s_cbranch_execnz .LBB6_76
.LBB6_75:                               ;   in Loop: Header=BB6_53 Depth=1
	global_load_dwordx2 v[12:13], v31, s[0:1]
	s_add_i32 s15, s22, -8
	s_add_u32 s0, s0, 8
	s_addc_u32 s1, s1, 0
.LBB6_76:                               ;   in Loop: Header=BB6_53 Depth=1
	s_cmp_gt_u32 s15, 7
	s_cbranch_scc1 .LBB6_80
; %bb.77:                               ;   in Loop: Header=BB6_53 Depth=1
	s_cmp_eq_u32 s15, 0
	s_cbranch_scc1 .LBB6_81
; %bb.78:                               ;   in Loop: Header=BB6_53 Depth=1
	s_mov_b64 s[18:19], 0
	v_mov_b64_e32 v[14:15], 0
	s_mov_b64 s[20:21], 0
.LBB6_79:                               ;   Parent Loop BB6_53 Depth=1
                                        ; =>  This Inner Loop Header: Depth=2
	s_add_u32 s22, s0, s20
	s_addc_u32 s23, s1, s21
	global_load_ubyte v6, v31, s[22:23]
	s_add_u32 s20, s20, 1
	s_addc_u32 s21, s21, 0
	s_waitcnt vmcnt(0)
	v_and_b32_e32 v30, 0xffff, v6
	v_lshlrev_b64 v[6:7], s18, v[30:31]
	s_add_u32 s18, s18, 8
	s_addc_u32 s19, s19, 0
	v_or_b32_e32 v14, v6, v14
	s_cmp_lg_u32 s15, s20
	v_or_b32_e32 v15, v7, v15
	s_cbranch_scc1 .LBB6_79
	s_branch .LBB6_82
.LBB6_80:                               ;   in Loop: Header=BB6_53 Depth=1
                                        ; implicit-def: $vgpr14_vgpr15
                                        ; implicit-def: $sgpr22
	s_branch .LBB6_83
.LBB6_81:                               ;   in Loop: Header=BB6_53 Depth=1
	v_mov_b64_e32 v[14:15], 0
.LBB6_82:                               ;   in Loop: Header=BB6_53 Depth=1
	s_mov_b32 s22, 0
	s_cbranch_execnz .LBB6_84
.LBB6_83:                               ;   in Loop: Header=BB6_53 Depth=1
	global_load_dwordx2 v[14:15], v31, s[0:1]
	s_add_i32 s22, s15, -8
	s_add_u32 s0, s0, 8
	s_addc_u32 s1, s1, 0
.LBB6_84:                               ;   in Loop: Header=BB6_53 Depth=1
	s_cmp_gt_u32 s22, 7
	s_cbranch_scc1 .LBB6_88
; %bb.85:                               ;   in Loop: Header=BB6_53 Depth=1
	s_cmp_eq_u32 s22, 0
	s_cbranch_scc1 .LBB6_89
; %bb.86:                               ;   in Loop: Header=BB6_53 Depth=1
	s_mov_b64 s[18:19], 0
	v_mov_b64_e32 v[16:17], 0
	s_mov_b64 s[20:21], 0
.LBB6_87:                               ;   Parent Loop BB6_53 Depth=1
                                        ; =>  This Inner Loop Header: Depth=2
	s_add_u32 s24, s0, s20
	s_addc_u32 s25, s1, s21
	global_load_ubyte v6, v31, s[24:25]
	s_add_u32 s20, s20, 1
	s_addc_u32 s21, s21, 0
	s_waitcnt vmcnt(0)
	v_and_b32_e32 v30, 0xffff, v6
	v_lshlrev_b64 v[6:7], s18, v[30:31]
	s_add_u32 s18, s18, 8
	s_addc_u32 s19, s19, 0
	v_or_b32_e32 v16, v6, v16
	s_cmp_lg_u32 s22, s20
	v_or_b32_e32 v17, v7, v17
	s_cbranch_scc1 .LBB6_87
	s_branch .LBB6_90
.LBB6_88:                               ;   in Loop: Header=BB6_53 Depth=1
                                        ; implicit-def: $sgpr15
	s_branch .LBB6_91
.LBB6_89:                               ;   in Loop: Header=BB6_53 Depth=1
	v_mov_b64_e32 v[16:17], 0
.LBB6_90:                               ;   in Loop: Header=BB6_53 Depth=1
	s_mov_b32 s15, 0
	s_cbranch_execnz .LBB6_92
.LBB6_91:                               ;   in Loop: Header=BB6_53 Depth=1
	global_load_dwordx2 v[16:17], v31, s[0:1]
	s_add_i32 s15, s22, -8
	s_add_u32 s0, s0, 8
	s_addc_u32 s1, s1, 0
.LBB6_92:                               ;   in Loop: Header=BB6_53 Depth=1
	s_cmp_gt_u32 s15, 7
	s_cbranch_scc1 .LBB6_96
; %bb.93:                               ;   in Loop: Header=BB6_53 Depth=1
	s_cmp_eq_u32 s15, 0
	s_cbranch_scc1 .LBB6_97
; %bb.94:                               ;   in Loop: Header=BB6_53 Depth=1
	s_mov_b64 s[18:19], 0
	v_mov_b64_e32 v[18:19], 0
	s_mov_b64 s[20:21], 0
.LBB6_95:                               ;   Parent Loop BB6_53 Depth=1
                                        ; =>  This Inner Loop Header: Depth=2
	s_add_u32 s22, s0, s20
	s_addc_u32 s23, s1, s21
	global_load_ubyte v6, v31, s[22:23]
	s_add_u32 s20, s20, 1
	s_addc_u32 s21, s21, 0
	s_waitcnt vmcnt(0)
	v_and_b32_e32 v30, 0xffff, v6
	v_lshlrev_b64 v[6:7], s18, v[30:31]
	s_add_u32 s18, s18, 8
	s_addc_u32 s19, s19, 0
	v_or_b32_e32 v18, v6, v18
	s_cmp_lg_u32 s15, s20
	v_or_b32_e32 v19, v7, v19
	s_cbranch_scc1 .LBB6_95
	s_branch .LBB6_98
.LBB6_96:                               ;   in Loop: Header=BB6_53 Depth=1
                                        ; implicit-def: $vgpr18_vgpr19
                                        ; implicit-def: $sgpr22
	s_branch .LBB6_99
.LBB6_97:                               ;   in Loop: Header=BB6_53 Depth=1
	v_mov_b64_e32 v[18:19], 0
.LBB6_98:                               ;   in Loop: Header=BB6_53 Depth=1
	s_mov_b32 s22, 0
	s_cbranch_execnz .LBB6_100
.LBB6_99:                               ;   in Loop: Header=BB6_53 Depth=1
	global_load_dwordx2 v[18:19], v31, s[0:1]
	s_add_i32 s22, s15, -8
	s_add_u32 s0, s0, 8
	s_addc_u32 s1, s1, 0
.LBB6_100:                              ;   in Loop: Header=BB6_53 Depth=1
	s_cmp_gt_u32 s22, 7
	s_cbranch_scc1 .LBB6_104
; %bb.101:                              ;   in Loop: Header=BB6_53 Depth=1
	s_cmp_eq_u32 s22, 0
	s_cbranch_scc1 .LBB6_105
; %bb.102:                              ;   in Loop: Header=BB6_53 Depth=1
	s_mov_b64 s[18:19], 0
	v_mov_b64_e32 v[20:21], 0
	s_mov_b64 s[20:21], s[0:1]
.LBB6_103:                              ;   Parent Loop BB6_53 Depth=1
                                        ; =>  This Inner Loop Header: Depth=2
	global_load_ubyte v6, v31, s[20:21]
	s_add_i32 s22, s22, -1
	s_waitcnt vmcnt(0)
	v_and_b32_e32 v30, 0xffff, v6
	v_lshlrev_b64 v[6:7], s18, v[30:31]
	s_add_u32 s18, s18, 8
	s_addc_u32 s19, s19, 0
	s_add_u32 s20, s20, 1
	s_addc_u32 s21, s21, 0
	v_or_b32_e32 v20, v6, v20
	s_cmp_lg_u32 s22, 0
	v_or_b32_e32 v21, v7, v21
	s_cbranch_scc1 .LBB6_103
	s_branch .LBB6_106
.LBB6_104:                              ;   in Loop: Header=BB6_53 Depth=1
	s_branch .LBB6_107
.LBB6_105:                              ;   in Loop: Header=BB6_53 Depth=1
	v_mov_b64_e32 v[20:21], 0
.LBB6_106:                              ;   in Loop: Header=BB6_53 Depth=1
	s_cbranch_execnz .LBB6_108
.LBB6_107:                              ;   in Loop: Header=BB6_53 Depth=1
	global_load_dwordx2 v[20:21], v31, s[0:1]
.LBB6_108:                              ;   in Loop: Header=BB6_53 Depth=1
	v_readfirstlane_b32 s0, v36
	v_mov_b64_e32 v[6:7], 0
	s_nop 0
	v_cmp_eq_u32_e64 s[0:1], s0, v36
	s_and_saveexec_b64 s[18:19], s[0:1]
	s_cbranch_execz .LBB6_114
; %bb.109:                              ;   in Loop: Header=BB6_53 Depth=1
	global_load_dwordx2 v[24:25], v31, s[2:3] offset:24 sc0 sc1
	s_waitcnt vmcnt(0)
	buffer_inv sc0 sc1
	global_load_dwordx2 v[6:7], v31, s[2:3] offset:40
	global_load_dwordx2 v[22:23], v31, s[2:3]
	s_waitcnt vmcnt(1)
	v_and_b32_e32 v6, v6, v24
	v_and_b32_e32 v7, v7, v25
	v_mul_lo_u32 v7, v7, 24
	v_mul_hi_u32 v27, v6, 24
	v_add_u32_e32 v7, v27, v7
	v_mul_lo_u32 v6, v6, 24
	s_waitcnt vmcnt(0)
	v_lshl_add_u64 v[6:7], v[22:23], 0, v[6:7]
	global_load_dwordx2 v[22:23], v[6:7], off sc0 sc1
	s_waitcnt vmcnt(0)
	global_atomic_cmpswap_x2 v[6:7], v31, v[22:25], s[2:3] offset:24 sc0 sc1
	s_waitcnt vmcnt(0)
	buffer_inv sc0 sc1
	v_cmp_ne_u64_e32 vcc, v[6:7], v[24:25]
	s_and_saveexec_b64 s[20:21], vcc
	s_cbranch_execz .LBB6_113
; %bb.110:                              ;   in Loop: Header=BB6_53 Depth=1
	s_mov_b64 s[22:23], 0
.LBB6_111:                              ;   Parent Loop BB6_53 Depth=1
                                        ; =>  This Inner Loop Header: Depth=2
	s_sleep 1
	global_load_dwordx2 v[22:23], v31, s[2:3] offset:40
	global_load_dwordx2 v[32:33], v31, s[2:3]
	v_mov_b64_e32 v[24:25], v[6:7]
	s_waitcnt vmcnt(1)
	v_and_b32_e32 v6, v22, v24
	s_waitcnt vmcnt(0)
	v_mad_u64_u32 v[6:7], s[24:25], v6, 24, v[32:33]
	v_and_b32_e32 v23, v23, v25
	v_mov_b32_e32 v22, v7
	v_mad_u64_u32 v[22:23], s[24:25], v23, 24, v[22:23]
	v_mov_b32_e32 v7, v22
	global_load_dwordx2 v[22:23], v[6:7], off sc0 sc1
	s_waitcnt vmcnt(0)
	global_atomic_cmpswap_x2 v[6:7], v31, v[22:25], s[2:3] offset:24 sc0 sc1
	s_waitcnt vmcnt(0)
	buffer_inv sc0 sc1
	v_cmp_eq_u64_e32 vcc, v[6:7], v[24:25]
	s_or_b64 s[22:23], vcc, s[22:23]
	s_andn2_b64 exec, exec, s[22:23]
	s_cbranch_execnz .LBB6_111
; %bb.112:                              ;   in Loop: Header=BB6_53 Depth=1
	s_or_b64 exec, exec, s[22:23]
.LBB6_113:                              ;   in Loop: Header=BB6_53 Depth=1
	s_or_b64 exec, exec, s[20:21]
.LBB6_114:                              ;   in Loop: Header=BB6_53 Depth=1
	s_or_b64 exec, exec, s[18:19]
	global_load_dwordx2 v[32:33], v31, s[2:3] offset:40
	global_load_dwordx4 v[22:25], v31, s[2:3]
	v_readfirstlane_b32 s18, v6
	v_readfirstlane_b32 s19, v7
	s_mov_b64 s[20:21], exec
	s_waitcnt vmcnt(1)
	v_readfirstlane_b32 s22, v32
	v_readfirstlane_b32 s23, v33
	s_and_b64 s[22:23], s[18:19], s[22:23]
	s_mul_i32 s15, s23, 24
	s_mul_hi_u32 s24, s22, 24
	s_add_i32 s25, s24, s15
	s_mul_i32 s24, s22, 24
	s_waitcnt vmcnt(0)
	v_lshl_add_u64 v[32:33], v[22:23], 0, s[24:25]
	s_and_saveexec_b64 s[24:25], s[0:1]
	s_cbranch_execz .LBB6_116
; %bb.115:                              ;   in Loop: Header=BB6_53 Depth=1
	v_mov_b64_e32 v[6:7], s[20:21]
	global_store_dwordx4 v[32:33], v[6:9], off offset:8
.LBB6_116:                              ;   in Loop: Header=BB6_53 Depth=1
	s_or_b64 exec, exec, s[24:25]
	s_lshl_b64 s[20:21], s[22:23], 12
	v_lshl_add_u64 v[6:7], v[24:25], 0, s[20:21]
	v_or_b32_e32 v25, v0, v26
	v_cmp_gt_u64_e64 vcc, s[10:11], 56
	s_lshl_b32 s15, s16, 2
	s_add_i32 s15, s15, 28
	v_cndmask_b32_e32 v0, v25, v0, vcc
	v_or_b32_e32 v24, 0, v1
	s_and_b32 s15, s15, 0x1e0
	v_and_b32_e32 v0, 0xffffff1f, v0
	v_cndmask_b32_e32 v1, v24, v1, vcc
	v_or_b32_e32 v0, s15, v0
	v_readfirstlane_b32 s20, v6
	v_readfirstlane_b32 s21, v7
	s_nop 4
	global_store_dwordx4 v28, v[0:3], s[20:21]
	global_store_dwordx4 v28, v[10:13], s[20:21] offset:16
	global_store_dwordx4 v28, v[14:17], s[20:21] offset:32
	;; [unrolled: 1-line block ×3, first 2 shown]
	s_and_saveexec_b64 s[20:21], s[0:1]
	s_cbranch_execz .LBB6_124
; %bb.117:                              ;   in Loop: Header=BB6_53 Depth=1
	global_load_dwordx2 v[14:15], v31, s[2:3] offset:32 sc0 sc1
	global_load_dwordx2 v[0:1], v31, s[2:3] offset:40
	v_mov_b32_e32 v12, s18
	v_mov_b32_e32 v13, s19
	s_waitcnt vmcnt(0)
	v_readfirstlane_b32 s22, v0
	v_readfirstlane_b32 s23, v1
	s_and_b64 s[22:23], s[22:23], s[18:19]
	s_mul_i32 s15, s23, 24
	s_mul_hi_u32 s23, s22, 24
	s_mul_i32 s22, s22, 24
	s_add_i32 s23, s23, s15
	v_lshl_add_u64 v[10:11], v[22:23], 0, s[22:23]
	global_store_dwordx2 v[10:11], v[14:15], off
	buffer_wbl2 sc0 sc1
	s_waitcnt vmcnt(0)
	global_atomic_cmpswap_x2 v[2:3], v31, v[12:15], s[2:3] offset:32 sc0 sc1
	s_waitcnt vmcnt(0)
	v_cmp_ne_u64_e32 vcc, v[2:3], v[14:15]
	s_and_saveexec_b64 s[22:23], vcc
	s_cbranch_execz .LBB6_120
; %bb.118:                              ;   in Loop: Header=BB6_53 Depth=1
	s_mov_b64 s[24:25], 0
.LBB6_119:                              ;   Parent Loop BB6_53 Depth=1
                                        ; =>  This Inner Loop Header: Depth=2
	s_sleep 1
	global_store_dwordx2 v[10:11], v[2:3], off
	v_mov_b32_e32 v0, s18
	v_mov_b32_e32 v1, s19
	buffer_wbl2 sc0 sc1
	s_waitcnt vmcnt(0)
	global_atomic_cmpswap_x2 v[0:1], v31, v[0:3], s[2:3] offset:32 sc0 sc1
	s_waitcnt vmcnt(0)
	v_cmp_eq_u64_e32 vcc, v[0:1], v[2:3]
	s_or_b64 s[24:25], vcc, s[24:25]
	v_mov_b64_e32 v[2:3], v[0:1]
	s_andn2_b64 exec, exec, s[24:25]
	s_cbranch_execnz .LBB6_119
.LBB6_120:                              ;   in Loop: Header=BB6_53 Depth=1
	s_or_b64 exec, exec, s[22:23]
	global_load_dwordx2 v[0:1], v31, s[2:3] offset:16
	s_mov_b64 s[24:25], exec
	v_mbcnt_lo_u32_b32 v2, s24, 0
	v_mbcnt_hi_u32_b32 v2, s25, v2
	v_cmp_eq_u32_e32 vcc, 0, v2
	s_and_saveexec_b64 s[22:23], vcc
	s_cbranch_execz .LBB6_122
; %bb.121:                              ;   in Loop: Header=BB6_53 Depth=1
	s_bcnt1_i32_b64 s15, s[24:25]
	v_mov_b32_e32 v30, s15
	buffer_wbl2 sc0 sc1
	s_waitcnt vmcnt(0)
	global_atomic_add_x2 v[0:1], v[30:31], off offset:8 sc1
.LBB6_122:                              ;   in Loop: Header=BB6_53 Depth=1
	s_or_b64 exec, exec, s[22:23]
	s_waitcnt vmcnt(0)
	global_load_dwordx2 v[2:3], v[0:1], off offset:16
	s_waitcnt vmcnt(0)
	v_cmp_eq_u64_e32 vcc, 0, v[2:3]
	s_cbranch_vccnz .LBB6_124
; %bb.123:                              ;   in Loop: Header=BB6_53 Depth=1
	global_load_dword v30, v[0:1], off offset:24
	s_waitcnt vmcnt(0)
	v_and_b32_e32 v0, 0xffffff, v30
	s_nop 0
	v_readfirstlane_b32 m0, v0
	buffer_wbl2 sc0 sc1
	global_store_dwordx2 v[2:3], v[30:31], off sc0 sc1
	s_sendmsg sendmsg(MSG_INTERRUPT)
.LBB6_124:                              ;   in Loop: Header=BB6_53 Depth=1
	s_or_b64 exec, exec, s[20:21]
	v_mov_b32_e32 v29, v31
	v_lshl_add_u64 v[0:1], v[6:7], 0, v[28:29]
	s_branch .LBB6_128
.LBB6_125:                              ;   in Loop: Header=BB6_128 Depth=2
	s_or_b64 exec, exec, s[20:21]
	v_readfirstlane_b32 s15, v2
	s_cmp_eq_u32 s15, 0
	s_cbranch_scc1 .LBB6_127
; %bb.126:                              ;   in Loop: Header=BB6_128 Depth=2
	s_sleep 1
	s_cbranch_execnz .LBB6_128
	s_branch .LBB6_130
.LBB6_127:                              ;   in Loop: Header=BB6_53 Depth=1
	s_branch .LBB6_130
.LBB6_128:                              ;   Parent Loop BB6_53 Depth=1
                                        ; =>  This Inner Loop Header: Depth=2
	v_mov_b32_e32 v2, 1
	s_and_saveexec_b64 s[20:21], s[0:1]
	s_cbranch_execz .LBB6_125
; %bb.129:                              ;   in Loop: Header=BB6_128 Depth=2
	global_load_dword v2, v[32:33], off offset:20 sc0 sc1
	s_waitcnt vmcnt(0)
	buffer_inv sc0 sc1
	v_and_b32_e32 v2, 1, v2
	s_branch .LBB6_125
.LBB6_130:                              ;   in Loop: Header=BB6_53 Depth=1
	global_load_dwordx4 v[0:3], v[0:1], off
	s_and_saveexec_b64 s[20:21], s[0:1]
	s_cbranch_execz .LBB6_52
; %bb.131:                              ;   in Loop: Header=BB6_53 Depth=1
	global_load_dwordx2 v[2:3], v31, s[2:3] offset:40
	global_load_dwordx2 v[6:7], v31, s[2:3] offset:24 sc0 sc1
	global_load_dwordx2 v[14:15], v31, s[2:3]
	s_waitcnt vmcnt(2)
	v_lshl_add_u64 v[10:11], v[2:3], 0, 1
	v_lshl_add_u64 v[16:17], v[10:11], 0, s[18:19]
	v_cmp_eq_u64_e32 vcc, 0, v[16:17]
	s_waitcnt vmcnt(1)
	v_mov_b32_e32 v12, v6
	v_cndmask_b32_e32 v11, v17, v11, vcc
	v_cndmask_b32_e32 v10, v16, v10, vcc
	v_and_b32_e32 v3, v11, v3
	v_and_b32_e32 v2, v10, v2
	v_mul_lo_u32 v3, v3, 24
	v_mul_hi_u32 v13, v2, 24
	v_mul_lo_u32 v2, v2, 24
	v_add_u32_e32 v3, v13, v3
	s_waitcnt vmcnt(0)
	v_lshl_add_u64 v[2:3], v[14:15], 0, v[2:3]
	global_store_dwordx2 v[2:3], v[6:7], off
	v_mov_b32_e32 v13, v7
	buffer_wbl2 sc0 sc1
	s_waitcnt vmcnt(0)
	global_atomic_cmpswap_x2 v[12:13], v31, v[10:13], s[2:3] offset:24 sc0 sc1
	s_waitcnt vmcnt(0)
	v_cmp_ne_u64_e32 vcc, v[12:13], v[6:7]
	s_and_b64 exec, exec, vcc
	s_cbranch_execz .LBB6_52
; %bb.132:                              ;   in Loop: Header=BB6_53 Depth=1
	s_mov_b64 s[0:1], 0
.LBB6_133:                              ;   Parent Loop BB6_53 Depth=1
                                        ; =>  This Inner Loop Header: Depth=2
	s_sleep 1
	global_store_dwordx2 v[2:3], v[12:13], off
	buffer_wbl2 sc0 sc1
	s_waitcnt vmcnt(0)
	global_atomic_cmpswap_x2 v[6:7], v31, v[10:13], s[2:3] offset:24 sc0 sc1
	s_waitcnt vmcnt(0)
	v_cmp_eq_u64_e32 vcc, v[6:7], v[12:13]
	s_or_b64 s[0:1], vcc, s[0:1]
	v_mov_b64_e32 v[12:13], v[6:7]
	s_andn2_b64 exec, exec, s[0:1]
	s_cbranch_execnz .LBB6_133
	s_branch .LBB6_52
.LBB6_134:
	s_branch .LBB6_162
.LBB6_135:
                                        ; implicit-def: $vgpr0_vgpr1
	s_cbranch_execz .LBB6_162
; %bb.136:
	v_readfirstlane_b32 s0, v36
	v_mov_b64_e32 v[6:7], 0
	s_nop 0
	v_cmp_eq_u32_e64 s[0:1], s0, v36
	s_and_saveexec_b64 s[6:7], s[0:1]
	s_cbranch_execz .LBB6_142
; %bb.137:
	s_waitcnt vmcnt(0)
	v_mov_b32_e32 v0, 0
	global_load_dwordx2 v[8:9], v0, s[2:3] offset:24 sc0 sc1
	s_waitcnt vmcnt(0)
	buffer_inv sc0 sc1
	global_load_dwordx2 v[2:3], v0, s[2:3] offset:40
	global_load_dwordx2 v[6:7], v0, s[2:3]
	s_waitcnt vmcnt(1)
	v_and_b32_e32 v1, v2, v8
	v_and_b32_e32 v2, v3, v9
	v_mul_lo_u32 v2, v2, 24
	v_mul_hi_u32 v3, v1, 24
	v_add_u32_e32 v3, v3, v2
	v_mul_lo_u32 v2, v1, 24
	s_waitcnt vmcnt(0)
	v_lshl_add_u64 v[2:3], v[6:7], 0, v[2:3]
	global_load_dwordx2 v[6:7], v[2:3], off sc0 sc1
	s_waitcnt vmcnt(0)
	global_atomic_cmpswap_x2 v[6:7], v0, v[6:9], s[2:3] offset:24 sc0 sc1
	s_waitcnt vmcnt(0)
	buffer_inv sc0 sc1
	v_cmp_ne_u64_e32 vcc, v[6:7], v[8:9]
	s_and_saveexec_b64 s[10:11], vcc
	s_cbranch_execz .LBB6_141
; %bb.138:
	s_mov_b64 s[16:17], 0
.LBB6_139:                              ; =>This Inner Loop Header: Depth=1
	s_sleep 1
	global_load_dwordx2 v[2:3], v0, s[2:3] offset:40
	global_load_dwordx2 v[10:11], v0, s[2:3]
	v_mov_b64_e32 v[8:9], v[6:7]
	s_waitcnt vmcnt(1)
	v_and_b32_e32 v2, v2, v8
	v_and_b32_e32 v1, v3, v9
	s_waitcnt vmcnt(0)
	v_mad_u64_u32 v[2:3], s[18:19], v2, 24, v[10:11]
	v_mov_b32_e32 v6, v3
	v_mad_u64_u32 v[6:7], s[18:19], v1, 24, v[6:7]
	v_mov_b32_e32 v3, v6
	global_load_dwordx2 v[6:7], v[2:3], off sc0 sc1
	s_waitcnt vmcnt(0)
	global_atomic_cmpswap_x2 v[6:7], v0, v[6:9], s[2:3] offset:24 sc0 sc1
	s_waitcnt vmcnt(0)
	buffer_inv sc0 sc1
	v_cmp_eq_u64_e32 vcc, v[6:7], v[8:9]
	s_or_b64 s[16:17], vcc, s[16:17]
	s_andn2_b64 exec, exec, s[16:17]
	s_cbranch_execnz .LBB6_139
; %bb.140:
	s_or_b64 exec, exec, s[16:17]
.LBB6_141:
	s_or_b64 exec, exec, s[10:11]
.LBB6_142:
	s_or_b64 exec, exec, s[6:7]
	v_mov_b32_e32 v29, 0
	global_load_dwordx2 v[8:9], v29, s[2:3] offset:40
	global_load_dwordx4 v[0:3], v29, s[2:3]
	v_readfirstlane_b32 s6, v6
	v_readfirstlane_b32 s7, v7
	s_mov_b64 s[10:11], exec
	s_waitcnt vmcnt(1)
	v_readfirstlane_b32 s16, v8
	v_readfirstlane_b32 s17, v9
	s_and_b64 s[16:17], s[6:7], s[16:17]
	s_mul_i32 s15, s17, 24
	s_mul_hi_u32 s18, s16, 24
	s_add_i32 s19, s18, s15
	s_mul_i32 s18, s16, 24
	s_waitcnt vmcnt(0)
	v_lshl_add_u64 v[8:9], v[0:1], 0, s[18:19]
	s_and_saveexec_b64 s[18:19], s[0:1]
	s_cbranch_execz .LBB6_144
; %bb.143:
	v_mov_b64_e32 v[10:11], s[10:11]
	v_mov_b32_e32 v12, 2
	v_mov_b32_e32 v13, 1
	global_store_dwordx4 v[8:9], v[10:13], off offset:8
.LBB6_144:
	s_or_b64 exec, exec, s[18:19]
	s_lshl_b64 s[10:11], s[16:17], 12
	v_lshl_add_u64 v[10:11], v[2:3], 0, s[10:11]
	s_movk_i32 s10, 0xff1f
	s_mov_b32 s16, 0
	v_and_or_b32 v4, v4, s10, 32
	v_mov_b32_e32 v6, v29
	v_mov_b32_e32 v7, v29
	v_readfirstlane_b32 s10, v10
	v_readfirstlane_b32 s11, v11
	s_mov_b32 s17, s16
	s_mov_b32 s18, s16
	s_mov_b32 s19, s16
	s_nop 1
	global_store_dwordx4 v28, v[4:7], s[10:11]
	v_mov_b64_e32 v[2:3], s[16:17]
	s_nop 0
	v_mov_b64_e32 v[4:5], s[18:19]
	global_store_dwordx4 v28, v[2:5], s[10:11] offset:16
	global_store_dwordx4 v28, v[2:5], s[10:11] offset:32
	global_store_dwordx4 v28, v[2:5], s[10:11] offset:48
	s_and_saveexec_b64 s[10:11], s[0:1]
	s_cbranch_execz .LBB6_152
; %bb.145:
	v_mov_b32_e32 v6, 0
	global_load_dwordx2 v[14:15], v6, s[2:3] offset:32 sc0 sc1
	global_load_dwordx2 v[2:3], v6, s[2:3] offset:40
	v_mov_b32_e32 v12, s6
	v_mov_b32_e32 v13, s7
	s_waitcnt vmcnt(0)
	v_readfirstlane_b32 s16, v2
	v_readfirstlane_b32 s17, v3
	s_and_b64 s[16:17], s[16:17], s[6:7]
	s_mul_i32 s15, s17, 24
	s_mul_hi_u32 s17, s16, 24
	s_mul_i32 s16, s16, 24
	s_add_i32 s17, s17, s15
	v_lshl_add_u64 v[4:5], v[0:1], 0, s[16:17]
	global_store_dwordx2 v[4:5], v[14:15], off
	buffer_wbl2 sc0 sc1
	s_waitcnt vmcnt(0)
	global_atomic_cmpswap_x2 v[2:3], v6, v[12:15], s[2:3] offset:32 sc0 sc1
	s_waitcnt vmcnt(0)
	v_cmp_ne_u64_e32 vcc, v[2:3], v[14:15]
	s_and_saveexec_b64 s[16:17], vcc
	s_cbranch_execz .LBB6_148
; %bb.146:
	s_mov_b64 s[18:19], 0
.LBB6_147:                              ; =>This Inner Loop Header: Depth=1
	s_sleep 1
	global_store_dwordx2 v[4:5], v[2:3], off
	v_mov_b32_e32 v0, s6
	v_mov_b32_e32 v1, s7
	buffer_wbl2 sc0 sc1
	s_waitcnt vmcnt(0)
	global_atomic_cmpswap_x2 v[0:1], v6, v[0:3], s[2:3] offset:32 sc0 sc1
	s_waitcnt vmcnt(0)
	v_cmp_eq_u64_e32 vcc, v[0:1], v[2:3]
	s_or_b64 s[18:19], vcc, s[18:19]
	v_mov_b64_e32 v[2:3], v[0:1]
	s_andn2_b64 exec, exec, s[18:19]
	s_cbranch_execnz .LBB6_147
.LBB6_148:
	s_or_b64 exec, exec, s[16:17]
	v_mov_b32_e32 v3, 0
	global_load_dwordx2 v[0:1], v3, s[2:3] offset:16
	s_mov_b64 s[16:17], exec
	v_mbcnt_lo_u32_b32 v2, s16, 0
	v_mbcnt_hi_u32_b32 v2, s17, v2
	v_cmp_eq_u32_e32 vcc, 0, v2
	s_and_saveexec_b64 s[18:19], vcc
	s_cbranch_execz .LBB6_150
; %bb.149:
	s_bcnt1_i32_b64 s15, s[16:17]
	v_mov_b32_e32 v2, s15
	buffer_wbl2 sc0 sc1
	s_waitcnt vmcnt(0)
	global_atomic_add_x2 v[0:1], v[2:3], off offset:8 sc1
.LBB6_150:
	s_or_b64 exec, exec, s[18:19]
	s_waitcnt vmcnt(0)
	global_load_dwordx2 v[2:3], v[0:1], off offset:16
	s_waitcnt vmcnt(0)
	v_cmp_eq_u64_e32 vcc, 0, v[2:3]
	s_cbranch_vccnz .LBB6_152
; %bb.151:
	global_load_dword v0, v[0:1], off offset:24
	v_mov_b32_e32 v1, 0
	buffer_wbl2 sc0 sc1
	s_waitcnt vmcnt(0)
	global_store_dwordx2 v[2:3], v[0:1], off sc0 sc1
	v_and_b32_e32 v0, 0xffffff, v0
	s_nop 0
	v_readfirstlane_b32 m0, v0
	s_sendmsg sendmsg(MSG_INTERRUPT)
.LBB6_152:
	s_or_b64 exec, exec, s[10:11]
	v_lshl_add_u64 v[0:1], v[10:11], 0, v[28:29]
	s_branch .LBB6_156
.LBB6_153:                              ;   in Loop: Header=BB6_156 Depth=1
	s_or_b64 exec, exec, s[10:11]
	v_readfirstlane_b32 s10, v2
	s_cmp_eq_u32 s10, 0
	s_cbranch_scc1 .LBB6_155
; %bb.154:                              ;   in Loop: Header=BB6_156 Depth=1
	s_sleep 1
	s_cbranch_execnz .LBB6_156
	s_branch .LBB6_158
.LBB6_155:
	s_branch .LBB6_158
.LBB6_156:                              ; =>This Inner Loop Header: Depth=1
	v_mov_b32_e32 v2, 1
	s_and_saveexec_b64 s[10:11], s[0:1]
	s_cbranch_execz .LBB6_153
; %bb.157:                              ;   in Loop: Header=BB6_156 Depth=1
	global_load_dword v2, v[8:9], off offset:20 sc0 sc1
	s_waitcnt vmcnt(0)
	buffer_inv sc0 sc1
	v_and_b32_e32 v2, 1, v2
	s_branch .LBB6_153
.LBB6_158:
	global_load_dwordx2 v[0:1], v[0:1], off
	s_and_saveexec_b64 s[10:11], s[0:1]
	s_cbranch_execz .LBB6_161
; %bb.159:
	v_mov_b32_e32 v8, 0
	global_load_dwordx2 v[6:7], v8, s[2:3] offset:40
	global_load_dwordx2 v[10:11], v8, s[2:3] offset:24 sc0 sc1
	global_load_dwordx2 v[12:13], v8, s[2:3]
	s_mov_b64 s[0:1], 0
	s_waitcnt vmcnt(2)
	v_lshl_add_u64 v[2:3], v[6:7], 0, 1
	v_lshl_add_u64 v[14:15], v[2:3], 0, s[6:7]
	v_cmp_eq_u64_e32 vcc, 0, v[14:15]
	s_waitcnt vmcnt(1)
	v_mov_b32_e32 v4, v10
	v_cndmask_b32_e32 v3, v15, v3, vcc
	v_cndmask_b32_e32 v2, v14, v2, vcc
	v_and_b32_e32 v5, v3, v7
	v_and_b32_e32 v6, v2, v6
	v_mul_lo_u32 v5, v5, 24
	v_mul_hi_u32 v7, v6, 24
	v_mul_lo_u32 v6, v6, 24
	v_add_u32_e32 v7, v7, v5
	s_waitcnt vmcnt(0)
	v_lshl_add_u64 v[6:7], v[12:13], 0, v[6:7]
	global_store_dwordx2 v[6:7], v[10:11], off
	v_mov_b32_e32 v5, v11
	buffer_wbl2 sc0 sc1
	s_waitcnt vmcnt(0)
	global_atomic_cmpswap_x2 v[4:5], v8, v[2:5], s[2:3] offset:24 sc0 sc1
	s_waitcnt vmcnt(0)
	v_cmp_ne_u64_e32 vcc, v[4:5], v[10:11]
	s_and_b64 exec, exec, vcc
	s_cbranch_execz .LBB6_161
.LBB6_160:                              ; =>This Inner Loop Header: Depth=1
	s_sleep 1
	global_store_dwordx2 v[6:7], v[4:5], off
	buffer_wbl2 sc0 sc1
	s_waitcnt vmcnt(0)
	global_atomic_cmpswap_x2 v[10:11], v8, v[2:5], s[2:3] offset:24 sc0 sc1
	s_waitcnt vmcnt(0)
	v_cmp_eq_u64_e32 vcc, v[10:11], v[4:5]
	s_or_b64 s[0:1], vcc, s[0:1]
	v_mov_b64_e32 v[4:5], v[10:11]
	s_andn2_b64 exec, exec, s[0:1]
	s_cbranch_execnz .LBB6_160
.LBB6_161:
	s_or_b64 exec, exec, s[10:11]
.LBB6_162:
	s_getpc_b64 s[6:7]
	s_add_u32 s6, s6, __PRETTY_FUNCTION__._ZL17merge_interleavedRN8migraphx4test12test_managerE@rel32@lo+4
	s_addc_u32 s7, s7, __PRETTY_FUNCTION__._ZL17merge_interleavedRN8migraphx4test12test_managerE@rel32@hi+12
	s_cmp_lg_u64 s[6:7], 0
	s_cbranch_scc0 .LBB6_247
; %bb.163:
	s_waitcnt vmcnt(0)
	v_and_b32_e32 v6, -3, v0
	v_mov_b32_e32 v7, v1
	s_mov_b64 s[10:11], 55
	v_mov_b32_e32 v27, 0
	v_mov_b32_e32 v4, 2
	;; [unrolled: 1-line block ×3, first 2 shown]
	s_branch .LBB6_165
.LBB6_164:                              ;   in Loop: Header=BB6_165 Depth=1
	s_or_b64 exec, exec, s[20:21]
	s_sub_u32 s10, s10, s16
	s_subb_u32 s11, s11, s17
	s_add_u32 s6, s6, s16
	s_addc_u32 s7, s7, s17
	s_cmp_lg_u64 s[10:11], 0
	s_cbranch_scc0 .LBB6_246
.LBB6_165:                              ; =>This Loop Header: Depth=1
                                        ;     Child Loop BB6_168 Depth 2
                                        ;     Child Loop BB6_175 Depth 2
	;; [unrolled: 1-line block ×11, first 2 shown]
	v_cmp_lt_u64_e64 s[0:1], s[10:11], 56
	s_and_b64 s[0:1], s[0:1], exec
	v_cmp_gt_u64_e64 s[0:1], s[10:11], 7
	s_cselect_b32 s17, s11, 0
	s_cselect_b32 s16, s10, 56
	s_and_b64 vcc, exec, s[0:1]
	s_cbranch_vccnz .LBB6_170
; %bb.166:                              ;   in Loop: Header=BB6_165 Depth=1
	s_mov_b64 s[0:1], 0
	s_cmp_eq_u64 s[10:11], 0
	s_waitcnt vmcnt(0)
	v_mov_b64_e32 v[8:9], 0
	s_cbranch_scc1 .LBB6_169
; %bb.167:                              ;   in Loop: Header=BB6_165 Depth=1
	s_lshl_b64 s[18:19], s[16:17], 3
	s_mov_b64 s[20:21], 0
	v_mov_b64_e32 v[8:9], 0
	s_mov_b64 s[22:23], s[6:7]
.LBB6_168:                              ;   Parent Loop BB6_165 Depth=1
                                        ; =>  This Inner Loop Header: Depth=2
	global_load_ubyte v2, v27, s[22:23]
	s_waitcnt vmcnt(0)
	v_and_b32_e32 v26, 0xffff, v2
	v_lshlrev_b64 v[2:3], s20, v[26:27]
	s_add_u32 s20, s20, 8
	s_addc_u32 s21, s21, 0
	s_add_u32 s22, s22, 1
	s_addc_u32 s23, s23, 0
	v_or_b32_e32 v8, v2, v8
	s_cmp_lg_u32 s18, s20
	v_or_b32_e32 v9, v3, v9
	s_cbranch_scc1 .LBB6_168
.LBB6_169:                              ;   in Loop: Header=BB6_165 Depth=1
	s_mov_b32 s15, 0
	s_andn2_b64 vcc, exec, s[0:1]
	s_mov_b64 s[0:1], s[6:7]
	s_cbranch_vccz .LBB6_171
	s_branch .LBB6_172
.LBB6_170:                              ;   in Loop: Header=BB6_165 Depth=1
                                        ; implicit-def: $sgpr15
	s_mov_b64 s[0:1], s[6:7]
.LBB6_171:                              ;   in Loop: Header=BB6_165 Depth=1
	global_load_dwordx2 v[8:9], v27, s[6:7]
	s_add_i32 s15, s16, -8
	s_add_u32 s0, s6, 8
	s_addc_u32 s1, s7, 0
.LBB6_172:                              ;   in Loop: Header=BB6_165 Depth=1
	s_cmp_gt_u32 s15, 7
	s_cbranch_scc1 .LBB6_176
; %bb.173:                              ;   in Loop: Header=BB6_165 Depth=1
	s_cmp_eq_u32 s15, 0
	s_cbranch_scc1 .LBB6_177
; %bb.174:                              ;   in Loop: Header=BB6_165 Depth=1
	s_mov_b64 s[18:19], 0
	v_mov_b64_e32 v[10:11], 0
	s_mov_b64 s[20:21], 0
.LBB6_175:                              ;   Parent Loop BB6_165 Depth=1
                                        ; =>  This Inner Loop Header: Depth=2
	s_add_u32 s22, s0, s20
	s_addc_u32 s23, s1, s21
	global_load_ubyte v2, v27, s[22:23]
	s_add_u32 s20, s20, 1
	s_addc_u32 s21, s21, 0
	s_waitcnt vmcnt(0)
	v_and_b32_e32 v26, 0xffff, v2
	v_lshlrev_b64 v[2:3], s18, v[26:27]
	s_add_u32 s18, s18, 8
	s_addc_u32 s19, s19, 0
	v_or_b32_e32 v10, v2, v10
	s_cmp_lg_u32 s15, s20
	v_or_b32_e32 v11, v3, v11
	s_cbranch_scc1 .LBB6_175
	s_branch .LBB6_178
.LBB6_176:                              ;   in Loop: Header=BB6_165 Depth=1
                                        ; implicit-def: $vgpr10_vgpr11
                                        ; implicit-def: $sgpr22
	s_branch .LBB6_179
.LBB6_177:                              ;   in Loop: Header=BB6_165 Depth=1
	v_mov_b64_e32 v[10:11], 0
.LBB6_178:                              ;   in Loop: Header=BB6_165 Depth=1
	s_mov_b32 s22, 0
	s_cbranch_execnz .LBB6_180
.LBB6_179:                              ;   in Loop: Header=BB6_165 Depth=1
	global_load_dwordx2 v[10:11], v27, s[0:1]
	s_add_i32 s22, s15, -8
	s_add_u32 s0, s0, 8
	s_addc_u32 s1, s1, 0
.LBB6_180:                              ;   in Loop: Header=BB6_165 Depth=1
	s_cmp_gt_u32 s22, 7
	s_cbranch_scc1 .LBB6_184
; %bb.181:                              ;   in Loop: Header=BB6_165 Depth=1
	s_cmp_eq_u32 s22, 0
	s_cbranch_scc1 .LBB6_185
; %bb.182:                              ;   in Loop: Header=BB6_165 Depth=1
	s_mov_b64 s[18:19], 0
	v_mov_b64_e32 v[12:13], 0
	s_mov_b64 s[20:21], 0
.LBB6_183:                              ;   Parent Loop BB6_165 Depth=1
                                        ; =>  This Inner Loop Header: Depth=2
	s_add_u32 s24, s0, s20
	s_addc_u32 s25, s1, s21
	global_load_ubyte v2, v27, s[24:25]
	s_add_u32 s20, s20, 1
	s_addc_u32 s21, s21, 0
	s_waitcnt vmcnt(0)
	v_and_b32_e32 v26, 0xffff, v2
	v_lshlrev_b64 v[2:3], s18, v[26:27]
	s_add_u32 s18, s18, 8
	s_addc_u32 s19, s19, 0
	v_or_b32_e32 v12, v2, v12
	s_cmp_lg_u32 s22, s20
	v_or_b32_e32 v13, v3, v13
	s_cbranch_scc1 .LBB6_183
	s_branch .LBB6_186
.LBB6_184:                              ;   in Loop: Header=BB6_165 Depth=1
                                        ; implicit-def: $sgpr15
	s_branch .LBB6_187
.LBB6_185:                              ;   in Loop: Header=BB6_165 Depth=1
	v_mov_b64_e32 v[12:13], 0
.LBB6_186:                              ;   in Loop: Header=BB6_165 Depth=1
	s_mov_b32 s15, 0
	s_cbranch_execnz .LBB6_188
.LBB6_187:                              ;   in Loop: Header=BB6_165 Depth=1
	global_load_dwordx2 v[12:13], v27, s[0:1]
	s_add_i32 s15, s22, -8
	s_add_u32 s0, s0, 8
	s_addc_u32 s1, s1, 0
.LBB6_188:                              ;   in Loop: Header=BB6_165 Depth=1
	s_cmp_gt_u32 s15, 7
	s_cbranch_scc1 .LBB6_192
; %bb.189:                              ;   in Loop: Header=BB6_165 Depth=1
	s_cmp_eq_u32 s15, 0
	s_cbranch_scc1 .LBB6_193
; %bb.190:                              ;   in Loop: Header=BB6_165 Depth=1
	s_mov_b64 s[18:19], 0
	v_mov_b64_e32 v[14:15], 0
	s_mov_b64 s[20:21], 0
.LBB6_191:                              ;   Parent Loop BB6_165 Depth=1
                                        ; =>  This Inner Loop Header: Depth=2
	s_add_u32 s22, s0, s20
	s_addc_u32 s23, s1, s21
	global_load_ubyte v2, v27, s[22:23]
	s_add_u32 s20, s20, 1
	s_addc_u32 s21, s21, 0
	s_waitcnt vmcnt(0)
	v_and_b32_e32 v26, 0xffff, v2
	v_lshlrev_b64 v[2:3], s18, v[26:27]
	s_add_u32 s18, s18, 8
	s_addc_u32 s19, s19, 0
	v_or_b32_e32 v14, v2, v14
	s_cmp_lg_u32 s15, s20
	v_or_b32_e32 v15, v3, v15
	s_cbranch_scc1 .LBB6_191
	s_branch .LBB6_194
.LBB6_192:                              ;   in Loop: Header=BB6_165 Depth=1
                                        ; implicit-def: $vgpr14_vgpr15
                                        ; implicit-def: $sgpr22
	s_branch .LBB6_195
.LBB6_193:                              ;   in Loop: Header=BB6_165 Depth=1
	v_mov_b64_e32 v[14:15], 0
.LBB6_194:                              ;   in Loop: Header=BB6_165 Depth=1
	s_mov_b32 s22, 0
	s_cbranch_execnz .LBB6_196
.LBB6_195:                              ;   in Loop: Header=BB6_165 Depth=1
	global_load_dwordx2 v[14:15], v27, s[0:1]
	s_add_i32 s22, s15, -8
	s_add_u32 s0, s0, 8
	s_addc_u32 s1, s1, 0
.LBB6_196:                              ;   in Loop: Header=BB6_165 Depth=1
	s_cmp_gt_u32 s22, 7
	s_cbranch_scc1 .LBB6_200
; %bb.197:                              ;   in Loop: Header=BB6_165 Depth=1
	s_cmp_eq_u32 s22, 0
	s_cbranch_scc1 .LBB6_201
; %bb.198:                              ;   in Loop: Header=BB6_165 Depth=1
	s_mov_b64 s[18:19], 0
	v_mov_b64_e32 v[16:17], 0
	s_mov_b64 s[20:21], 0
.LBB6_199:                              ;   Parent Loop BB6_165 Depth=1
                                        ; =>  This Inner Loop Header: Depth=2
	s_add_u32 s24, s0, s20
	s_addc_u32 s25, s1, s21
	global_load_ubyte v2, v27, s[24:25]
	s_add_u32 s20, s20, 1
	s_addc_u32 s21, s21, 0
	s_waitcnt vmcnt(0)
	v_and_b32_e32 v26, 0xffff, v2
	v_lshlrev_b64 v[2:3], s18, v[26:27]
	s_add_u32 s18, s18, 8
	s_addc_u32 s19, s19, 0
	v_or_b32_e32 v16, v2, v16
	s_cmp_lg_u32 s22, s20
	v_or_b32_e32 v17, v3, v17
	s_cbranch_scc1 .LBB6_199
	s_branch .LBB6_202
.LBB6_200:                              ;   in Loop: Header=BB6_165 Depth=1
                                        ; implicit-def: $sgpr15
	s_branch .LBB6_203
.LBB6_201:                              ;   in Loop: Header=BB6_165 Depth=1
	v_mov_b64_e32 v[16:17], 0
.LBB6_202:                              ;   in Loop: Header=BB6_165 Depth=1
	s_mov_b32 s15, 0
	s_cbranch_execnz .LBB6_204
.LBB6_203:                              ;   in Loop: Header=BB6_165 Depth=1
	global_load_dwordx2 v[16:17], v27, s[0:1]
	s_add_i32 s15, s22, -8
	s_add_u32 s0, s0, 8
	s_addc_u32 s1, s1, 0
.LBB6_204:                              ;   in Loop: Header=BB6_165 Depth=1
	s_cmp_gt_u32 s15, 7
	s_cbranch_scc1 .LBB6_208
; %bb.205:                              ;   in Loop: Header=BB6_165 Depth=1
	s_cmp_eq_u32 s15, 0
	s_cbranch_scc1 .LBB6_209
; %bb.206:                              ;   in Loop: Header=BB6_165 Depth=1
	s_mov_b64 s[18:19], 0
	v_mov_b64_e32 v[18:19], 0
	s_mov_b64 s[20:21], 0
.LBB6_207:                              ;   Parent Loop BB6_165 Depth=1
                                        ; =>  This Inner Loop Header: Depth=2
	s_add_u32 s22, s0, s20
	s_addc_u32 s23, s1, s21
	global_load_ubyte v2, v27, s[22:23]
	s_add_u32 s20, s20, 1
	s_addc_u32 s21, s21, 0
	s_waitcnt vmcnt(0)
	v_and_b32_e32 v26, 0xffff, v2
	v_lshlrev_b64 v[2:3], s18, v[26:27]
	s_add_u32 s18, s18, 8
	s_addc_u32 s19, s19, 0
	v_or_b32_e32 v18, v2, v18
	s_cmp_lg_u32 s15, s20
	v_or_b32_e32 v19, v3, v19
	s_cbranch_scc1 .LBB6_207
	s_branch .LBB6_210
.LBB6_208:                              ;   in Loop: Header=BB6_165 Depth=1
                                        ; implicit-def: $vgpr18_vgpr19
                                        ; implicit-def: $sgpr22
	s_branch .LBB6_211
.LBB6_209:                              ;   in Loop: Header=BB6_165 Depth=1
	v_mov_b64_e32 v[18:19], 0
.LBB6_210:                              ;   in Loop: Header=BB6_165 Depth=1
	s_mov_b32 s22, 0
	s_cbranch_execnz .LBB6_212
.LBB6_211:                              ;   in Loop: Header=BB6_165 Depth=1
	global_load_dwordx2 v[18:19], v27, s[0:1]
	s_add_i32 s22, s15, -8
	s_add_u32 s0, s0, 8
	s_addc_u32 s1, s1, 0
.LBB6_212:                              ;   in Loop: Header=BB6_165 Depth=1
	s_cmp_gt_u32 s22, 7
	s_cbranch_scc1 .LBB6_216
; %bb.213:                              ;   in Loop: Header=BB6_165 Depth=1
	s_cmp_eq_u32 s22, 0
	s_cbranch_scc1 .LBB6_217
; %bb.214:                              ;   in Loop: Header=BB6_165 Depth=1
	s_mov_b64 s[18:19], 0
	v_mov_b64_e32 v[20:21], 0
	s_mov_b64 s[20:21], s[0:1]
.LBB6_215:                              ;   Parent Loop BB6_165 Depth=1
                                        ; =>  This Inner Loop Header: Depth=2
	global_load_ubyte v2, v27, s[20:21]
	s_add_i32 s22, s22, -1
	s_waitcnt vmcnt(0)
	v_and_b32_e32 v26, 0xffff, v2
	v_lshlrev_b64 v[2:3], s18, v[26:27]
	s_add_u32 s18, s18, 8
	s_addc_u32 s19, s19, 0
	s_add_u32 s20, s20, 1
	s_addc_u32 s21, s21, 0
	v_or_b32_e32 v20, v2, v20
	s_cmp_lg_u32 s22, 0
	v_or_b32_e32 v21, v3, v21
	s_cbranch_scc1 .LBB6_215
	s_branch .LBB6_218
.LBB6_216:                              ;   in Loop: Header=BB6_165 Depth=1
	s_branch .LBB6_219
.LBB6_217:                              ;   in Loop: Header=BB6_165 Depth=1
	v_mov_b64_e32 v[20:21], 0
.LBB6_218:                              ;   in Loop: Header=BB6_165 Depth=1
	s_cbranch_execnz .LBB6_220
.LBB6_219:                              ;   in Loop: Header=BB6_165 Depth=1
	global_load_dwordx2 v[20:21], v27, s[0:1]
.LBB6_220:                              ;   in Loop: Header=BB6_165 Depth=1
	v_readfirstlane_b32 s0, v36
	v_mov_b64_e32 v[2:3], 0
	s_nop 0
	v_cmp_eq_u32_e64 s[0:1], s0, v36
	s_and_saveexec_b64 s[18:19], s[0:1]
	s_cbranch_execz .LBB6_226
; %bb.221:                              ;   in Loop: Header=BB6_165 Depth=1
	global_load_dwordx2 v[24:25], v27, s[2:3] offset:24 sc0 sc1
	s_waitcnt vmcnt(0)
	buffer_inv sc0 sc1
	global_load_dwordx2 v[2:3], v27, s[2:3] offset:40
	global_load_dwordx2 v[22:23], v27, s[2:3]
	s_waitcnt vmcnt(1)
	v_and_b32_e32 v2, v2, v24
	v_and_b32_e32 v3, v3, v25
	v_mul_lo_u32 v3, v3, 24
	v_mul_hi_u32 v26, v2, 24
	v_add_u32_e32 v3, v26, v3
	v_mul_lo_u32 v2, v2, 24
	s_waitcnt vmcnt(0)
	v_lshl_add_u64 v[2:3], v[22:23], 0, v[2:3]
	global_load_dwordx2 v[22:23], v[2:3], off sc0 sc1
	s_waitcnt vmcnt(0)
	global_atomic_cmpswap_x2 v[2:3], v27, v[22:25], s[2:3] offset:24 sc0 sc1
	s_waitcnt vmcnt(0)
	buffer_inv sc0 sc1
	v_cmp_ne_u64_e32 vcc, v[2:3], v[24:25]
	s_and_saveexec_b64 s[20:21], vcc
	s_cbranch_execz .LBB6_225
; %bb.222:                              ;   in Loop: Header=BB6_165 Depth=1
	s_mov_b64 s[22:23], 0
.LBB6_223:                              ;   Parent Loop BB6_165 Depth=1
                                        ; =>  This Inner Loop Header: Depth=2
	s_sleep 1
	global_load_dwordx2 v[22:23], v27, s[2:3] offset:40
	global_load_dwordx2 v[30:31], v27, s[2:3]
	v_mov_b64_e32 v[24:25], v[2:3]
	s_waitcnt vmcnt(1)
	v_and_b32_e32 v2, v22, v24
	s_waitcnt vmcnt(0)
	v_mad_u64_u32 v[2:3], s[24:25], v2, 24, v[30:31]
	v_and_b32_e32 v23, v23, v25
	v_mov_b32_e32 v22, v3
	v_mad_u64_u32 v[22:23], s[24:25], v23, 24, v[22:23]
	v_mov_b32_e32 v3, v22
	global_load_dwordx2 v[22:23], v[2:3], off sc0 sc1
	s_waitcnt vmcnt(0)
	global_atomic_cmpswap_x2 v[2:3], v27, v[22:25], s[2:3] offset:24 sc0 sc1
	s_waitcnt vmcnt(0)
	buffer_inv sc0 sc1
	v_cmp_eq_u64_e32 vcc, v[2:3], v[24:25]
	s_or_b64 s[22:23], vcc, s[22:23]
	s_andn2_b64 exec, exec, s[22:23]
	s_cbranch_execnz .LBB6_223
; %bb.224:                              ;   in Loop: Header=BB6_165 Depth=1
	s_or_b64 exec, exec, s[22:23]
.LBB6_225:                              ;   in Loop: Header=BB6_165 Depth=1
	s_or_b64 exec, exec, s[20:21]
.LBB6_226:                              ;   in Loop: Header=BB6_165 Depth=1
	s_or_b64 exec, exec, s[18:19]
	global_load_dwordx2 v[30:31], v27, s[2:3] offset:40
	global_load_dwordx4 v[22:25], v27, s[2:3]
	v_readfirstlane_b32 s18, v2
	v_readfirstlane_b32 s19, v3
	s_mov_b64 s[20:21], exec
	s_waitcnt vmcnt(1)
	v_readfirstlane_b32 s22, v30
	v_readfirstlane_b32 s23, v31
	s_and_b64 s[22:23], s[18:19], s[22:23]
	s_mul_i32 s15, s23, 24
	s_mul_hi_u32 s24, s22, 24
	s_add_i32 s25, s24, s15
	s_mul_i32 s24, s22, 24
	s_waitcnt vmcnt(0)
	v_lshl_add_u64 v[30:31], v[22:23], 0, s[24:25]
	s_and_saveexec_b64 s[24:25], s[0:1]
	s_cbranch_execz .LBB6_228
; %bb.227:                              ;   in Loop: Header=BB6_165 Depth=1
	v_mov_b64_e32 v[2:3], s[20:21]
	global_store_dwordx4 v[30:31], v[2:5], off offset:8
.LBB6_228:                              ;   in Loop: Header=BB6_165 Depth=1
	s_or_b64 exec, exec, s[24:25]
	s_lshl_b64 s[20:21], s[22:23], 12
	v_lshl_add_u64 v[2:3], v[24:25], 0, s[20:21]
	v_or_b32_e32 v24, 2, v6
	v_cmp_gt_u64_e64 vcc, s[10:11], 56
	s_lshl_b32 s15, s16, 2
	s_add_i32 s15, s15, 28
	v_cndmask_b32_e32 v6, v24, v6, vcc
	s_and_b32 s15, s15, 0x1e0
	v_and_b32_e32 v6, 0xffffff1f, v6
	v_or_b32_e32 v6, s15, v6
	v_readfirstlane_b32 s20, v2
	v_readfirstlane_b32 s21, v3
	s_nop 4
	global_store_dwordx4 v28, v[6:9], s[20:21]
	global_store_dwordx4 v28, v[10:13], s[20:21] offset:16
	global_store_dwordx4 v28, v[14:17], s[20:21] offset:32
	;; [unrolled: 1-line block ×3, first 2 shown]
	s_and_saveexec_b64 s[20:21], s[0:1]
	s_cbranch_execz .LBB6_236
; %bb.229:                              ;   in Loop: Header=BB6_165 Depth=1
	global_load_dwordx2 v[14:15], v27, s[2:3] offset:32 sc0 sc1
	global_load_dwordx2 v[6:7], v27, s[2:3] offset:40
	v_mov_b32_e32 v12, s18
	v_mov_b32_e32 v13, s19
	s_waitcnt vmcnt(0)
	v_readfirstlane_b32 s22, v6
	v_readfirstlane_b32 s23, v7
	s_and_b64 s[22:23], s[22:23], s[18:19]
	s_mul_i32 s15, s23, 24
	s_mul_hi_u32 s23, s22, 24
	s_mul_i32 s22, s22, 24
	s_add_i32 s23, s23, s15
	v_lshl_add_u64 v[10:11], v[22:23], 0, s[22:23]
	global_store_dwordx2 v[10:11], v[14:15], off
	buffer_wbl2 sc0 sc1
	s_waitcnt vmcnt(0)
	global_atomic_cmpswap_x2 v[8:9], v27, v[12:15], s[2:3] offset:32 sc0 sc1
	s_waitcnt vmcnt(0)
	v_cmp_ne_u64_e32 vcc, v[8:9], v[14:15]
	s_and_saveexec_b64 s[22:23], vcc
	s_cbranch_execz .LBB6_232
; %bb.230:                              ;   in Loop: Header=BB6_165 Depth=1
	s_mov_b64 s[24:25], 0
.LBB6_231:                              ;   Parent Loop BB6_165 Depth=1
                                        ; =>  This Inner Loop Header: Depth=2
	s_sleep 1
	global_store_dwordx2 v[10:11], v[8:9], off
	v_mov_b32_e32 v6, s18
	v_mov_b32_e32 v7, s19
	buffer_wbl2 sc0 sc1
	s_waitcnt vmcnt(0)
	global_atomic_cmpswap_x2 v[6:7], v27, v[6:9], s[2:3] offset:32 sc0 sc1
	s_waitcnt vmcnt(0)
	v_cmp_eq_u64_e32 vcc, v[6:7], v[8:9]
	s_or_b64 s[24:25], vcc, s[24:25]
	v_mov_b64_e32 v[8:9], v[6:7]
	s_andn2_b64 exec, exec, s[24:25]
	s_cbranch_execnz .LBB6_231
.LBB6_232:                              ;   in Loop: Header=BB6_165 Depth=1
	s_or_b64 exec, exec, s[22:23]
	global_load_dwordx2 v[6:7], v27, s[2:3] offset:16
	s_mov_b64 s[24:25], exec
	v_mbcnt_lo_u32_b32 v8, s24, 0
	v_mbcnt_hi_u32_b32 v8, s25, v8
	v_cmp_eq_u32_e32 vcc, 0, v8
	s_and_saveexec_b64 s[22:23], vcc
	s_cbranch_execz .LBB6_234
; %bb.233:                              ;   in Loop: Header=BB6_165 Depth=1
	s_bcnt1_i32_b64 s15, s[24:25]
	v_mov_b32_e32 v26, s15
	buffer_wbl2 sc0 sc1
	s_waitcnt vmcnt(0)
	global_atomic_add_x2 v[6:7], v[26:27], off offset:8 sc1
.LBB6_234:                              ;   in Loop: Header=BB6_165 Depth=1
	s_or_b64 exec, exec, s[22:23]
	s_waitcnt vmcnt(0)
	global_load_dwordx2 v[8:9], v[6:7], off offset:16
	s_waitcnt vmcnt(0)
	v_cmp_eq_u64_e32 vcc, 0, v[8:9]
	s_cbranch_vccnz .LBB6_236
; %bb.235:                              ;   in Loop: Header=BB6_165 Depth=1
	global_load_dword v26, v[6:7], off offset:24
	s_waitcnt vmcnt(0)
	v_and_b32_e32 v6, 0xffffff, v26
	s_nop 0
	v_readfirstlane_b32 m0, v6
	buffer_wbl2 sc0 sc1
	global_store_dwordx2 v[8:9], v[26:27], off sc0 sc1
	s_sendmsg sendmsg(MSG_INTERRUPT)
.LBB6_236:                              ;   in Loop: Header=BB6_165 Depth=1
	s_or_b64 exec, exec, s[20:21]
	v_mov_b32_e32 v29, v27
	v_lshl_add_u64 v[2:3], v[2:3], 0, v[28:29]
	s_branch .LBB6_240
.LBB6_237:                              ;   in Loop: Header=BB6_240 Depth=2
	s_or_b64 exec, exec, s[20:21]
	v_readfirstlane_b32 s15, v6
	s_cmp_eq_u32 s15, 0
	s_cbranch_scc1 .LBB6_239
; %bb.238:                              ;   in Loop: Header=BB6_240 Depth=2
	s_sleep 1
	s_cbranch_execnz .LBB6_240
	s_branch .LBB6_242
.LBB6_239:                              ;   in Loop: Header=BB6_165 Depth=1
	s_branch .LBB6_242
.LBB6_240:                              ;   Parent Loop BB6_165 Depth=1
                                        ; =>  This Inner Loop Header: Depth=2
	v_mov_b32_e32 v6, 1
	s_and_saveexec_b64 s[20:21], s[0:1]
	s_cbranch_execz .LBB6_237
; %bb.241:                              ;   in Loop: Header=BB6_240 Depth=2
	global_load_dword v6, v[30:31], off offset:20 sc0 sc1
	s_waitcnt vmcnt(0)
	buffer_inv sc0 sc1
	v_and_b32_e32 v6, 1, v6
	s_branch .LBB6_237
.LBB6_242:                              ;   in Loop: Header=BB6_165 Depth=1
	global_load_dwordx4 v[6:9], v[2:3], off
	s_and_saveexec_b64 s[20:21], s[0:1]
	s_cbranch_execz .LBB6_164
; %bb.243:                              ;   in Loop: Header=BB6_165 Depth=1
	global_load_dwordx2 v[2:3], v27, s[2:3] offset:40
	global_load_dwordx2 v[12:13], v27, s[2:3] offset:24 sc0 sc1
	global_load_dwordx2 v[14:15], v27, s[2:3]
	s_waitcnt vmcnt(2)
	v_lshl_add_u64 v[8:9], v[2:3], 0, 1
	v_lshl_add_u64 v[16:17], v[8:9], 0, s[18:19]
	v_cmp_eq_u64_e32 vcc, 0, v[16:17]
	s_waitcnt vmcnt(1)
	v_mov_b32_e32 v10, v12
	v_cndmask_b32_e32 v9, v17, v9, vcc
	v_cndmask_b32_e32 v8, v16, v8, vcc
	v_and_b32_e32 v3, v9, v3
	v_and_b32_e32 v2, v8, v2
	v_mul_lo_u32 v3, v3, 24
	v_mul_hi_u32 v11, v2, 24
	v_mul_lo_u32 v2, v2, 24
	v_add_u32_e32 v3, v11, v3
	s_waitcnt vmcnt(0)
	v_lshl_add_u64 v[2:3], v[14:15], 0, v[2:3]
	global_store_dwordx2 v[2:3], v[12:13], off
	v_mov_b32_e32 v11, v13
	buffer_wbl2 sc0 sc1
	s_waitcnt vmcnt(0)
	global_atomic_cmpswap_x2 v[10:11], v27, v[8:11], s[2:3] offset:24 sc0 sc1
	s_waitcnt vmcnt(0)
	v_cmp_ne_u64_e32 vcc, v[10:11], v[12:13]
	s_and_b64 exec, exec, vcc
	s_cbranch_execz .LBB6_164
; %bb.244:                              ;   in Loop: Header=BB6_165 Depth=1
	s_mov_b64 s[0:1], 0
.LBB6_245:                              ;   Parent Loop BB6_165 Depth=1
                                        ; =>  This Inner Loop Header: Depth=2
	s_sleep 1
	global_store_dwordx2 v[2:3], v[10:11], off
	buffer_wbl2 sc0 sc1
	s_waitcnt vmcnt(0)
	global_atomic_cmpswap_x2 v[12:13], v27, v[8:11], s[2:3] offset:24 sc0 sc1
	s_waitcnt vmcnt(0)
	v_cmp_eq_u64_e32 vcc, v[12:13], v[10:11]
	s_or_b64 s[0:1], vcc, s[0:1]
	v_mov_b64_e32 v[10:11], v[12:13]
	s_andn2_b64 exec, exec, s[0:1]
	s_cbranch_execnz .LBB6_245
	s_branch .LBB6_164
.LBB6_246:
	s_branch .LBB6_274
.LBB6_247:
	s_cbranch_execz .LBB6_274
; %bb.248:
	v_readfirstlane_b32 s0, v36
	s_waitcnt vmcnt(0)
	v_mov_b64_e32 v[8:9], 0
	v_cmp_eq_u32_e64 s[0:1], s0, v36
	s_and_saveexec_b64 s[6:7], s[0:1]
	s_cbranch_execz .LBB6_254
; %bb.249:
	v_mov_b32_e32 v2, 0
	global_load_dwordx2 v[6:7], v2, s[2:3] offset:24 sc0 sc1
	s_waitcnt vmcnt(0)
	buffer_inv sc0 sc1
	global_load_dwordx2 v[4:5], v2, s[2:3] offset:40
	global_load_dwordx2 v[8:9], v2, s[2:3]
	s_waitcnt vmcnt(1)
	v_and_b32_e32 v3, v4, v6
	v_and_b32_e32 v4, v5, v7
	v_mul_lo_u32 v4, v4, 24
	v_mul_hi_u32 v5, v3, 24
	v_add_u32_e32 v5, v5, v4
	v_mul_lo_u32 v4, v3, 24
	s_waitcnt vmcnt(0)
	v_lshl_add_u64 v[4:5], v[8:9], 0, v[4:5]
	global_load_dwordx2 v[4:5], v[4:5], off sc0 sc1
	s_waitcnt vmcnt(0)
	global_atomic_cmpswap_x2 v[8:9], v2, v[4:7], s[2:3] offset:24 sc0 sc1
	s_waitcnt vmcnt(0)
	buffer_inv sc0 sc1
	v_cmp_ne_u64_e32 vcc, v[8:9], v[6:7]
	s_and_saveexec_b64 s[10:11], vcc
	s_cbranch_execz .LBB6_253
; %bb.250:
	s_mov_b64 s[16:17], 0
.LBB6_251:                              ; =>This Inner Loop Header: Depth=1
	s_sleep 1
	global_load_dwordx2 v[4:5], v2, s[2:3] offset:40
	global_load_dwordx2 v[10:11], v2, s[2:3]
	v_mov_b64_e32 v[6:7], v[8:9]
	s_waitcnt vmcnt(1)
	v_and_b32_e32 v4, v4, v6
	v_and_b32_e32 v3, v5, v7
	s_waitcnt vmcnt(0)
	v_mad_u64_u32 v[4:5], s[18:19], v4, 24, v[10:11]
	v_mov_b32_e32 v8, v5
	v_mad_u64_u32 v[8:9], s[18:19], v3, 24, v[8:9]
	v_mov_b32_e32 v5, v8
	global_load_dwordx2 v[4:5], v[4:5], off sc0 sc1
	s_waitcnt vmcnt(0)
	global_atomic_cmpswap_x2 v[8:9], v2, v[4:7], s[2:3] offset:24 sc0 sc1
	s_waitcnt vmcnt(0)
	buffer_inv sc0 sc1
	v_cmp_eq_u64_e32 vcc, v[8:9], v[6:7]
	s_or_b64 s[16:17], vcc, s[16:17]
	s_andn2_b64 exec, exec, s[16:17]
	s_cbranch_execnz .LBB6_251
; %bb.252:
	s_or_b64 exec, exec, s[16:17]
.LBB6_253:
	s_or_b64 exec, exec, s[10:11]
.LBB6_254:
	s_or_b64 exec, exec, s[6:7]
	v_mov_b32_e32 v2, 0
	global_load_dwordx2 v[10:11], v2, s[2:3] offset:40
	global_load_dwordx4 v[4:7], v2, s[2:3]
	v_readfirstlane_b32 s6, v8
	v_readfirstlane_b32 s7, v9
	s_mov_b64 s[10:11], exec
	s_waitcnt vmcnt(1)
	v_readfirstlane_b32 s16, v10
	v_readfirstlane_b32 s17, v11
	s_and_b64 s[16:17], s[6:7], s[16:17]
	s_mul_i32 s15, s17, 24
	s_mul_hi_u32 s18, s16, 24
	s_add_i32 s19, s18, s15
	s_mul_i32 s18, s16, 24
	s_waitcnt vmcnt(0)
	v_lshl_add_u64 v[8:9], v[4:5], 0, s[18:19]
	s_and_saveexec_b64 s[18:19], s[0:1]
	s_cbranch_execz .LBB6_256
; %bb.255:
	v_mov_b64_e32 v[10:11], s[10:11]
	v_mov_b32_e32 v12, 2
	v_mov_b32_e32 v13, 1
	global_store_dwordx4 v[8:9], v[10:13], off offset:8
.LBB6_256:
	s_or_b64 exec, exec, s[18:19]
	s_lshl_b64 s[10:11], s[16:17], 12
	v_lshl_add_u64 v[6:7], v[6:7], 0, s[10:11]
	s_movk_i32 s10, 0xff1d
	s_mov_b32 s16, 0
	v_and_or_b32 v0, v0, s10, 34
	v_mov_b32_e32 v3, v2
	v_readfirstlane_b32 s10, v6
	v_readfirstlane_b32 s11, v7
	s_mov_b32 s17, s16
	s_mov_b32 s18, s16
	;; [unrolled: 1-line block ×3, first 2 shown]
	s_nop 1
	global_store_dwordx4 v28, v[0:3], s[10:11]
	s_nop 1
	v_mov_b64_e32 v[0:1], s[16:17]
	v_mov_b64_e32 v[2:3], s[18:19]
	global_store_dwordx4 v28, v[0:3], s[10:11] offset:16
	global_store_dwordx4 v28, v[0:3], s[10:11] offset:32
	;; [unrolled: 1-line block ×3, first 2 shown]
	s_and_saveexec_b64 s[10:11], s[0:1]
	s_cbranch_execz .LBB6_264
; %bb.257:
	v_mov_b32_e32 v6, 0
	global_load_dwordx2 v[12:13], v6, s[2:3] offset:32 sc0 sc1
	global_load_dwordx2 v[0:1], v6, s[2:3] offset:40
	v_mov_b32_e32 v10, s6
	v_mov_b32_e32 v11, s7
	s_waitcnt vmcnt(0)
	v_readfirstlane_b32 s16, v0
	v_readfirstlane_b32 s17, v1
	s_and_b64 s[16:17], s[16:17], s[6:7]
	s_mul_i32 s15, s17, 24
	s_mul_hi_u32 s17, s16, 24
	s_mul_i32 s16, s16, 24
	s_add_i32 s17, s17, s15
	v_lshl_add_u64 v[4:5], v[4:5], 0, s[16:17]
	global_store_dwordx2 v[4:5], v[12:13], off
	buffer_wbl2 sc0 sc1
	s_waitcnt vmcnt(0)
	global_atomic_cmpswap_x2 v[2:3], v6, v[10:13], s[2:3] offset:32 sc0 sc1
	s_waitcnt vmcnt(0)
	v_cmp_ne_u64_e32 vcc, v[2:3], v[12:13]
	s_and_saveexec_b64 s[16:17], vcc
	s_cbranch_execz .LBB6_260
; %bb.258:
	s_mov_b64 s[18:19], 0
.LBB6_259:                              ; =>This Inner Loop Header: Depth=1
	s_sleep 1
	global_store_dwordx2 v[4:5], v[2:3], off
	v_mov_b32_e32 v0, s6
	v_mov_b32_e32 v1, s7
	buffer_wbl2 sc0 sc1
	s_waitcnt vmcnt(0)
	global_atomic_cmpswap_x2 v[0:1], v6, v[0:3], s[2:3] offset:32 sc0 sc1
	s_waitcnt vmcnt(0)
	v_cmp_eq_u64_e32 vcc, v[0:1], v[2:3]
	s_or_b64 s[18:19], vcc, s[18:19]
	v_mov_b64_e32 v[2:3], v[0:1]
	s_andn2_b64 exec, exec, s[18:19]
	s_cbranch_execnz .LBB6_259
.LBB6_260:
	s_or_b64 exec, exec, s[16:17]
	v_mov_b32_e32 v3, 0
	global_load_dwordx2 v[0:1], v3, s[2:3] offset:16
	s_mov_b64 s[16:17], exec
	v_mbcnt_lo_u32_b32 v2, s16, 0
	v_mbcnt_hi_u32_b32 v2, s17, v2
	v_cmp_eq_u32_e32 vcc, 0, v2
	s_and_saveexec_b64 s[18:19], vcc
	s_cbranch_execz .LBB6_262
; %bb.261:
	s_bcnt1_i32_b64 s15, s[16:17]
	v_mov_b32_e32 v2, s15
	buffer_wbl2 sc0 sc1
	s_waitcnt vmcnt(0)
	global_atomic_add_x2 v[0:1], v[2:3], off offset:8 sc1
.LBB6_262:
	s_or_b64 exec, exec, s[18:19]
	s_waitcnt vmcnt(0)
	global_load_dwordx2 v[2:3], v[0:1], off offset:16
	s_waitcnt vmcnt(0)
	v_cmp_eq_u64_e32 vcc, 0, v[2:3]
	s_cbranch_vccnz .LBB6_264
; %bb.263:
	global_load_dword v0, v[0:1], off offset:24
	v_mov_b32_e32 v1, 0
	buffer_wbl2 sc0 sc1
	s_waitcnt vmcnt(0)
	global_store_dwordx2 v[2:3], v[0:1], off sc0 sc1
	v_and_b32_e32 v0, 0xffffff, v0
	s_nop 0
	v_readfirstlane_b32 m0, v0
	s_sendmsg sendmsg(MSG_INTERRUPT)
.LBB6_264:
	s_or_b64 exec, exec, s[10:11]
	s_branch .LBB6_268
.LBB6_265:                              ;   in Loop: Header=BB6_268 Depth=1
	s_or_b64 exec, exec, s[10:11]
	v_readfirstlane_b32 s10, v0
	s_cmp_eq_u32 s10, 0
	s_cbranch_scc1 .LBB6_267
; %bb.266:                              ;   in Loop: Header=BB6_268 Depth=1
	s_sleep 1
	s_cbranch_execnz .LBB6_268
	s_branch .LBB6_270
.LBB6_267:
	s_branch .LBB6_270
.LBB6_268:                              ; =>This Inner Loop Header: Depth=1
	v_mov_b32_e32 v0, 1
	s_and_saveexec_b64 s[10:11], s[0:1]
	s_cbranch_execz .LBB6_265
; %bb.269:                              ;   in Loop: Header=BB6_268 Depth=1
	global_load_dword v0, v[8:9], off offset:20 sc0 sc1
	s_waitcnt vmcnt(0)
	buffer_inv sc0 sc1
	v_and_b32_e32 v0, 1, v0
	s_branch .LBB6_265
.LBB6_270:
	s_and_saveexec_b64 s[10:11], s[0:1]
	s_cbranch_execz .LBB6_273
; %bb.271:
	v_mov_b32_e32 v6, 0
	global_load_dwordx2 v[4:5], v6, s[2:3] offset:40
	global_load_dwordx2 v[8:9], v6, s[2:3] offset:24 sc0 sc1
	global_load_dwordx2 v[10:11], v6, s[2:3]
	s_mov_b64 s[0:1], 0
	s_waitcnt vmcnt(2)
	v_lshl_add_u64 v[0:1], v[4:5], 0, 1
	v_lshl_add_u64 v[12:13], v[0:1], 0, s[6:7]
	v_cmp_eq_u64_e32 vcc, 0, v[12:13]
	s_waitcnt vmcnt(1)
	v_mov_b32_e32 v2, v8
	v_cndmask_b32_e32 v1, v13, v1, vcc
	v_cndmask_b32_e32 v0, v12, v0, vcc
	v_and_b32_e32 v3, v1, v5
	v_and_b32_e32 v4, v0, v4
	v_mul_lo_u32 v3, v3, 24
	v_mul_hi_u32 v5, v4, 24
	v_mul_lo_u32 v4, v4, 24
	v_add_u32_e32 v5, v5, v3
	s_waitcnt vmcnt(0)
	v_lshl_add_u64 v[4:5], v[10:11], 0, v[4:5]
	global_store_dwordx2 v[4:5], v[8:9], off
	v_mov_b32_e32 v3, v9
	buffer_wbl2 sc0 sc1
	s_waitcnt vmcnt(0)
	global_atomic_cmpswap_x2 v[2:3], v6, v[0:3], s[2:3] offset:24 sc0 sc1
	s_waitcnt vmcnt(0)
	v_cmp_ne_u64_e32 vcc, v[2:3], v[8:9]
	s_and_b64 exec, exec, vcc
	s_cbranch_execz .LBB6_273
.LBB6_272:                              ; =>This Inner Loop Header: Depth=1
	s_sleep 1
	global_store_dwordx2 v[4:5], v[2:3], off
	buffer_wbl2 sc0 sc1
	s_waitcnt vmcnt(0)
	global_atomic_cmpswap_x2 v[8:9], v6, v[0:3], s[2:3] offset:24 sc0 sc1
	s_waitcnt vmcnt(0)
	v_cmp_eq_u64_e32 vcc, v[8:9], v[2:3]
	s_or_b64 s[0:1], vcc, s[0:1]
	v_mov_b64_e32 v[2:3], v[8:9]
	s_andn2_b64 exec, exec, s[0:1]
	s_cbranch_execnz .LBB6_272
.LBB6_273:
	s_or_b64 exec, exec, s[10:11]
.LBB6_274:
	v_readfirstlane_b32 s0, v36
	s_waitcnt vmcnt(0)
	v_mov_b64_e32 v[4:5], 0
	v_cmp_eq_u32_e64 s[0:1], s0, v36
	s_and_saveexec_b64 s[6:7], s[0:1]
	s_cbranch_execz .LBB6_280
; %bb.275:
	v_mov_b32_e32 v0, 0
	global_load_dwordx2 v[6:7], v0, s[2:3] offset:24 sc0 sc1
	s_waitcnt vmcnt(0)
	buffer_inv sc0 sc1
	global_load_dwordx2 v[2:3], v0, s[2:3] offset:40
	global_load_dwordx2 v[4:5], v0, s[2:3]
	s_waitcnt vmcnt(1)
	v_and_b32_e32 v1, v2, v6
	v_and_b32_e32 v2, v3, v7
	v_mul_lo_u32 v2, v2, 24
	v_mul_hi_u32 v3, v1, 24
	v_add_u32_e32 v3, v3, v2
	v_mul_lo_u32 v2, v1, 24
	s_waitcnt vmcnt(0)
	v_lshl_add_u64 v[2:3], v[4:5], 0, v[2:3]
	global_load_dwordx2 v[4:5], v[2:3], off sc0 sc1
	s_waitcnt vmcnt(0)
	global_atomic_cmpswap_x2 v[4:5], v0, v[4:7], s[2:3] offset:24 sc0 sc1
	s_waitcnt vmcnt(0)
	buffer_inv sc0 sc1
	v_cmp_ne_u64_e32 vcc, v[4:5], v[6:7]
	s_and_saveexec_b64 s[10:11], vcc
	s_cbranch_execz .LBB6_279
; %bb.276:
	s_mov_b64 s[16:17], 0
.LBB6_277:                              ; =>This Inner Loop Header: Depth=1
	s_sleep 1
	global_load_dwordx2 v[2:3], v0, s[2:3] offset:40
	global_load_dwordx2 v[8:9], v0, s[2:3]
	v_mov_b64_e32 v[6:7], v[4:5]
	s_waitcnt vmcnt(1)
	v_and_b32_e32 v2, v2, v6
	v_and_b32_e32 v1, v3, v7
	s_waitcnt vmcnt(0)
	v_mad_u64_u32 v[2:3], s[18:19], v2, 24, v[8:9]
	v_mov_b32_e32 v4, v3
	v_mad_u64_u32 v[4:5], s[18:19], v1, 24, v[4:5]
	v_mov_b32_e32 v3, v4
	global_load_dwordx2 v[4:5], v[2:3], off sc0 sc1
	s_waitcnt vmcnt(0)
	global_atomic_cmpswap_x2 v[4:5], v0, v[4:7], s[2:3] offset:24 sc0 sc1
	s_waitcnt vmcnt(0)
	buffer_inv sc0 sc1
	v_cmp_eq_u64_e32 vcc, v[4:5], v[6:7]
	s_or_b64 s[16:17], vcc, s[16:17]
	s_andn2_b64 exec, exec, s[16:17]
	s_cbranch_execnz .LBB6_277
; %bb.278:
	s_or_b64 exec, exec, s[16:17]
.LBB6_279:
	s_or_b64 exec, exec, s[10:11]
.LBB6_280:
	s_or_b64 exec, exec, s[6:7]
	v_mov_b32_e32 v29, 0
	global_load_dwordx2 v[6:7], v29, s[2:3] offset:40
	global_load_dwordx4 v[0:3], v29, s[2:3]
	v_readfirstlane_b32 s6, v4
	v_readfirstlane_b32 s7, v5
	s_mov_b64 s[10:11], exec
	s_waitcnt vmcnt(1)
	v_readfirstlane_b32 s16, v6
	v_readfirstlane_b32 s17, v7
	s_and_b64 s[16:17], s[6:7], s[16:17]
	s_mul_i32 s15, s17, 24
	s_mul_hi_u32 s18, s16, 24
	s_add_i32 s19, s18, s15
	s_mul_i32 s18, s16, 24
	s_waitcnt vmcnt(0)
	v_lshl_add_u64 v[4:5], v[0:1], 0, s[18:19]
	s_and_saveexec_b64 s[18:19], s[0:1]
	s_cbranch_execz .LBB6_282
; %bb.281:
	v_mov_b64_e32 v[6:7], s[10:11]
	v_mov_b32_e32 v8, 2
	v_mov_b32_e32 v9, 1
	global_store_dwordx4 v[4:5], v[6:9], off offset:8
.LBB6_282:
	s_or_b64 exec, exec, s[18:19]
	s_lshl_b64 s[10:11], s[16:17], 12
	v_lshl_add_u64 v[6:7], v[2:3], 0, s[10:11]
	s_mov_b32 s16, 0
	v_mov_b32_e32 v8, 33
	v_mov_b32_e32 v9, v29
	;; [unrolled: 1-line block ×4, first 2 shown]
	v_readfirstlane_b32 s10, v6
	v_readfirstlane_b32 s11, v7
	s_mov_b32 s17, s16
	s_mov_b32 s18, s16
	;; [unrolled: 1-line block ×3, first 2 shown]
	s_nop 1
	global_store_dwordx4 v28, v[8:11], s[10:11]
	s_nop 1
	v_mov_b64_e32 v[8:9], s[16:17]
	v_mov_b64_e32 v[10:11], s[18:19]
	global_store_dwordx4 v28, v[8:11], s[10:11] offset:16
	global_store_dwordx4 v28, v[8:11], s[10:11] offset:32
	;; [unrolled: 1-line block ×3, first 2 shown]
	s_and_saveexec_b64 s[10:11], s[0:1]
	s_cbranch_execz .LBB6_290
; %bb.283:
	v_mov_b32_e32 v10, 0
	global_load_dwordx2 v[14:15], v10, s[2:3] offset:32 sc0 sc1
	global_load_dwordx2 v[2:3], v10, s[2:3] offset:40
	v_mov_b32_e32 v12, s6
	v_mov_b32_e32 v13, s7
	s_waitcnt vmcnt(0)
	v_readfirstlane_b32 s16, v2
	v_readfirstlane_b32 s17, v3
	s_and_b64 s[16:17], s[16:17], s[6:7]
	s_mul_i32 s15, s17, 24
	s_mul_hi_u32 s17, s16, 24
	s_mul_i32 s16, s16, 24
	s_add_i32 s17, s17, s15
	v_lshl_add_u64 v[8:9], v[0:1], 0, s[16:17]
	global_store_dwordx2 v[8:9], v[14:15], off
	buffer_wbl2 sc0 sc1
	s_waitcnt vmcnt(0)
	global_atomic_cmpswap_x2 v[2:3], v10, v[12:15], s[2:3] offset:32 sc0 sc1
	s_waitcnt vmcnt(0)
	v_cmp_ne_u64_e32 vcc, v[2:3], v[14:15]
	s_and_saveexec_b64 s[16:17], vcc
	s_cbranch_execz .LBB6_286
; %bb.284:
	s_mov_b64 s[18:19], 0
.LBB6_285:                              ; =>This Inner Loop Header: Depth=1
	s_sleep 1
	global_store_dwordx2 v[8:9], v[2:3], off
	v_mov_b32_e32 v0, s6
	v_mov_b32_e32 v1, s7
	buffer_wbl2 sc0 sc1
	s_waitcnt vmcnt(0)
	global_atomic_cmpswap_x2 v[0:1], v10, v[0:3], s[2:3] offset:32 sc0 sc1
	s_waitcnt vmcnt(0)
	v_cmp_eq_u64_e32 vcc, v[0:1], v[2:3]
	s_or_b64 s[18:19], vcc, s[18:19]
	v_mov_b64_e32 v[2:3], v[0:1]
	s_andn2_b64 exec, exec, s[18:19]
	s_cbranch_execnz .LBB6_285
.LBB6_286:
	s_or_b64 exec, exec, s[16:17]
	v_mov_b32_e32 v3, 0
	global_load_dwordx2 v[0:1], v3, s[2:3] offset:16
	s_mov_b64 s[16:17], exec
	v_mbcnt_lo_u32_b32 v2, s16, 0
	v_mbcnt_hi_u32_b32 v2, s17, v2
	v_cmp_eq_u32_e32 vcc, 0, v2
	s_and_saveexec_b64 s[18:19], vcc
	s_cbranch_execz .LBB6_288
; %bb.287:
	s_bcnt1_i32_b64 s15, s[16:17]
	v_mov_b32_e32 v2, s15
	buffer_wbl2 sc0 sc1
	s_waitcnt vmcnt(0)
	global_atomic_add_x2 v[0:1], v[2:3], off offset:8 sc1
.LBB6_288:
	s_or_b64 exec, exec, s[18:19]
	s_waitcnt vmcnt(0)
	global_load_dwordx2 v[2:3], v[0:1], off offset:16
	s_waitcnt vmcnt(0)
	v_cmp_eq_u64_e32 vcc, 0, v[2:3]
	s_cbranch_vccnz .LBB6_290
; %bb.289:
	global_load_dword v0, v[0:1], off offset:24
	v_mov_b32_e32 v1, 0
	buffer_wbl2 sc0 sc1
	s_waitcnt vmcnt(0)
	global_store_dwordx2 v[2:3], v[0:1], off sc0 sc1
	v_and_b32_e32 v0, 0xffffff, v0
	s_nop 0
	v_readfirstlane_b32 m0, v0
	s_sendmsg sendmsg(MSG_INTERRUPT)
.LBB6_290:
	s_or_b64 exec, exec, s[10:11]
	v_lshl_add_u64 v[0:1], v[6:7], 0, v[28:29]
	s_branch .LBB6_294
.LBB6_291:                              ;   in Loop: Header=BB6_294 Depth=1
	s_or_b64 exec, exec, s[10:11]
	v_readfirstlane_b32 s10, v2
	s_cmp_eq_u32 s10, 0
	s_cbranch_scc1 .LBB6_293
; %bb.292:                              ;   in Loop: Header=BB6_294 Depth=1
	s_sleep 1
	s_cbranch_execnz .LBB6_294
	s_branch .LBB6_296
.LBB6_293:
	s_branch .LBB6_296
.LBB6_294:                              ; =>This Inner Loop Header: Depth=1
	v_mov_b32_e32 v2, 1
	s_and_saveexec_b64 s[10:11], s[0:1]
	s_cbranch_execz .LBB6_291
; %bb.295:                              ;   in Loop: Header=BB6_294 Depth=1
	global_load_dword v2, v[4:5], off offset:20 sc0 sc1
	s_waitcnt vmcnt(0)
	buffer_inv sc0 sc1
	v_and_b32_e32 v2, 1, v2
	s_branch .LBB6_291
.LBB6_296:
	global_load_dwordx2 v[0:1], v[0:1], off
	s_and_saveexec_b64 s[10:11], s[0:1]
	s_cbranch_execz .LBB6_299
; %bb.297:
	v_mov_b32_e32 v8, 0
	global_load_dwordx2 v[6:7], v8, s[2:3] offset:40
	global_load_dwordx2 v[10:11], v8, s[2:3] offset:24 sc0 sc1
	global_load_dwordx2 v[12:13], v8, s[2:3]
	s_mov_b64 s[0:1], 0
	s_waitcnt vmcnt(2)
	v_lshl_add_u64 v[2:3], v[6:7], 0, 1
	v_lshl_add_u64 v[14:15], v[2:3], 0, s[6:7]
	v_cmp_eq_u64_e32 vcc, 0, v[14:15]
	s_waitcnt vmcnt(1)
	v_mov_b32_e32 v4, v10
	v_cndmask_b32_e32 v3, v15, v3, vcc
	v_cndmask_b32_e32 v2, v14, v2, vcc
	v_and_b32_e32 v5, v3, v7
	v_and_b32_e32 v6, v2, v6
	v_mul_lo_u32 v5, v5, 24
	v_mul_hi_u32 v7, v6, 24
	v_mul_lo_u32 v6, v6, 24
	v_add_u32_e32 v7, v7, v5
	s_waitcnt vmcnt(0)
	v_lshl_add_u64 v[6:7], v[12:13], 0, v[6:7]
	global_store_dwordx2 v[6:7], v[10:11], off
	v_mov_b32_e32 v5, v11
	buffer_wbl2 sc0 sc1
	s_waitcnt vmcnt(0)
	global_atomic_cmpswap_x2 v[4:5], v8, v[2:5], s[2:3] offset:24 sc0 sc1
	s_waitcnt vmcnt(0)
	v_cmp_ne_u64_e32 vcc, v[4:5], v[10:11]
	s_and_b64 exec, exec, vcc
	s_cbranch_execz .LBB6_299
.LBB6_298:                              ; =>This Inner Loop Header: Depth=1
	s_sleep 1
	global_store_dwordx2 v[6:7], v[4:5], off
	buffer_wbl2 sc0 sc1
	s_waitcnt vmcnt(0)
	global_atomic_cmpswap_x2 v[10:11], v8, v[2:5], s[2:3] offset:24 sc0 sc1
	s_waitcnt vmcnt(0)
	v_cmp_eq_u64_e32 vcc, v[10:11], v[4:5]
	s_or_b64 s[0:1], vcc, s[0:1]
	v_mov_b64_e32 v[4:5], v[10:11]
	s_andn2_b64 exec, exec, s[0:1]
	s_cbranch_execnz .LBB6_298
.LBB6_299:
	s_or_b64 exec, exec, s[10:11]
	s_getpc_b64 s[10:11]
	s_add_u32 s10, s10, .str.6@rel32@lo+4
	s_addc_u32 s11, s11, .str.6@rel32@hi+12
	s_cmp_lg_u64 s[10:11], 0
	s_cselect_b64 s[6:7], -1, 0
	s_and_b64 vcc, exec, s[6:7]
	s_cbranch_vccz .LBB6_384
; %bb.300:
	s_waitcnt vmcnt(0)
	v_and_b32_e32 v30, 2, v0
	v_mov_b32_e32 v33, 0
	v_and_b32_e32 v2, -3, v0
	v_mov_b32_e32 v3, v1
	s_mov_b64 s[16:17], 3
	v_mov_b32_e32 v6, 2
	v_mov_b32_e32 v7, 1
	s_branch .LBB6_302
.LBB6_301:                              ;   in Loop: Header=BB6_302 Depth=1
	s_or_b64 exec, exec, s[22:23]
	s_sub_u32 s16, s16, s18
	s_subb_u32 s17, s17, s19
	s_add_u32 s10, s10, s18
	s_addc_u32 s11, s11, s19
	s_cmp_lg_u64 s[16:17], 0
	s_cbranch_scc0 .LBB6_383
.LBB6_302:                              ; =>This Loop Header: Depth=1
                                        ;     Child Loop BB6_305 Depth 2
                                        ;     Child Loop BB6_312 Depth 2
	;; [unrolled: 1-line block ×11, first 2 shown]
	v_cmp_lt_u64_e64 s[0:1], s[16:17], 56
	s_and_b64 s[0:1], s[0:1], exec
	v_cmp_gt_u64_e64 s[0:1], s[16:17], 7
	s_cselect_b32 s19, s17, 0
	s_cselect_b32 s18, s16, 56
	s_and_b64 vcc, exec, s[0:1]
	s_cbranch_vccnz .LBB6_307
; %bb.303:                              ;   in Loop: Header=BB6_302 Depth=1
	s_mov_b64 s[0:1], 0
	s_cmp_eq_u64 s[16:17], 0
	v_mov_b64_e32 v[10:11], 0
	s_cbranch_scc1 .LBB6_306
; %bb.304:                              ;   in Loop: Header=BB6_302 Depth=1
	s_lshl_b64 s[20:21], s[18:19], 3
	s_mov_b64 s[22:23], 0
	v_mov_b64_e32 v[10:11], 0
	s_mov_b64 s[24:25], s[10:11]
.LBB6_305:                              ;   Parent Loop BB6_302 Depth=1
                                        ; =>  This Inner Loop Header: Depth=2
	global_load_ubyte v4, v33, s[24:25]
	s_waitcnt vmcnt(0)
	v_and_b32_e32 v32, 0xffff, v4
	v_lshlrev_b64 v[4:5], s22, v[32:33]
	s_add_u32 s22, s22, 8
	s_addc_u32 s23, s23, 0
	s_add_u32 s24, s24, 1
	s_addc_u32 s25, s25, 0
	v_or_b32_e32 v10, v4, v10
	s_cmp_lg_u32 s20, s22
	v_or_b32_e32 v11, v5, v11
	s_cbranch_scc1 .LBB6_305
.LBB6_306:                              ;   in Loop: Header=BB6_302 Depth=1
	s_mov_b32 s15, 0
	s_andn2_b64 vcc, exec, s[0:1]
	s_mov_b64 s[0:1], s[10:11]
	s_cbranch_vccz .LBB6_308
	s_branch .LBB6_309
.LBB6_307:                              ;   in Loop: Header=BB6_302 Depth=1
                                        ; implicit-def: $vgpr10_vgpr11
                                        ; implicit-def: $sgpr15
	s_mov_b64 s[0:1], s[10:11]
.LBB6_308:                              ;   in Loop: Header=BB6_302 Depth=1
	global_load_dwordx2 v[10:11], v33, s[10:11]
	s_add_i32 s15, s18, -8
	s_add_u32 s0, s10, 8
	s_addc_u32 s1, s11, 0
.LBB6_309:                              ;   in Loop: Header=BB6_302 Depth=1
	s_cmp_gt_u32 s15, 7
	s_cbranch_scc1 .LBB6_313
; %bb.310:                              ;   in Loop: Header=BB6_302 Depth=1
	s_cmp_eq_u32 s15, 0
	s_cbranch_scc1 .LBB6_314
; %bb.311:                              ;   in Loop: Header=BB6_302 Depth=1
	s_mov_b64 s[20:21], 0
	v_mov_b64_e32 v[12:13], 0
	s_mov_b64 s[22:23], 0
.LBB6_312:                              ;   Parent Loop BB6_302 Depth=1
                                        ; =>  This Inner Loop Header: Depth=2
	s_add_u32 s24, s0, s22
	s_addc_u32 s25, s1, s23
	global_load_ubyte v4, v33, s[24:25]
	s_add_u32 s22, s22, 1
	s_addc_u32 s23, s23, 0
	s_waitcnt vmcnt(0)
	v_and_b32_e32 v32, 0xffff, v4
	v_lshlrev_b64 v[4:5], s20, v[32:33]
	s_add_u32 s20, s20, 8
	s_addc_u32 s21, s21, 0
	v_or_b32_e32 v12, v4, v12
	s_cmp_lg_u32 s15, s22
	v_or_b32_e32 v13, v5, v13
	s_cbranch_scc1 .LBB6_312
	s_branch .LBB6_315
.LBB6_313:                              ;   in Loop: Header=BB6_302 Depth=1
                                        ; implicit-def: $vgpr12_vgpr13
                                        ; implicit-def: $sgpr24
	s_branch .LBB6_316
.LBB6_314:                              ;   in Loop: Header=BB6_302 Depth=1
	v_mov_b64_e32 v[12:13], 0
.LBB6_315:                              ;   in Loop: Header=BB6_302 Depth=1
	s_mov_b32 s24, 0
	s_cbranch_execnz .LBB6_317
.LBB6_316:                              ;   in Loop: Header=BB6_302 Depth=1
	global_load_dwordx2 v[12:13], v33, s[0:1]
	s_add_i32 s24, s15, -8
	s_add_u32 s0, s0, 8
	s_addc_u32 s1, s1, 0
.LBB6_317:                              ;   in Loop: Header=BB6_302 Depth=1
	s_cmp_gt_u32 s24, 7
	s_cbranch_scc1 .LBB6_321
; %bb.318:                              ;   in Loop: Header=BB6_302 Depth=1
	s_cmp_eq_u32 s24, 0
	s_cbranch_scc1 .LBB6_322
; %bb.319:                              ;   in Loop: Header=BB6_302 Depth=1
	s_mov_b64 s[20:21], 0
	v_mov_b64_e32 v[14:15], 0
	s_mov_b64 s[22:23], 0
.LBB6_320:                              ;   Parent Loop BB6_302 Depth=1
                                        ; =>  This Inner Loop Header: Depth=2
	s_add_u32 s26, s0, s22
	s_addc_u32 s27, s1, s23
	global_load_ubyte v4, v33, s[26:27]
	s_add_u32 s22, s22, 1
	s_addc_u32 s23, s23, 0
	s_waitcnt vmcnt(0)
	v_and_b32_e32 v32, 0xffff, v4
	v_lshlrev_b64 v[4:5], s20, v[32:33]
	s_add_u32 s20, s20, 8
	s_addc_u32 s21, s21, 0
	v_or_b32_e32 v14, v4, v14
	s_cmp_lg_u32 s24, s22
	v_or_b32_e32 v15, v5, v15
	s_cbranch_scc1 .LBB6_320
	s_branch .LBB6_323
.LBB6_321:                              ;   in Loop: Header=BB6_302 Depth=1
                                        ; implicit-def: $sgpr15
	s_branch .LBB6_324
.LBB6_322:                              ;   in Loop: Header=BB6_302 Depth=1
	v_mov_b64_e32 v[14:15], 0
.LBB6_323:                              ;   in Loop: Header=BB6_302 Depth=1
	s_mov_b32 s15, 0
	s_cbranch_execnz .LBB6_325
.LBB6_324:                              ;   in Loop: Header=BB6_302 Depth=1
	global_load_dwordx2 v[14:15], v33, s[0:1]
	s_add_i32 s15, s24, -8
	s_add_u32 s0, s0, 8
	s_addc_u32 s1, s1, 0
.LBB6_325:                              ;   in Loop: Header=BB6_302 Depth=1
	s_cmp_gt_u32 s15, 7
	s_cbranch_scc1 .LBB6_329
; %bb.326:                              ;   in Loop: Header=BB6_302 Depth=1
	s_cmp_eq_u32 s15, 0
	s_cbranch_scc1 .LBB6_330
; %bb.327:                              ;   in Loop: Header=BB6_302 Depth=1
	s_mov_b64 s[20:21], 0
	v_mov_b64_e32 v[16:17], 0
	s_mov_b64 s[22:23], 0
.LBB6_328:                              ;   Parent Loop BB6_302 Depth=1
                                        ; =>  This Inner Loop Header: Depth=2
	s_add_u32 s24, s0, s22
	s_addc_u32 s25, s1, s23
	global_load_ubyte v4, v33, s[24:25]
	s_add_u32 s22, s22, 1
	s_addc_u32 s23, s23, 0
	s_waitcnt vmcnt(0)
	v_and_b32_e32 v32, 0xffff, v4
	v_lshlrev_b64 v[4:5], s20, v[32:33]
	s_add_u32 s20, s20, 8
	s_addc_u32 s21, s21, 0
	v_or_b32_e32 v16, v4, v16
	s_cmp_lg_u32 s15, s22
	v_or_b32_e32 v17, v5, v17
	s_cbranch_scc1 .LBB6_328
	s_branch .LBB6_331
.LBB6_329:                              ;   in Loop: Header=BB6_302 Depth=1
                                        ; implicit-def: $vgpr16_vgpr17
                                        ; implicit-def: $sgpr24
	s_branch .LBB6_332
.LBB6_330:                              ;   in Loop: Header=BB6_302 Depth=1
	v_mov_b64_e32 v[16:17], 0
.LBB6_331:                              ;   in Loop: Header=BB6_302 Depth=1
	s_mov_b32 s24, 0
	s_cbranch_execnz .LBB6_333
.LBB6_332:                              ;   in Loop: Header=BB6_302 Depth=1
	global_load_dwordx2 v[16:17], v33, s[0:1]
	s_add_i32 s24, s15, -8
	s_add_u32 s0, s0, 8
	s_addc_u32 s1, s1, 0
.LBB6_333:                              ;   in Loop: Header=BB6_302 Depth=1
	s_cmp_gt_u32 s24, 7
	s_cbranch_scc1 .LBB6_337
; %bb.334:                              ;   in Loop: Header=BB6_302 Depth=1
	s_cmp_eq_u32 s24, 0
	s_cbranch_scc1 .LBB6_338
; %bb.335:                              ;   in Loop: Header=BB6_302 Depth=1
	s_mov_b64 s[20:21], 0
	v_mov_b64_e32 v[18:19], 0
	s_mov_b64 s[22:23], 0
.LBB6_336:                              ;   Parent Loop BB6_302 Depth=1
                                        ; =>  This Inner Loop Header: Depth=2
	s_add_u32 s26, s0, s22
	s_addc_u32 s27, s1, s23
	global_load_ubyte v4, v33, s[26:27]
	s_add_u32 s22, s22, 1
	s_addc_u32 s23, s23, 0
	s_waitcnt vmcnt(0)
	v_and_b32_e32 v32, 0xffff, v4
	v_lshlrev_b64 v[4:5], s20, v[32:33]
	s_add_u32 s20, s20, 8
	s_addc_u32 s21, s21, 0
	v_or_b32_e32 v18, v4, v18
	s_cmp_lg_u32 s24, s22
	v_or_b32_e32 v19, v5, v19
	s_cbranch_scc1 .LBB6_336
	s_branch .LBB6_339
.LBB6_337:                              ;   in Loop: Header=BB6_302 Depth=1
                                        ; implicit-def: $sgpr15
	s_branch .LBB6_340
.LBB6_338:                              ;   in Loop: Header=BB6_302 Depth=1
	v_mov_b64_e32 v[18:19], 0
.LBB6_339:                              ;   in Loop: Header=BB6_302 Depth=1
	s_mov_b32 s15, 0
	s_cbranch_execnz .LBB6_341
.LBB6_340:                              ;   in Loop: Header=BB6_302 Depth=1
	global_load_dwordx2 v[18:19], v33, s[0:1]
	s_add_i32 s15, s24, -8
	s_add_u32 s0, s0, 8
	s_addc_u32 s1, s1, 0
.LBB6_341:                              ;   in Loop: Header=BB6_302 Depth=1
	s_cmp_gt_u32 s15, 7
	s_cbranch_scc1 .LBB6_345
; %bb.342:                              ;   in Loop: Header=BB6_302 Depth=1
	s_cmp_eq_u32 s15, 0
	s_cbranch_scc1 .LBB6_346
; %bb.343:                              ;   in Loop: Header=BB6_302 Depth=1
	s_mov_b64 s[20:21], 0
	v_mov_b64_e32 v[20:21], 0
	s_mov_b64 s[22:23], 0
.LBB6_344:                              ;   Parent Loop BB6_302 Depth=1
                                        ; =>  This Inner Loop Header: Depth=2
	s_add_u32 s24, s0, s22
	s_addc_u32 s25, s1, s23
	global_load_ubyte v4, v33, s[24:25]
	s_add_u32 s22, s22, 1
	s_addc_u32 s23, s23, 0
	s_waitcnt vmcnt(0)
	v_and_b32_e32 v32, 0xffff, v4
	v_lshlrev_b64 v[4:5], s20, v[32:33]
	s_add_u32 s20, s20, 8
	s_addc_u32 s21, s21, 0
	v_or_b32_e32 v20, v4, v20
	s_cmp_lg_u32 s15, s22
	v_or_b32_e32 v21, v5, v21
	s_cbranch_scc1 .LBB6_344
	s_branch .LBB6_347
.LBB6_345:                              ;   in Loop: Header=BB6_302 Depth=1
                                        ; implicit-def: $vgpr20_vgpr21
                                        ; implicit-def: $sgpr24
	s_branch .LBB6_348
.LBB6_346:                              ;   in Loop: Header=BB6_302 Depth=1
	v_mov_b64_e32 v[20:21], 0
.LBB6_347:                              ;   in Loop: Header=BB6_302 Depth=1
	s_mov_b32 s24, 0
	s_cbranch_execnz .LBB6_349
.LBB6_348:                              ;   in Loop: Header=BB6_302 Depth=1
	global_load_dwordx2 v[20:21], v33, s[0:1]
	s_add_i32 s24, s15, -8
	s_add_u32 s0, s0, 8
	s_addc_u32 s1, s1, 0
.LBB6_349:                              ;   in Loop: Header=BB6_302 Depth=1
	s_cmp_gt_u32 s24, 7
	s_cbranch_scc1 .LBB6_353
; %bb.350:                              ;   in Loop: Header=BB6_302 Depth=1
	s_cmp_eq_u32 s24, 0
	s_cbranch_scc1 .LBB6_354
; %bb.351:                              ;   in Loop: Header=BB6_302 Depth=1
	s_mov_b64 s[20:21], 0
	v_mov_b64_e32 v[22:23], 0
	s_mov_b64 s[22:23], s[0:1]
.LBB6_352:                              ;   Parent Loop BB6_302 Depth=1
                                        ; =>  This Inner Loop Header: Depth=2
	global_load_ubyte v4, v33, s[22:23]
	s_add_i32 s24, s24, -1
	s_waitcnt vmcnt(0)
	v_and_b32_e32 v32, 0xffff, v4
	v_lshlrev_b64 v[4:5], s20, v[32:33]
	s_add_u32 s20, s20, 8
	s_addc_u32 s21, s21, 0
	s_add_u32 s22, s22, 1
	s_addc_u32 s23, s23, 0
	v_or_b32_e32 v22, v4, v22
	s_cmp_lg_u32 s24, 0
	v_or_b32_e32 v23, v5, v23
	s_cbranch_scc1 .LBB6_352
	s_branch .LBB6_355
.LBB6_353:                              ;   in Loop: Header=BB6_302 Depth=1
	s_branch .LBB6_356
.LBB6_354:                              ;   in Loop: Header=BB6_302 Depth=1
	v_mov_b64_e32 v[22:23], 0
.LBB6_355:                              ;   in Loop: Header=BB6_302 Depth=1
	s_cbranch_execnz .LBB6_357
.LBB6_356:                              ;   in Loop: Header=BB6_302 Depth=1
	global_load_dwordx2 v[22:23], v33, s[0:1]
.LBB6_357:                              ;   in Loop: Header=BB6_302 Depth=1
	v_readfirstlane_b32 s0, v36
	s_waitcnt vmcnt(0)
	v_mov_b64_e32 v[4:5], 0
	v_cmp_eq_u32_e64 s[0:1], s0, v36
	s_and_saveexec_b64 s[20:21], s[0:1]
	s_cbranch_execz .LBB6_363
; %bb.358:                              ;   in Loop: Header=BB6_302 Depth=1
	global_load_dwordx2 v[26:27], v33, s[2:3] offset:24 sc0 sc1
	s_waitcnt vmcnt(0)
	buffer_inv sc0 sc1
	global_load_dwordx2 v[4:5], v33, s[2:3] offset:40
	global_load_dwordx2 v[8:9], v33, s[2:3]
	s_waitcnt vmcnt(1)
	v_and_b32_e32 v4, v4, v26
	v_and_b32_e32 v5, v5, v27
	v_mul_lo_u32 v5, v5, 24
	v_mul_hi_u32 v24, v4, 24
	v_add_u32_e32 v5, v24, v5
	v_mul_lo_u32 v4, v4, 24
	s_waitcnt vmcnt(0)
	v_lshl_add_u64 v[4:5], v[8:9], 0, v[4:5]
	global_load_dwordx2 v[24:25], v[4:5], off sc0 sc1
	s_waitcnt vmcnt(0)
	global_atomic_cmpswap_x2 v[4:5], v33, v[24:27], s[2:3] offset:24 sc0 sc1
	s_waitcnt vmcnt(0)
	buffer_inv sc0 sc1
	v_cmp_ne_u64_e32 vcc, v[4:5], v[26:27]
	s_and_saveexec_b64 s[22:23], vcc
	s_cbranch_execz .LBB6_362
; %bb.359:                              ;   in Loop: Header=BB6_302 Depth=1
	s_mov_b64 s[24:25], 0
.LBB6_360:                              ;   Parent Loop BB6_302 Depth=1
                                        ; =>  This Inner Loop Header: Depth=2
	s_sleep 1
	global_load_dwordx2 v[8:9], v33, s[2:3] offset:40
	global_load_dwordx2 v[24:25], v33, s[2:3]
	v_mov_b64_e32 v[26:27], v[4:5]
	s_waitcnt vmcnt(1)
	v_and_b32_e32 v4, v8, v26
	s_waitcnt vmcnt(0)
	v_mad_u64_u32 v[4:5], s[26:27], v4, 24, v[24:25]
	v_and_b32_e32 v9, v9, v27
	v_mov_b32_e32 v8, v5
	v_mad_u64_u32 v[8:9], s[26:27], v9, 24, v[8:9]
	v_mov_b32_e32 v5, v8
	global_load_dwordx2 v[24:25], v[4:5], off sc0 sc1
	s_waitcnt vmcnt(0)
	global_atomic_cmpswap_x2 v[4:5], v33, v[24:27], s[2:3] offset:24 sc0 sc1
	s_waitcnt vmcnt(0)
	buffer_inv sc0 sc1
	v_cmp_eq_u64_e32 vcc, v[4:5], v[26:27]
	s_or_b64 s[24:25], vcc, s[24:25]
	s_andn2_b64 exec, exec, s[24:25]
	s_cbranch_execnz .LBB6_360
; %bb.361:                              ;   in Loop: Header=BB6_302 Depth=1
	s_or_b64 exec, exec, s[24:25]
.LBB6_362:                              ;   in Loop: Header=BB6_302 Depth=1
	s_or_b64 exec, exec, s[22:23]
.LBB6_363:                              ;   in Loop: Header=BB6_302 Depth=1
	s_or_b64 exec, exec, s[20:21]
	global_load_dwordx2 v[8:9], v33, s[2:3] offset:40
	global_load_dwordx4 v[24:27], v33, s[2:3]
	v_readfirstlane_b32 s20, v4
	v_readfirstlane_b32 s21, v5
	s_mov_b64 s[22:23], exec
	s_waitcnt vmcnt(1)
	v_readfirstlane_b32 s24, v8
	v_readfirstlane_b32 s25, v9
	s_and_b64 s[24:25], s[20:21], s[24:25]
	s_mul_i32 s15, s25, 24
	s_mul_hi_u32 s26, s24, 24
	s_add_i32 s27, s26, s15
	s_mul_i32 s26, s24, 24
	s_waitcnt vmcnt(0)
	v_lshl_add_u64 v[34:35], v[24:25], 0, s[26:27]
	s_and_saveexec_b64 s[26:27], s[0:1]
	s_cbranch_execz .LBB6_365
; %bb.364:                              ;   in Loop: Header=BB6_302 Depth=1
	v_mov_b64_e32 v[4:5], s[22:23]
	global_store_dwordx4 v[34:35], v[4:7], off offset:8
.LBB6_365:                              ;   in Loop: Header=BB6_302 Depth=1
	s_or_b64 exec, exec, s[26:27]
	s_nop 0
	v_or_b32_e32 v5, v2, v30
	v_cmp_gt_u64_e64 vcc, s[16:17], 56
	s_lshl_b32 s15, s18, 2
	s_lshl_b64 s[22:23], s[24:25], 12
	v_cndmask_b32_e32 v2, v5, v2, vcc
	s_add_i32 s15, s15, 28
	v_lshl_add_u64 v[26:27], v[26:27], 0, s[22:23]
	v_or_b32_e32 v4, 0, v3
	s_and_b32 s15, s15, 0x1e0
	v_and_b32_e32 v2, 0xffffff1f, v2
	v_cndmask_b32_e32 v9, v4, v3, vcc
	v_or_b32_e32 v8, s15, v2
	v_readfirstlane_b32 s22, v26
	v_readfirstlane_b32 s23, v27
	s_nop 4
	global_store_dwordx4 v28, v[8:11], s[22:23]
	global_store_dwordx4 v28, v[12:15], s[22:23] offset:16
	global_store_dwordx4 v28, v[16:19], s[22:23] offset:32
	;; [unrolled: 1-line block ×3, first 2 shown]
	s_and_saveexec_b64 s[22:23], s[0:1]
	s_cbranch_execz .LBB6_373
; %bb.366:                              ;   in Loop: Header=BB6_302 Depth=1
	global_load_dwordx2 v[12:13], v33, s[2:3] offset:32 sc0 sc1
	global_load_dwordx2 v[2:3], v33, s[2:3] offset:40
	v_mov_b32_e32 v10, s20
	v_mov_b32_e32 v11, s21
	s_waitcnt vmcnt(0)
	v_readfirstlane_b32 s24, v2
	v_readfirstlane_b32 s25, v3
	s_and_b64 s[24:25], s[24:25], s[20:21]
	s_mul_i32 s15, s25, 24
	s_mul_hi_u32 s25, s24, 24
	s_mul_i32 s24, s24, 24
	s_add_i32 s25, s25, s15
	v_lshl_add_u64 v[8:9], v[24:25], 0, s[24:25]
	global_store_dwordx2 v[8:9], v[12:13], off
	buffer_wbl2 sc0 sc1
	s_waitcnt vmcnt(0)
	global_atomic_cmpswap_x2 v[4:5], v33, v[10:13], s[2:3] offset:32 sc0 sc1
	s_waitcnt vmcnt(0)
	v_cmp_ne_u64_e32 vcc, v[4:5], v[12:13]
	s_and_saveexec_b64 s[24:25], vcc
	s_cbranch_execz .LBB6_369
; %bb.367:                              ;   in Loop: Header=BB6_302 Depth=1
	s_mov_b64 s[26:27], 0
.LBB6_368:                              ;   Parent Loop BB6_302 Depth=1
                                        ; =>  This Inner Loop Header: Depth=2
	s_sleep 1
	global_store_dwordx2 v[8:9], v[4:5], off
	v_mov_b32_e32 v2, s20
	v_mov_b32_e32 v3, s21
	buffer_wbl2 sc0 sc1
	s_waitcnt vmcnt(0)
	global_atomic_cmpswap_x2 v[2:3], v33, v[2:5], s[2:3] offset:32 sc0 sc1
	s_waitcnt vmcnt(0)
	v_cmp_eq_u64_e32 vcc, v[2:3], v[4:5]
	s_or_b64 s[26:27], vcc, s[26:27]
	v_mov_b64_e32 v[4:5], v[2:3]
	s_andn2_b64 exec, exec, s[26:27]
	s_cbranch_execnz .LBB6_368
.LBB6_369:                              ;   in Loop: Header=BB6_302 Depth=1
	s_or_b64 exec, exec, s[24:25]
	global_load_dwordx2 v[2:3], v33, s[2:3] offset:16
	s_mov_b64 s[26:27], exec
	v_mbcnt_lo_u32_b32 v4, s26, 0
	v_mbcnt_hi_u32_b32 v4, s27, v4
	v_cmp_eq_u32_e32 vcc, 0, v4
	s_and_saveexec_b64 s[24:25], vcc
	s_cbranch_execz .LBB6_371
; %bb.370:                              ;   in Loop: Header=BB6_302 Depth=1
	s_bcnt1_i32_b64 s15, s[26:27]
	v_mov_b32_e32 v32, s15
	buffer_wbl2 sc0 sc1
	s_waitcnt vmcnt(0)
	global_atomic_add_x2 v[2:3], v[32:33], off offset:8 sc1
.LBB6_371:                              ;   in Loop: Header=BB6_302 Depth=1
	s_or_b64 exec, exec, s[24:25]
	s_waitcnt vmcnt(0)
	global_load_dwordx2 v[4:5], v[2:3], off offset:16
	s_waitcnt vmcnt(0)
	v_cmp_eq_u64_e32 vcc, 0, v[4:5]
	s_cbranch_vccnz .LBB6_373
; %bb.372:                              ;   in Loop: Header=BB6_302 Depth=1
	global_load_dword v32, v[2:3], off offset:24
	s_waitcnt vmcnt(0)
	v_and_b32_e32 v2, 0xffffff, v32
	s_nop 0
	v_readfirstlane_b32 m0, v2
	buffer_wbl2 sc0 sc1
	global_store_dwordx2 v[4:5], v[32:33], off sc0 sc1
	s_sendmsg sendmsg(MSG_INTERRUPT)
.LBB6_373:                              ;   in Loop: Header=BB6_302 Depth=1
	s_or_b64 exec, exec, s[22:23]
	v_mov_b32_e32 v29, v33
	v_lshl_add_u64 v[2:3], v[26:27], 0, v[28:29]
	s_branch .LBB6_377
.LBB6_374:                              ;   in Loop: Header=BB6_377 Depth=2
	s_or_b64 exec, exec, s[22:23]
	v_readfirstlane_b32 s15, v4
	s_cmp_eq_u32 s15, 0
	s_cbranch_scc1 .LBB6_376
; %bb.375:                              ;   in Loop: Header=BB6_377 Depth=2
	s_sleep 1
	s_cbranch_execnz .LBB6_377
	s_branch .LBB6_379
.LBB6_376:                              ;   in Loop: Header=BB6_302 Depth=1
	s_branch .LBB6_379
.LBB6_377:                              ;   Parent Loop BB6_302 Depth=1
                                        ; =>  This Inner Loop Header: Depth=2
	v_mov_b32_e32 v4, 1
	s_and_saveexec_b64 s[22:23], s[0:1]
	s_cbranch_execz .LBB6_374
; %bb.378:                              ;   in Loop: Header=BB6_377 Depth=2
	global_load_dword v4, v[34:35], off offset:20 sc0 sc1
	s_waitcnt vmcnt(0)
	buffer_inv sc0 sc1
	v_and_b32_e32 v4, 1, v4
	s_branch .LBB6_374
.LBB6_379:                              ;   in Loop: Header=BB6_302 Depth=1
	global_load_dwordx4 v[2:5], v[2:3], off
	s_and_saveexec_b64 s[22:23], s[0:1]
	s_cbranch_execz .LBB6_301
; %bb.380:                              ;   in Loop: Header=BB6_302 Depth=1
	global_load_dwordx2 v[4:5], v33, s[2:3] offset:40
	global_load_dwordx2 v[12:13], v33, s[2:3] offset:24 sc0 sc1
	global_load_dwordx2 v[14:15], v33, s[2:3]
	s_waitcnt vmcnt(2)
	v_lshl_add_u64 v[8:9], v[4:5], 0, 1
	v_lshl_add_u64 v[16:17], v[8:9], 0, s[20:21]
	v_cmp_eq_u64_e32 vcc, 0, v[16:17]
	s_waitcnt vmcnt(1)
	v_mov_b32_e32 v10, v12
	v_cndmask_b32_e32 v9, v17, v9, vcc
	v_cndmask_b32_e32 v8, v16, v8, vcc
	v_and_b32_e32 v5, v9, v5
	v_and_b32_e32 v4, v8, v4
	v_mul_lo_u32 v5, v5, 24
	v_mul_hi_u32 v11, v4, 24
	v_mul_lo_u32 v4, v4, 24
	v_add_u32_e32 v5, v11, v5
	s_waitcnt vmcnt(0)
	v_lshl_add_u64 v[4:5], v[14:15], 0, v[4:5]
	global_store_dwordx2 v[4:5], v[12:13], off
	v_mov_b32_e32 v11, v13
	buffer_wbl2 sc0 sc1
	s_waitcnt vmcnt(0)
	global_atomic_cmpswap_x2 v[10:11], v33, v[8:11], s[2:3] offset:24 sc0 sc1
	s_waitcnt vmcnt(0)
	v_cmp_ne_u64_e32 vcc, v[10:11], v[12:13]
	s_and_b64 exec, exec, vcc
	s_cbranch_execz .LBB6_301
; %bb.381:                              ;   in Loop: Header=BB6_302 Depth=1
	s_mov_b64 s[0:1], 0
.LBB6_382:                              ;   Parent Loop BB6_302 Depth=1
                                        ; =>  This Inner Loop Header: Depth=2
	s_sleep 1
	global_store_dwordx2 v[4:5], v[10:11], off
	buffer_wbl2 sc0 sc1
	s_waitcnt vmcnt(0)
	global_atomic_cmpswap_x2 v[12:13], v33, v[8:11], s[2:3] offset:24 sc0 sc1
	s_waitcnt vmcnt(0)
	v_cmp_eq_u64_e32 vcc, v[12:13], v[10:11]
	s_or_b64 s[0:1], vcc, s[0:1]
	v_mov_b64_e32 v[10:11], v[12:13]
	s_andn2_b64 exec, exec, s[0:1]
	s_cbranch_execnz .LBB6_382
	s_branch .LBB6_301
.LBB6_383:
	s_branch .LBB6_411
.LBB6_384:
                                        ; implicit-def: $vgpr2_vgpr3
	s_cbranch_execz .LBB6_411
; %bb.385:
	v_readfirstlane_b32 s0, v36
	s_waitcnt vmcnt(0)
	v_mov_b64_e32 v[2:3], 0
	v_cmp_eq_u32_e64 s[0:1], s0, v36
	s_and_saveexec_b64 s[10:11], s[0:1]
	s_cbranch_execz .LBB6_391
; %bb.386:
	v_mov_b32_e32 v4, 0
	global_load_dwordx2 v[8:9], v4, s[2:3] offset:24 sc0 sc1
	s_waitcnt vmcnt(0)
	buffer_inv sc0 sc1
	global_load_dwordx2 v[2:3], v4, s[2:3] offset:40
	global_load_dwordx2 v[6:7], v4, s[2:3]
	s_waitcnt vmcnt(1)
	v_and_b32_e32 v2, v2, v8
	v_and_b32_e32 v3, v3, v9
	v_mul_lo_u32 v3, v3, 24
	v_mul_hi_u32 v5, v2, 24
	v_add_u32_e32 v3, v5, v3
	v_mul_lo_u32 v2, v2, 24
	s_waitcnt vmcnt(0)
	v_lshl_add_u64 v[2:3], v[6:7], 0, v[2:3]
	global_load_dwordx2 v[6:7], v[2:3], off sc0 sc1
	s_waitcnt vmcnt(0)
	global_atomic_cmpswap_x2 v[2:3], v4, v[6:9], s[2:3] offset:24 sc0 sc1
	s_waitcnt vmcnt(0)
	buffer_inv sc0 sc1
	v_cmp_ne_u64_e32 vcc, v[2:3], v[8:9]
	s_and_saveexec_b64 s[16:17], vcc
	s_cbranch_execz .LBB6_390
; %bb.387:
	s_mov_b64 s[18:19], 0
.LBB6_388:                              ; =>This Inner Loop Header: Depth=1
	s_sleep 1
	global_load_dwordx2 v[6:7], v4, s[2:3] offset:40
	global_load_dwordx2 v[10:11], v4, s[2:3]
	v_mov_b64_e32 v[8:9], v[2:3]
	s_waitcnt vmcnt(1)
	v_and_b32_e32 v2, v6, v8
	s_waitcnt vmcnt(0)
	v_mad_u64_u32 v[2:3], s[20:21], v2, 24, v[10:11]
	v_and_b32_e32 v5, v7, v9
	v_mov_b32_e32 v6, v3
	v_mad_u64_u32 v[6:7], s[20:21], v5, 24, v[6:7]
	v_mov_b32_e32 v3, v6
	global_load_dwordx2 v[6:7], v[2:3], off sc0 sc1
	s_waitcnt vmcnt(0)
	global_atomic_cmpswap_x2 v[2:3], v4, v[6:9], s[2:3] offset:24 sc0 sc1
	s_waitcnt vmcnt(0)
	buffer_inv sc0 sc1
	v_cmp_eq_u64_e32 vcc, v[2:3], v[8:9]
	s_or_b64 s[18:19], vcc, s[18:19]
	s_andn2_b64 exec, exec, s[18:19]
	s_cbranch_execnz .LBB6_388
; %bb.389:
	s_or_b64 exec, exec, s[18:19]
.LBB6_390:
	s_or_b64 exec, exec, s[16:17]
.LBB6_391:
	s_or_b64 exec, exec, s[10:11]
	v_mov_b32_e32 v29, 0
	global_load_dwordx2 v[8:9], v29, s[2:3] offset:40
	global_load_dwordx4 v[4:7], v29, s[2:3]
	v_readfirstlane_b32 s10, v2
	v_readfirstlane_b32 s11, v3
	s_mov_b64 s[16:17], exec
	s_waitcnt vmcnt(1)
	v_readfirstlane_b32 s18, v8
	v_readfirstlane_b32 s19, v9
	s_and_b64 s[18:19], s[10:11], s[18:19]
	s_mul_i32 s15, s19, 24
	s_mul_hi_u32 s20, s18, 24
	s_add_i32 s21, s20, s15
	s_mul_i32 s20, s18, 24
	s_waitcnt vmcnt(0)
	v_lshl_add_u64 v[8:9], v[4:5], 0, s[20:21]
	s_and_saveexec_b64 s[20:21], s[0:1]
	s_cbranch_execz .LBB6_393
; %bb.392:
	v_mov_b64_e32 v[10:11], s[16:17]
	v_mov_b32_e32 v12, 2
	v_mov_b32_e32 v13, 1
	global_store_dwordx4 v[8:9], v[10:13], off offset:8
.LBB6_393:
	s_or_b64 exec, exec, s[20:21]
	s_lshl_b64 s[16:17], s[18:19], 12
	v_lshl_add_u64 v[6:7], v[6:7], 0, s[16:17]
	s_movk_i32 s15, 0xff1f
	s_mov_b32 s16, 0
	v_and_or_b32 v0, v0, s15, 32
	v_mov_b32_e32 v2, v29
	v_mov_b32_e32 v3, v29
	v_readfirstlane_b32 s20, v6
	v_readfirstlane_b32 s21, v7
	s_mov_b32 s17, s16
	s_mov_b32 s18, s16
	;; [unrolled: 1-line block ×3, first 2 shown]
	s_nop 1
	global_store_dwordx4 v28, v[0:3], s[20:21]
	s_nop 1
	v_mov_b64_e32 v[0:1], s[16:17]
	v_mov_b64_e32 v[2:3], s[18:19]
	global_store_dwordx4 v28, v[0:3], s[20:21] offset:16
	global_store_dwordx4 v28, v[0:3], s[20:21] offset:32
	;; [unrolled: 1-line block ×3, first 2 shown]
	s_and_saveexec_b64 s[16:17], s[0:1]
	s_cbranch_execz .LBB6_401
; %bb.394:
	v_mov_b32_e32 v10, 0
	global_load_dwordx2 v[14:15], v10, s[2:3] offset:32 sc0 sc1
	global_load_dwordx2 v[0:1], v10, s[2:3] offset:40
	v_mov_b32_e32 v12, s10
	v_mov_b32_e32 v13, s11
	s_waitcnt vmcnt(0)
	v_readfirstlane_b32 s18, v0
	v_readfirstlane_b32 s19, v1
	s_and_b64 s[18:19], s[18:19], s[10:11]
	s_mul_i32 s15, s19, 24
	s_mul_hi_u32 s19, s18, 24
	s_mul_i32 s18, s18, 24
	s_add_i32 s19, s19, s15
	v_lshl_add_u64 v[4:5], v[4:5], 0, s[18:19]
	global_store_dwordx2 v[4:5], v[14:15], off
	buffer_wbl2 sc0 sc1
	s_waitcnt vmcnt(0)
	global_atomic_cmpswap_x2 v[2:3], v10, v[12:15], s[2:3] offset:32 sc0 sc1
	s_waitcnt vmcnt(0)
	v_cmp_ne_u64_e32 vcc, v[2:3], v[14:15]
	s_and_saveexec_b64 s[18:19], vcc
	s_cbranch_execz .LBB6_397
; %bb.395:
	s_mov_b64 s[20:21], 0
.LBB6_396:                              ; =>This Inner Loop Header: Depth=1
	s_sleep 1
	global_store_dwordx2 v[4:5], v[2:3], off
	v_mov_b32_e32 v0, s10
	v_mov_b32_e32 v1, s11
	buffer_wbl2 sc0 sc1
	s_waitcnt vmcnt(0)
	global_atomic_cmpswap_x2 v[0:1], v10, v[0:3], s[2:3] offset:32 sc0 sc1
	s_waitcnt vmcnt(0)
	v_cmp_eq_u64_e32 vcc, v[0:1], v[2:3]
	s_or_b64 s[20:21], vcc, s[20:21]
	v_mov_b64_e32 v[2:3], v[0:1]
	s_andn2_b64 exec, exec, s[20:21]
	s_cbranch_execnz .LBB6_396
.LBB6_397:
	s_or_b64 exec, exec, s[18:19]
	v_mov_b32_e32 v3, 0
	global_load_dwordx2 v[0:1], v3, s[2:3] offset:16
	s_mov_b64 s[18:19], exec
	v_mbcnt_lo_u32_b32 v2, s18, 0
	v_mbcnt_hi_u32_b32 v2, s19, v2
	v_cmp_eq_u32_e32 vcc, 0, v2
	s_and_saveexec_b64 s[20:21], vcc
	s_cbranch_execz .LBB6_399
; %bb.398:
	s_bcnt1_i32_b64 s15, s[18:19]
	v_mov_b32_e32 v2, s15
	buffer_wbl2 sc0 sc1
	s_waitcnt vmcnt(0)
	global_atomic_add_x2 v[0:1], v[2:3], off offset:8 sc1
.LBB6_399:
	s_or_b64 exec, exec, s[20:21]
	s_waitcnt vmcnt(0)
	global_load_dwordx2 v[2:3], v[0:1], off offset:16
	s_waitcnt vmcnt(0)
	v_cmp_eq_u64_e32 vcc, 0, v[2:3]
	s_cbranch_vccnz .LBB6_401
; %bb.400:
	global_load_dword v0, v[0:1], off offset:24
	v_mov_b32_e32 v1, 0
	buffer_wbl2 sc0 sc1
	s_waitcnt vmcnt(0)
	global_store_dwordx2 v[2:3], v[0:1], off sc0 sc1
	v_and_b32_e32 v0, 0xffffff, v0
	s_nop 0
	v_readfirstlane_b32 m0, v0
	s_sendmsg sendmsg(MSG_INTERRUPT)
.LBB6_401:
	s_or_b64 exec, exec, s[16:17]
	v_lshl_add_u64 v[0:1], v[6:7], 0, v[28:29]
	s_branch .LBB6_405
.LBB6_402:                              ;   in Loop: Header=BB6_405 Depth=1
	s_or_b64 exec, exec, s[16:17]
	v_readfirstlane_b32 s15, v2
	s_cmp_eq_u32 s15, 0
	s_cbranch_scc1 .LBB6_404
; %bb.403:                              ;   in Loop: Header=BB6_405 Depth=1
	s_sleep 1
	s_cbranch_execnz .LBB6_405
	s_branch .LBB6_407
.LBB6_404:
	s_branch .LBB6_407
.LBB6_405:                              ; =>This Inner Loop Header: Depth=1
	v_mov_b32_e32 v2, 1
	s_and_saveexec_b64 s[16:17], s[0:1]
	s_cbranch_execz .LBB6_402
; %bb.406:                              ;   in Loop: Header=BB6_405 Depth=1
	global_load_dword v2, v[8:9], off offset:20 sc0 sc1
	s_waitcnt vmcnt(0)
	buffer_inv sc0 sc1
	v_and_b32_e32 v2, 1, v2
	s_branch .LBB6_402
.LBB6_407:
	global_load_dwordx2 v[2:3], v[0:1], off
	s_and_saveexec_b64 s[16:17], s[0:1]
	s_cbranch_execz .LBB6_410
; %bb.408:
	v_mov_b32_e32 v8, 0
	global_load_dwordx2 v[0:1], v8, s[2:3] offset:40
	global_load_dwordx2 v[10:11], v8, s[2:3] offset:24 sc0 sc1
	global_load_dwordx2 v[12:13], v8, s[2:3]
	s_mov_b64 s[0:1], 0
	s_waitcnt vmcnt(2)
	v_lshl_add_u64 v[4:5], v[0:1], 0, 1
	v_lshl_add_u64 v[14:15], v[4:5], 0, s[10:11]
	v_cmp_eq_u64_e32 vcc, 0, v[14:15]
	s_waitcnt vmcnt(1)
	v_mov_b32_e32 v6, v10
	v_cndmask_b32_e32 v5, v15, v5, vcc
	v_cndmask_b32_e32 v4, v14, v4, vcc
	v_and_b32_e32 v1, v5, v1
	v_and_b32_e32 v0, v4, v0
	v_mul_lo_u32 v1, v1, 24
	v_mul_hi_u32 v7, v0, 24
	v_mul_lo_u32 v0, v0, 24
	v_add_u32_e32 v1, v7, v1
	s_waitcnt vmcnt(0)
	v_lshl_add_u64 v[0:1], v[12:13], 0, v[0:1]
	global_store_dwordx2 v[0:1], v[10:11], off
	v_mov_b32_e32 v7, v11
	buffer_wbl2 sc0 sc1
	s_waitcnt vmcnt(0)
	global_atomic_cmpswap_x2 v[6:7], v8, v[4:7], s[2:3] offset:24 sc0 sc1
	s_waitcnt vmcnt(0)
	v_cmp_ne_u64_e32 vcc, v[6:7], v[10:11]
	s_and_b64 exec, exec, vcc
	s_cbranch_execz .LBB6_410
.LBB6_409:                              ; =>This Inner Loop Header: Depth=1
	s_sleep 1
	global_store_dwordx2 v[0:1], v[6:7], off
	buffer_wbl2 sc0 sc1
	s_waitcnt vmcnt(0)
	global_atomic_cmpswap_x2 v[10:11], v8, v[4:7], s[2:3] offset:24 sc0 sc1
	s_waitcnt vmcnt(0)
	v_cmp_eq_u64_e32 vcc, v[10:11], v[6:7]
	s_or_b64 s[0:1], vcc, s[0:1]
	v_mov_b64_e32 v[6:7], v[10:11]
	s_andn2_b64 exec, exec, s[0:1]
	s_cbranch_execnz .LBB6_409
.LBB6_410:
	s_or_b64 exec, exec, s[16:17]
.LBB6_411:
	v_readfirstlane_b32 s0, v36
	s_waitcnt vmcnt(0)
	v_mov_b64_e32 v[0:1], 0
	v_cmp_eq_u32_e64 s[0:1], s0, v36
	s_and_saveexec_b64 s[10:11], s[0:1]
	s_cbranch_execz .LBB6_417
; %bb.412:
	v_mov_b32_e32 v4, 0
	global_load_dwordx2 v[8:9], v4, s[2:3] offset:24 sc0 sc1
	s_waitcnt vmcnt(0)
	buffer_inv sc0 sc1
	global_load_dwordx2 v[0:1], v4, s[2:3] offset:40
	global_load_dwordx2 v[6:7], v4, s[2:3]
	s_waitcnt vmcnt(1)
	v_and_b32_e32 v0, v0, v8
	v_and_b32_e32 v1, v1, v9
	v_mul_lo_u32 v1, v1, 24
	v_mul_hi_u32 v5, v0, 24
	v_add_u32_e32 v1, v5, v1
	v_mul_lo_u32 v0, v0, 24
	s_waitcnt vmcnt(0)
	v_lshl_add_u64 v[0:1], v[6:7], 0, v[0:1]
	global_load_dwordx2 v[6:7], v[0:1], off sc0 sc1
	s_waitcnt vmcnt(0)
	global_atomic_cmpswap_x2 v[0:1], v4, v[6:9], s[2:3] offset:24 sc0 sc1
	s_waitcnt vmcnt(0)
	buffer_inv sc0 sc1
	v_cmp_ne_u64_e32 vcc, v[0:1], v[8:9]
	s_and_saveexec_b64 s[16:17], vcc
	s_cbranch_execz .LBB6_416
; %bb.413:
	s_mov_b64 s[18:19], 0
.LBB6_414:                              ; =>This Inner Loop Header: Depth=1
	s_sleep 1
	global_load_dwordx2 v[6:7], v4, s[2:3] offset:40
	global_load_dwordx2 v[10:11], v4, s[2:3]
	v_mov_b64_e32 v[8:9], v[0:1]
	s_waitcnt vmcnt(1)
	v_and_b32_e32 v0, v6, v8
	s_waitcnt vmcnt(0)
	v_mad_u64_u32 v[0:1], s[20:21], v0, 24, v[10:11]
	v_and_b32_e32 v5, v7, v9
	v_mov_b32_e32 v6, v1
	v_mad_u64_u32 v[6:7], s[20:21], v5, 24, v[6:7]
	v_mov_b32_e32 v1, v6
	global_load_dwordx2 v[6:7], v[0:1], off sc0 sc1
	s_waitcnt vmcnt(0)
	global_atomic_cmpswap_x2 v[0:1], v4, v[6:9], s[2:3] offset:24 sc0 sc1
	s_waitcnt vmcnt(0)
	buffer_inv sc0 sc1
	v_cmp_eq_u64_e32 vcc, v[0:1], v[8:9]
	s_or_b64 s[18:19], vcc, s[18:19]
	s_andn2_b64 exec, exec, s[18:19]
	s_cbranch_execnz .LBB6_414
; %bb.415:
	s_or_b64 exec, exec, s[18:19]
.LBB6_416:
	s_or_b64 exec, exec, s[16:17]
.LBB6_417:
	s_or_b64 exec, exec, s[10:11]
	v_mov_b32_e32 v5, 0
	global_load_dwordx2 v[10:11], v5, s[2:3] offset:40
	global_load_dwordx4 v[6:9], v5, s[2:3]
	v_readfirstlane_b32 s10, v0
	v_readfirstlane_b32 s11, v1
	s_mov_b64 s[16:17], exec
	s_waitcnt vmcnt(1)
	v_readfirstlane_b32 s18, v10
	v_readfirstlane_b32 s19, v11
	s_and_b64 s[18:19], s[10:11], s[18:19]
	s_mul_i32 s15, s19, 24
	s_mul_hi_u32 s20, s18, 24
	s_add_i32 s21, s20, s15
	s_mul_i32 s20, s18, 24
	s_waitcnt vmcnt(0)
	v_lshl_add_u64 v[10:11], v[6:7], 0, s[20:21]
	s_and_saveexec_b64 s[20:21], s[0:1]
	s_cbranch_execz .LBB6_419
; %bb.418:
	v_mov_b64_e32 v[12:13], s[16:17]
	v_mov_b32_e32 v14, 2
	v_mov_b32_e32 v15, 1
	global_store_dwordx4 v[10:11], v[12:15], off offset:8
.LBB6_419:
	s_or_b64 exec, exec, s[20:21]
	s_lshl_b64 s[16:17], s[18:19], 12
	v_lshl_add_u64 v[0:1], v[8:9], 0, s[16:17]
	s_movk_i32 s15, 0xff1d
	s_mov_b32 s16, 0
	v_and_or_b32 v2, v2, s15, 34
	v_mov_b32_e32 v4, 10
	v_readfirstlane_b32 s20, v0
	v_readfirstlane_b32 s21, v1
	s_mov_b32 s17, s16
	s_mov_b32 s18, s16
	s_mov_b32 s19, s16
	s_nop 1
	global_store_dwordx4 v28, v[2:5], s[20:21]
	v_mov_b64_e32 v[0:1], s[16:17]
	s_nop 0
	v_mov_b64_e32 v[2:3], s[18:19]
	global_store_dwordx4 v28, v[0:3], s[20:21] offset:16
	global_store_dwordx4 v28, v[0:3], s[20:21] offset:32
	;; [unrolled: 1-line block ×3, first 2 shown]
	s_and_saveexec_b64 s[16:17], s[0:1]
	s_cbranch_execz .LBB6_427
; %bb.420:
	v_mov_b32_e32 v8, 0
	global_load_dwordx2 v[14:15], v8, s[2:3] offset:32 sc0 sc1
	global_load_dwordx2 v[0:1], v8, s[2:3] offset:40
	v_mov_b32_e32 v12, s10
	v_mov_b32_e32 v13, s11
	s_waitcnt vmcnt(0)
	v_readfirstlane_b32 s18, v0
	v_readfirstlane_b32 s19, v1
	s_and_b64 s[18:19], s[18:19], s[10:11]
	s_mul_i32 s15, s19, 24
	s_mul_hi_u32 s19, s18, 24
	s_mul_i32 s18, s18, 24
	s_add_i32 s19, s19, s15
	v_lshl_add_u64 v[4:5], v[6:7], 0, s[18:19]
	global_store_dwordx2 v[4:5], v[14:15], off
	buffer_wbl2 sc0 sc1
	s_waitcnt vmcnt(0)
	global_atomic_cmpswap_x2 v[2:3], v8, v[12:15], s[2:3] offset:32 sc0 sc1
	s_waitcnt vmcnt(0)
	v_cmp_ne_u64_e32 vcc, v[2:3], v[14:15]
	s_and_saveexec_b64 s[18:19], vcc
	s_cbranch_execz .LBB6_423
; %bb.421:
	s_mov_b64 s[20:21], 0
.LBB6_422:                              ; =>This Inner Loop Header: Depth=1
	s_sleep 1
	global_store_dwordx2 v[4:5], v[2:3], off
	v_mov_b32_e32 v0, s10
	v_mov_b32_e32 v1, s11
	buffer_wbl2 sc0 sc1
	s_waitcnt vmcnt(0)
	global_atomic_cmpswap_x2 v[0:1], v8, v[0:3], s[2:3] offset:32 sc0 sc1
	s_waitcnt vmcnt(0)
	v_cmp_eq_u64_e32 vcc, v[0:1], v[2:3]
	s_or_b64 s[20:21], vcc, s[20:21]
	v_mov_b64_e32 v[2:3], v[0:1]
	s_andn2_b64 exec, exec, s[20:21]
	s_cbranch_execnz .LBB6_422
.LBB6_423:
	s_or_b64 exec, exec, s[18:19]
	v_mov_b32_e32 v3, 0
	global_load_dwordx2 v[0:1], v3, s[2:3] offset:16
	s_mov_b64 s[18:19], exec
	v_mbcnt_lo_u32_b32 v2, s18, 0
	v_mbcnt_hi_u32_b32 v2, s19, v2
	v_cmp_eq_u32_e32 vcc, 0, v2
	s_and_saveexec_b64 s[20:21], vcc
	s_cbranch_execz .LBB6_425
; %bb.424:
	s_bcnt1_i32_b64 s15, s[18:19]
	v_mov_b32_e32 v2, s15
	buffer_wbl2 sc0 sc1
	s_waitcnt vmcnt(0)
	global_atomic_add_x2 v[0:1], v[2:3], off offset:8 sc1
.LBB6_425:
	s_or_b64 exec, exec, s[20:21]
	s_waitcnt vmcnt(0)
	global_load_dwordx2 v[2:3], v[0:1], off offset:16
	s_waitcnt vmcnt(0)
	v_cmp_eq_u64_e32 vcc, 0, v[2:3]
	s_cbranch_vccnz .LBB6_427
; %bb.426:
	global_load_dword v0, v[0:1], off offset:24
	v_mov_b32_e32 v1, 0
	buffer_wbl2 sc0 sc1
	s_waitcnt vmcnt(0)
	global_store_dwordx2 v[2:3], v[0:1], off sc0 sc1
	v_and_b32_e32 v0, 0xffffff, v0
	s_nop 0
	v_readfirstlane_b32 m0, v0
	s_sendmsg sendmsg(MSG_INTERRUPT)
.LBB6_427:
	s_or_b64 exec, exec, s[16:17]
	s_branch .LBB6_431
.LBB6_428:                              ;   in Loop: Header=BB6_431 Depth=1
	s_or_b64 exec, exec, s[16:17]
	v_readfirstlane_b32 s15, v0
	s_cmp_eq_u32 s15, 0
	s_cbranch_scc1 .LBB6_430
; %bb.429:                              ;   in Loop: Header=BB6_431 Depth=1
	s_sleep 1
	s_cbranch_execnz .LBB6_431
	s_branch .LBB6_433
.LBB6_430:
	s_branch .LBB6_433
.LBB6_431:                              ; =>This Inner Loop Header: Depth=1
	v_mov_b32_e32 v0, 1
	s_and_saveexec_b64 s[16:17], s[0:1]
	s_cbranch_execz .LBB6_428
; %bb.432:                              ;   in Loop: Header=BB6_431 Depth=1
	global_load_dword v0, v[10:11], off offset:20 sc0 sc1
	s_waitcnt vmcnt(0)
	buffer_inv sc0 sc1
	v_and_b32_e32 v0, 1, v0
	s_branch .LBB6_428
.LBB6_433:
	s_and_saveexec_b64 s[16:17], s[0:1]
	s_cbranch_execz .LBB6_436
; %bb.434:
	v_mov_b32_e32 v6, 0
	global_load_dwordx2 v[4:5], v6, s[2:3] offset:40
	global_load_dwordx2 v[8:9], v6, s[2:3] offset:24 sc0 sc1
	global_load_dwordx2 v[10:11], v6, s[2:3]
	s_mov_b64 s[0:1], 0
	s_waitcnt vmcnt(2)
	v_lshl_add_u64 v[0:1], v[4:5], 0, 1
	v_lshl_add_u64 v[12:13], v[0:1], 0, s[10:11]
	v_cmp_eq_u64_e32 vcc, 0, v[12:13]
	s_waitcnt vmcnt(1)
	v_mov_b32_e32 v2, v8
	v_cndmask_b32_e32 v1, v13, v1, vcc
	v_cndmask_b32_e32 v0, v12, v0, vcc
	v_and_b32_e32 v3, v1, v5
	v_and_b32_e32 v4, v0, v4
	v_mul_lo_u32 v3, v3, 24
	v_mul_hi_u32 v5, v4, 24
	v_mul_lo_u32 v4, v4, 24
	v_add_u32_e32 v5, v5, v3
	s_waitcnt vmcnt(0)
	v_lshl_add_u64 v[4:5], v[10:11], 0, v[4:5]
	global_store_dwordx2 v[4:5], v[8:9], off
	v_mov_b32_e32 v3, v9
	buffer_wbl2 sc0 sc1
	s_waitcnt vmcnt(0)
	global_atomic_cmpswap_x2 v[2:3], v6, v[0:3], s[2:3] offset:24 sc0 sc1
	s_waitcnt vmcnt(0)
	v_cmp_ne_u64_e32 vcc, v[2:3], v[8:9]
	s_and_b64 exec, exec, vcc
	s_cbranch_execz .LBB6_436
.LBB6_435:                              ; =>This Inner Loop Header: Depth=1
	s_sleep 1
	global_store_dwordx2 v[4:5], v[2:3], off
	buffer_wbl2 sc0 sc1
	s_waitcnt vmcnt(0)
	global_atomic_cmpswap_x2 v[8:9], v6, v[0:3], s[2:3] offset:24 sc0 sc1
	s_waitcnt vmcnt(0)
	v_cmp_eq_u64_e32 vcc, v[8:9], v[2:3]
	s_or_b64 s[0:1], vcc, s[0:1]
	v_mov_b64_e32 v[2:3], v[8:9]
	s_andn2_b64 exec, exec, s[0:1]
	s_cbranch_execnz .LBB6_435
.LBB6_436:
	s_or_b64 exec, exec, s[16:17]
	v_readfirstlane_b32 s0, v36
	v_mov_b64_e32 v[4:5], 0
	s_nop 0
	v_cmp_eq_u32_e64 s[0:1], s0, v36
	s_and_saveexec_b64 s[10:11], s[0:1]
	s_cbranch_execz .LBB6_442
; %bb.437:
	v_mov_b32_e32 v0, 0
	global_load_dwordx2 v[6:7], v0, s[2:3] offset:24 sc0 sc1
	s_waitcnt vmcnt(0)
	buffer_inv sc0 sc1
	global_load_dwordx2 v[2:3], v0, s[2:3] offset:40
	global_load_dwordx2 v[4:5], v0, s[2:3]
	s_waitcnt vmcnt(1)
	v_and_b32_e32 v1, v2, v6
	v_and_b32_e32 v2, v3, v7
	v_mul_lo_u32 v2, v2, 24
	v_mul_hi_u32 v3, v1, 24
	v_add_u32_e32 v3, v3, v2
	v_mul_lo_u32 v2, v1, 24
	s_waitcnt vmcnt(0)
	v_lshl_add_u64 v[2:3], v[4:5], 0, v[2:3]
	global_load_dwordx2 v[4:5], v[2:3], off sc0 sc1
	s_waitcnt vmcnt(0)
	global_atomic_cmpswap_x2 v[4:5], v0, v[4:7], s[2:3] offset:24 sc0 sc1
	s_waitcnt vmcnt(0)
	buffer_inv sc0 sc1
	v_cmp_ne_u64_e32 vcc, v[4:5], v[6:7]
	s_and_saveexec_b64 s[16:17], vcc
	s_cbranch_execz .LBB6_441
; %bb.438:
	s_mov_b64 s[18:19], 0
.LBB6_439:                              ; =>This Inner Loop Header: Depth=1
	s_sleep 1
	global_load_dwordx2 v[2:3], v0, s[2:3] offset:40
	global_load_dwordx2 v[8:9], v0, s[2:3]
	v_mov_b64_e32 v[6:7], v[4:5]
	s_waitcnt vmcnt(1)
	v_and_b32_e32 v2, v2, v6
	v_and_b32_e32 v1, v3, v7
	s_waitcnt vmcnt(0)
	v_mad_u64_u32 v[2:3], s[20:21], v2, 24, v[8:9]
	v_mov_b32_e32 v4, v3
	v_mad_u64_u32 v[4:5], s[20:21], v1, 24, v[4:5]
	v_mov_b32_e32 v3, v4
	global_load_dwordx2 v[4:5], v[2:3], off sc0 sc1
	s_waitcnt vmcnt(0)
	global_atomic_cmpswap_x2 v[4:5], v0, v[4:7], s[2:3] offset:24 sc0 sc1
	s_waitcnt vmcnt(0)
	buffer_inv sc0 sc1
	v_cmp_eq_u64_e32 vcc, v[4:5], v[6:7]
	s_or_b64 s[18:19], vcc, s[18:19]
	s_andn2_b64 exec, exec, s[18:19]
	s_cbranch_execnz .LBB6_439
; %bb.440:
	s_or_b64 exec, exec, s[18:19]
.LBB6_441:
	s_or_b64 exec, exec, s[16:17]
.LBB6_442:
	s_or_b64 exec, exec, s[10:11]
	v_mov_b32_e32 v29, 0
	global_load_dwordx2 v[6:7], v29, s[2:3] offset:40
	global_load_dwordx4 v[0:3], v29, s[2:3]
	v_readfirstlane_b32 s10, v4
	v_readfirstlane_b32 s11, v5
	s_mov_b64 s[16:17], exec
	s_waitcnt vmcnt(1)
	v_readfirstlane_b32 s18, v6
	v_readfirstlane_b32 s19, v7
	s_and_b64 s[18:19], s[10:11], s[18:19]
	s_mul_i32 s15, s19, 24
	s_mul_hi_u32 s20, s18, 24
	s_add_i32 s21, s20, s15
	s_mul_i32 s20, s18, 24
	s_waitcnt vmcnt(0)
	v_lshl_add_u64 v[4:5], v[0:1], 0, s[20:21]
	s_and_saveexec_b64 s[20:21], s[0:1]
	s_cbranch_execz .LBB6_444
; %bb.443:
	v_mov_b64_e32 v[6:7], s[16:17]
	v_mov_b32_e32 v8, 2
	v_mov_b32_e32 v9, 1
	global_store_dwordx4 v[4:5], v[6:9], off offset:8
.LBB6_444:
	s_or_b64 exec, exec, s[20:21]
	s_lshl_b64 s[16:17], s[18:19], 12
	v_lshl_add_u64 v[6:7], v[2:3], 0, s[16:17]
	s_mov_b32 s16, 0
	v_mov_b32_e32 v8, 33
	v_mov_b32_e32 v9, v29
	;; [unrolled: 1-line block ×4, first 2 shown]
	v_readfirstlane_b32 s20, v6
	v_readfirstlane_b32 s21, v7
	s_mov_b32 s17, s16
	s_mov_b32 s18, s16
	;; [unrolled: 1-line block ×3, first 2 shown]
	s_nop 1
	global_store_dwordx4 v28, v[8:11], s[20:21]
	s_nop 1
	v_mov_b64_e32 v[8:9], s[16:17]
	v_mov_b64_e32 v[10:11], s[18:19]
	global_store_dwordx4 v28, v[8:11], s[20:21] offset:16
	global_store_dwordx4 v28, v[8:11], s[20:21] offset:32
	;; [unrolled: 1-line block ×3, first 2 shown]
	s_and_saveexec_b64 s[16:17], s[0:1]
	s_cbranch_execz .LBB6_452
; %bb.445:
	v_mov_b32_e32 v10, 0
	global_load_dwordx2 v[14:15], v10, s[2:3] offset:32 sc0 sc1
	global_load_dwordx2 v[2:3], v10, s[2:3] offset:40
	v_mov_b32_e32 v12, s10
	v_mov_b32_e32 v13, s11
	s_waitcnt vmcnt(0)
	v_readfirstlane_b32 s18, v2
	v_readfirstlane_b32 s19, v3
	s_and_b64 s[18:19], s[18:19], s[10:11]
	s_mul_i32 s15, s19, 24
	s_mul_hi_u32 s19, s18, 24
	s_mul_i32 s18, s18, 24
	s_add_i32 s19, s19, s15
	v_lshl_add_u64 v[8:9], v[0:1], 0, s[18:19]
	global_store_dwordx2 v[8:9], v[14:15], off
	buffer_wbl2 sc0 sc1
	s_waitcnt vmcnt(0)
	global_atomic_cmpswap_x2 v[2:3], v10, v[12:15], s[2:3] offset:32 sc0 sc1
	s_waitcnt vmcnt(0)
	v_cmp_ne_u64_e32 vcc, v[2:3], v[14:15]
	s_and_saveexec_b64 s[18:19], vcc
	s_cbranch_execz .LBB6_448
; %bb.446:
	s_mov_b64 s[20:21], 0
.LBB6_447:                              ; =>This Inner Loop Header: Depth=1
	s_sleep 1
	global_store_dwordx2 v[8:9], v[2:3], off
	v_mov_b32_e32 v0, s10
	v_mov_b32_e32 v1, s11
	buffer_wbl2 sc0 sc1
	s_waitcnt vmcnt(0)
	global_atomic_cmpswap_x2 v[0:1], v10, v[0:3], s[2:3] offset:32 sc0 sc1
	s_waitcnt vmcnt(0)
	v_cmp_eq_u64_e32 vcc, v[0:1], v[2:3]
	s_or_b64 s[20:21], vcc, s[20:21]
	v_mov_b64_e32 v[2:3], v[0:1]
	s_andn2_b64 exec, exec, s[20:21]
	s_cbranch_execnz .LBB6_447
.LBB6_448:
	s_or_b64 exec, exec, s[18:19]
	v_mov_b32_e32 v3, 0
	global_load_dwordx2 v[0:1], v3, s[2:3] offset:16
	s_mov_b64 s[18:19], exec
	v_mbcnt_lo_u32_b32 v2, s18, 0
	v_mbcnt_hi_u32_b32 v2, s19, v2
	v_cmp_eq_u32_e32 vcc, 0, v2
	s_and_saveexec_b64 s[20:21], vcc
	s_cbranch_execz .LBB6_450
; %bb.449:
	s_bcnt1_i32_b64 s15, s[18:19]
	v_mov_b32_e32 v2, s15
	buffer_wbl2 sc0 sc1
	s_waitcnt vmcnt(0)
	global_atomic_add_x2 v[0:1], v[2:3], off offset:8 sc1
.LBB6_450:
	s_or_b64 exec, exec, s[20:21]
	s_waitcnt vmcnt(0)
	global_load_dwordx2 v[2:3], v[0:1], off offset:16
	s_waitcnt vmcnt(0)
	v_cmp_eq_u64_e32 vcc, 0, v[2:3]
	s_cbranch_vccnz .LBB6_452
; %bb.451:
	global_load_dword v0, v[0:1], off offset:24
	v_mov_b32_e32 v1, 0
	buffer_wbl2 sc0 sc1
	s_waitcnt vmcnt(0)
	global_store_dwordx2 v[2:3], v[0:1], off sc0 sc1
	v_and_b32_e32 v0, 0xffffff, v0
	s_nop 0
	v_readfirstlane_b32 m0, v0
	s_sendmsg sendmsg(MSG_INTERRUPT)
.LBB6_452:
	s_or_b64 exec, exec, s[16:17]
	v_lshl_add_u64 v[0:1], v[6:7], 0, v[28:29]
	s_branch .LBB6_456
.LBB6_453:                              ;   in Loop: Header=BB6_456 Depth=1
	s_or_b64 exec, exec, s[16:17]
	v_readfirstlane_b32 s15, v2
	s_cmp_eq_u32 s15, 0
	s_cbranch_scc1 .LBB6_455
; %bb.454:                              ;   in Loop: Header=BB6_456 Depth=1
	s_sleep 1
	s_cbranch_execnz .LBB6_456
	s_branch .LBB6_458
.LBB6_455:
	s_branch .LBB6_458
.LBB6_456:                              ; =>This Inner Loop Header: Depth=1
	v_mov_b32_e32 v2, 1
	s_and_saveexec_b64 s[16:17], s[0:1]
	s_cbranch_execz .LBB6_453
; %bb.457:                              ;   in Loop: Header=BB6_456 Depth=1
	global_load_dword v2, v[4:5], off offset:20 sc0 sc1
	s_waitcnt vmcnt(0)
	buffer_inv sc0 sc1
	v_and_b32_e32 v2, 1, v2
	s_branch .LBB6_453
.LBB6_458:
	global_load_dwordx2 v[4:5], v[0:1], off
	s_and_saveexec_b64 s[16:17], s[0:1]
	s_cbranch_execz .LBB6_461
; %bb.459:
	v_mov_b32_e32 v8, 0
	global_load_dwordx2 v[6:7], v8, s[2:3] offset:40
	global_load_dwordx2 v[10:11], v8, s[2:3] offset:24 sc0 sc1
	global_load_dwordx2 v[12:13], v8, s[2:3]
	s_mov_b64 s[0:1], 0
	s_waitcnt vmcnt(2)
	v_lshl_add_u64 v[0:1], v[6:7], 0, 1
	v_lshl_add_u64 v[14:15], v[0:1], 0, s[10:11]
	v_cmp_eq_u64_e32 vcc, 0, v[14:15]
	s_waitcnt vmcnt(1)
	v_mov_b32_e32 v2, v10
	v_cndmask_b32_e32 v1, v15, v1, vcc
	v_cndmask_b32_e32 v0, v14, v0, vcc
	v_and_b32_e32 v3, v1, v7
	v_and_b32_e32 v6, v0, v6
	v_mul_lo_u32 v3, v3, 24
	v_mul_hi_u32 v7, v6, 24
	v_mul_lo_u32 v6, v6, 24
	v_add_u32_e32 v7, v7, v3
	s_waitcnt vmcnt(0)
	v_lshl_add_u64 v[6:7], v[12:13], 0, v[6:7]
	global_store_dwordx2 v[6:7], v[10:11], off
	v_mov_b32_e32 v3, v11
	buffer_wbl2 sc0 sc1
	s_waitcnt vmcnt(0)
	global_atomic_cmpswap_x2 v[2:3], v8, v[0:3], s[2:3] offset:24 sc0 sc1
	s_waitcnt vmcnt(0)
	v_cmp_ne_u64_e32 vcc, v[2:3], v[10:11]
	s_and_b64 exec, exec, vcc
	s_cbranch_execz .LBB6_461
.LBB6_460:                              ; =>This Inner Loop Header: Depth=1
	s_sleep 1
	global_store_dwordx2 v[6:7], v[2:3], off
	buffer_wbl2 sc0 sc1
	s_waitcnt vmcnt(0)
	global_atomic_cmpswap_x2 v[10:11], v8, v[0:3], s[2:3] offset:24 sc0 sc1
	s_waitcnt vmcnt(0)
	v_cmp_eq_u64_e32 vcc, v[10:11], v[2:3]
	s_or_b64 s[0:1], vcc, s[0:1]
	v_mov_b64_e32 v[2:3], v[10:11]
	s_andn2_b64 exec, exec, s[0:1]
	s_cbranch_execnz .LBB6_460
.LBB6_461:
	s_or_b64 exec, exec, s[16:17]
	s_and_b64 vcc, exec, s[4:5]
	s_cbranch_vccz .LBB6_546
; %bb.462:
	s_waitcnt vmcnt(0)
	v_and_b32_e32 v26, 2, v4
	v_mov_b32_e32 v31, 0
	v_and_b32_e32 v0, -3, v4
	v_mov_b32_e32 v1, v5
	s_mov_b64 s[16:17], 3
	v_mov_b32_e32 v8, 2
	v_mov_b32_e32 v9, 1
	s_getpc_b64 s[10:11]
	s_add_u32 s10, s10, .str.5@rel32@lo+4
	s_addc_u32 s11, s11, .str.5@rel32@hi+12
	s_branch .LBB6_464
.LBB6_463:                              ;   in Loop: Header=BB6_464 Depth=1
	s_or_b64 exec, exec, s[22:23]
	s_sub_u32 s16, s16, s18
	s_subb_u32 s17, s17, s19
	s_add_u32 s10, s10, s18
	s_addc_u32 s11, s11, s19
	s_cmp_lg_u64 s[16:17], 0
	s_cbranch_scc0 .LBB6_545
.LBB6_464:                              ; =>This Loop Header: Depth=1
                                        ;     Child Loop BB6_467 Depth 2
                                        ;     Child Loop BB6_474 Depth 2
	;; [unrolled: 1-line block ×11, first 2 shown]
	v_cmp_lt_u64_e64 s[0:1], s[16:17], 56
	s_and_b64 s[0:1], s[0:1], exec
	v_cmp_gt_u64_e64 s[0:1], s[16:17], 7
	s_cselect_b32 s19, s17, 0
	s_cselect_b32 s18, s16, 56
	s_and_b64 vcc, exec, s[0:1]
	s_cbranch_vccnz .LBB6_469
; %bb.465:                              ;   in Loop: Header=BB6_464 Depth=1
	s_mov_b64 s[0:1], 0
	s_cmp_eq_u64 s[16:17], 0
	s_waitcnt vmcnt(0)
	v_mov_b64_e32 v[2:3], 0
	s_cbranch_scc1 .LBB6_468
; %bb.466:                              ;   in Loop: Header=BB6_464 Depth=1
	s_lshl_b64 s[20:21], s[18:19], 3
	s_mov_b64 s[22:23], 0
	v_mov_b64_e32 v[2:3], 0
	s_mov_b64 s[24:25], s[10:11]
.LBB6_467:                              ;   Parent Loop BB6_464 Depth=1
                                        ; =>  This Inner Loop Header: Depth=2
	global_load_ubyte v6, v31, s[24:25]
	s_waitcnt vmcnt(0)
	v_and_b32_e32 v30, 0xffff, v6
	v_lshlrev_b64 v[6:7], s22, v[30:31]
	s_add_u32 s22, s22, 8
	s_addc_u32 s23, s23, 0
	s_add_u32 s24, s24, 1
	s_addc_u32 s25, s25, 0
	v_or_b32_e32 v2, v6, v2
	s_cmp_lg_u32 s20, s22
	v_or_b32_e32 v3, v7, v3
	s_cbranch_scc1 .LBB6_467
.LBB6_468:                              ;   in Loop: Header=BB6_464 Depth=1
	s_mov_b32 s15, 0
	s_andn2_b64 vcc, exec, s[0:1]
	s_mov_b64 s[0:1], s[10:11]
	s_cbranch_vccz .LBB6_470
	s_branch .LBB6_471
.LBB6_469:                              ;   in Loop: Header=BB6_464 Depth=1
                                        ; implicit-def: $vgpr2_vgpr3
                                        ; implicit-def: $sgpr15
	s_mov_b64 s[0:1], s[10:11]
.LBB6_470:                              ;   in Loop: Header=BB6_464 Depth=1
	global_load_dwordx2 v[2:3], v31, s[10:11]
	s_add_i32 s15, s18, -8
	s_add_u32 s0, s10, 8
	s_addc_u32 s1, s11, 0
.LBB6_471:                              ;   in Loop: Header=BB6_464 Depth=1
	s_cmp_gt_u32 s15, 7
	s_cbranch_scc1 .LBB6_475
; %bb.472:                              ;   in Loop: Header=BB6_464 Depth=1
	s_cmp_eq_u32 s15, 0
	s_cbranch_scc1 .LBB6_476
; %bb.473:                              ;   in Loop: Header=BB6_464 Depth=1
	s_mov_b64 s[20:21], 0
	v_mov_b64_e32 v[10:11], 0
	s_mov_b64 s[22:23], 0
.LBB6_474:                              ;   Parent Loop BB6_464 Depth=1
                                        ; =>  This Inner Loop Header: Depth=2
	s_add_u32 s24, s0, s22
	s_addc_u32 s25, s1, s23
	global_load_ubyte v6, v31, s[24:25]
	s_add_u32 s22, s22, 1
	s_addc_u32 s23, s23, 0
	s_waitcnt vmcnt(0)
	v_and_b32_e32 v30, 0xffff, v6
	v_lshlrev_b64 v[6:7], s20, v[30:31]
	s_add_u32 s20, s20, 8
	s_addc_u32 s21, s21, 0
	v_or_b32_e32 v10, v6, v10
	s_cmp_lg_u32 s15, s22
	v_or_b32_e32 v11, v7, v11
	s_cbranch_scc1 .LBB6_474
	s_branch .LBB6_477
.LBB6_475:                              ;   in Loop: Header=BB6_464 Depth=1
                                        ; implicit-def: $vgpr10_vgpr11
                                        ; implicit-def: $sgpr24
	s_branch .LBB6_478
.LBB6_476:                              ;   in Loop: Header=BB6_464 Depth=1
	v_mov_b64_e32 v[10:11], 0
.LBB6_477:                              ;   in Loop: Header=BB6_464 Depth=1
	s_mov_b32 s24, 0
	s_cbranch_execnz .LBB6_479
.LBB6_478:                              ;   in Loop: Header=BB6_464 Depth=1
	global_load_dwordx2 v[10:11], v31, s[0:1]
	s_add_i32 s24, s15, -8
	s_add_u32 s0, s0, 8
	s_addc_u32 s1, s1, 0
.LBB6_479:                              ;   in Loop: Header=BB6_464 Depth=1
	s_cmp_gt_u32 s24, 7
	s_cbranch_scc1 .LBB6_483
; %bb.480:                              ;   in Loop: Header=BB6_464 Depth=1
	s_cmp_eq_u32 s24, 0
	s_cbranch_scc1 .LBB6_484
; %bb.481:                              ;   in Loop: Header=BB6_464 Depth=1
	s_mov_b64 s[20:21], 0
	v_mov_b64_e32 v[12:13], 0
	s_mov_b64 s[22:23], 0
.LBB6_482:                              ;   Parent Loop BB6_464 Depth=1
                                        ; =>  This Inner Loop Header: Depth=2
	s_add_u32 s26, s0, s22
	s_addc_u32 s27, s1, s23
	global_load_ubyte v6, v31, s[26:27]
	s_add_u32 s22, s22, 1
	s_addc_u32 s23, s23, 0
	s_waitcnt vmcnt(0)
	v_and_b32_e32 v30, 0xffff, v6
	v_lshlrev_b64 v[6:7], s20, v[30:31]
	s_add_u32 s20, s20, 8
	s_addc_u32 s21, s21, 0
	v_or_b32_e32 v12, v6, v12
	s_cmp_lg_u32 s24, s22
	v_or_b32_e32 v13, v7, v13
	s_cbranch_scc1 .LBB6_482
	s_branch .LBB6_485
.LBB6_483:                              ;   in Loop: Header=BB6_464 Depth=1
                                        ; implicit-def: $sgpr15
	s_branch .LBB6_486
.LBB6_484:                              ;   in Loop: Header=BB6_464 Depth=1
	v_mov_b64_e32 v[12:13], 0
.LBB6_485:                              ;   in Loop: Header=BB6_464 Depth=1
	s_mov_b32 s15, 0
	s_cbranch_execnz .LBB6_487
.LBB6_486:                              ;   in Loop: Header=BB6_464 Depth=1
	global_load_dwordx2 v[12:13], v31, s[0:1]
	s_add_i32 s15, s24, -8
	s_add_u32 s0, s0, 8
	s_addc_u32 s1, s1, 0
.LBB6_487:                              ;   in Loop: Header=BB6_464 Depth=1
	s_cmp_gt_u32 s15, 7
	s_cbranch_scc1 .LBB6_491
; %bb.488:                              ;   in Loop: Header=BB6_464 Depth=1
	s_cmp_eq_u32 s15, 0
	s_cbranch_scc1 .LBB6_492
; %bb.489:                              ;   in Loop: Header=BB6_464 Depth=1
	s_mov_b64 s[20:21], 0
	v_mov_b64_e32 v[14:15], 0
	s_mov_b64 s[22:23], 0
.LBB6_490:                              ;   Parent Loop BB6_464 Depth=1
                                        ; =>  This Inner Loop Header: Depth=2
	s_add_u32 s24, s0, s22
	s_addc_u32 s25, s1, s23
	global_load_ubyte v6, v31, s[24:25]
	s_add_u32 s22, s22, 1
	s_addc_u32 s23, s23, 0
	s_waitcnt vmcnt(0)
	v_and_b32_e32 v30, 0xffff, v6
	v_lshlrev_b64 v[6:7], s20, v[30:31]
	s_add_u32 s20, s20, 8
	s_addc_u32 s21, s21, 0
	v_or_b32_e32 v14, v6, v14
	s_cmp_lg_u32 s15, s22
	v_or_b32_e32 v15, v7, v15
	s_cbranch_scc1 .LBB6_490
	s_branch .LBB6_493
.LBB6_491:                              ;   in Loop: Header=BB6_464 Depth=1
                                        ; implicit-def: $vgpr14_vgpr15
                                        ; implicit-def: $sgpr24
	s_branch .LBB6_494
.LBB6_492:                              ;   in Loop: Header=BB6_464 Depth=1
	v_mov_b64_e32 v[14:15], 0
.LBB6_493:                              ;   in Loop: Header=BB6_464 Depth=1
	s_mov_b32 s24, 0
	s_cbranch_execnz .LBB6_495
.LBB6_494:                              ;   in Loop: Header=BB6_464 Depth=1
	global_load_dwordx2 v[14:15], v31, s[0:1]
	s_add_i32 s24, s15, -8
	s_add_u32 s0, s0, 8
	s_addc_u32 s1, s1, 0
.LBB6_495:                              ;   in Loop: Header=BB6_464 Depth=1
	s_cmp_gt_u32 s24, 7
	s_cbranch_scc1 .LBB6_499
; %bb.496:                              ;   in Loop: Header=BB6_464 Depth=1
	s_cmp_eq_u32 s24, 0
	s_cbranch_scc1 .LBB6_500
; %bb.497:                              ;   in Loop: Header=BB6_464 Depth=1
	s_mov_b64 s[20:21], 0
	v_mov_b64_e32 v[16:17], 0
	s_mov_b64 s[22:23], 0
.LBB6_498:                              ;   Parent Loop BB6_464 Depth=1
                                        ; =>  This Inner Loop Header: Depth=2
	s_add_u32 s26, s0, s22
	s_addc_u32 s27, s1, s23
	global_load_ubyte v6, v31, s[26:27]
	s_add_u32 s22, s22, 1
	s_addc_u32 s23, s23, 0
	s_waitcnt vmcnt(0)
	v_and_b32_e32 v30, 0xffff, v6
	v_lshlrev_b64 v[6:7], s20, v[30:31]
	s_add_u32 s20, s20, 8
	s_addc_u32 s21, s21, 0
	v_or_b32_e32 v16, v6, v16
	s_cmp_lg_u32 s24, s22
	v_or_b32_e32 v17, v7, v17
	s_cbranch_scc1 .LBB6_498
	s_branch .LBB6_501
.LBB6_499:                              ;   in Loop: Header=BB6_464 Depth=1
                                        ; implicit-def: $sgpr15
	s_branch .LBB6_502
.LBB6_500:                              ;   in Loop: Header=BB6_464 Depth=1
	v_mov_b64_e32 v[16:17], 0
.LBB6_501:                              ;   in Loop: Header=BB6_464 Depth=1
	s_mov_b32 s15, 0
	s_cbranch_execnz .LBB6_503
.LBB6_502:                              ;   in Loop: Header=BB6_464 Depth=1
	global_load_dwordx2 v[16:17], v31, s[0:1]
	s_add_i32 s15, s24, -8
	s_add_u32 s0, s0, 8
	s_addc_u32 s1, s1, 0
.LBB6_503:                              ;   in Loop: Header=BB6_464 Depth=1
	s_cmp_gt_u32 s15, 7
	s_cbranch_scc1 .LBB6_507
; %bb.504:                              ;   in Loop: Header=BB6_464 Depth=1
	s_cmp_eq_u32 s15, 0
	s_cbranch_scc1 .LBB6_508
; %bb.505:                              ;   in Loop: Header=BB6_464 Depth=1
	s_mov_b64 s[20:21], 0
	v_mov_b64_e32 v[18:19], 0
	s_mov_b64 s[22:23], 0
.LBB6_506:                              ;   Parent Loop BB6_464 Depth=1
                                        ; =>  This Inner Loop Header: Depth=2
	s_add_u32 s24, s0, s22
	s_addc_u32 s25, s1, s23
	global_load_ubyte v6, v31, s[24:25]
	s_add_u32 s22, s22, 1
	s_addc_u32 s23, s23, 0
	s_waitcnt vmcnt(0)
	v_and_b32_e32 v30, 0xffff, v6
	v_lshlrev_b64 v[6:7], s20, v[30:31]
	s_add_u32 s20, s20, 8
	s_addc_u32 s21, s21, 0
	v_or_b32_e32 v18, v6, v18
	s_cmp_lg_u32 s15, s22
	v_or_b32_e32 v19, v7, v19
	s_cbranch_scc1 .LBB6_506
	s_branch .LBB6_509
.LBB6_507:                              ;   in Loop: Header=BB6_464 Depth=1
                                        ; implicit-def: $vgpr18_vgpr19
                                        ; implicit-def: $sgpr24
	s_branch .LBB6_510
.LBB6_508:                              ;   in Loop: Header=BB6_464 Depth=1
	v_mov_b64_e32 v[18:19], 0
.LBB6_509:                              ;   in Loop: Header=BB6_464 Depth=1
	s_mov_b32 s24, 0
	s_cbranch_execnz .LBB6_511
.LBB6_510:                              ;   in Loop: Header=BB6_464 Depth=1
	global_load_dwordx2 v[18:19], v31, s[0:1]
	s_add_i32 s24, s15, -8
	s_add_u32 s0, s0, 8
	s_addc_u32 s1, s1, 0
.LBB6_511:                              ;   in Loop: Header=BB6_464 Depth=1
	s_cmp_gt_u32 s24, 7
	s_cbranch_scc1 .LBB6_515
; %bb.512:                              ;   in Loop: Header=BB6_464 Depth=1
	s_cmp_eq_u32 s24, 0
	s_cbranch_scc1 .LBB6_516
; %bb.513:                              ;   in Loop: Header=BB6_464 Depth=1
	s_mov_b64 s[20:21], 0
	v_mov_b64_e32 v[20:21], 0
	s_mov_b64 s[22:23], s[0:1]
.LBB6_514:                              ;   Parent Loop BB6_464 Depth=1
                                        ; =>  This Inner Loop Header: Depth=2
	global_load_ubyte v6, v31, s[22:23]
	s_add_i32 s24, s24, -1
	s_waitcnt vmcnt(0)
	v_and_b32_e32 v30, 0xffff, v6
	v_lshlrev_b64 v[6:7], s20, v[30:31]
	s_add_u32 s20, s20, 8
	s_addc_u32 s21, s21, 0
	s_add_u32 s22, s22, 1
	s_addc_u32 s23, s23, 0
	v_or_b32_e32 v20, v6, v20
	s_cmp_lg_u32 s24, 0
	v_or_b32_e32 v21, v7, v21
	s_cbranch_scc1 .LBB6_514
	s_branch .LBB6_517
.LBB6_515:                              ;   in Loop: Header=BB6_464 Depth=1
	s_branch .LBB6_518
.LBB6_516:                              ;   in Loop: Header=BB6_464 Depth=1
	v_mov_b64_e32 v[20:21], 0
.LBB6_517:                              ;   in Loop: Header=BB6_464 Depth=1
	s_cbranch_execnz .LBB6_519
.LBB6_518:                              ;   in Loop: Header=BB6_464 Depth=1
	global_load_dwordx2 v[20:21], v31, s[0:1]
.LBB6_519:                              ;   in Loop: Header=BB6_464 Depth=1
	v_readfirstlane_b32 s0, v36
	v_mov_b64_e32 v[6:7], 0
	s_nop 0
	v_cmp_eq_u32_e64 s[0:1], s0, v36
	s_and_saveexec_b64 s[20:21], s[0:1]
	s_cbranch_execz .LBB6_525
; %bb.520:                              ;   in Loop: Header=BB6_464 Depth=1
	global_load_dwordx2 v[24:25], v31, s[2:3] offset:24 sc0 sc1
	s_waitcnt vmcnt(0)
	buffer_inv sc0 sc1
	global_load_dwordx2 v[6:7], v31, s[2:3] offset:40
	global_load_dwordx2 v[22:23], v31, s[2:3]
	s_waitcnt vmcnt(1)
	v_and_b32_e32 v6, v6, v24
	v_and_b32_e32 v7, v7, v25
	v_mul_lo_u32 v7, v7, 24
	v_mul_hi_u32 v27, v6, 24
	v_add_u32_e32 v7, v27, v7
	v_mul_lo_u32 v6, v6, 24
	s_waitcnt vmcnt(0)
	v_lshl_add_u64 v[6:7], v[22:23], 0, v[6:7]
	global_load_dwordx2 v[22:23], v[6:7], off sc0 sc1
	s_waitcnt vmcnt(0)
	global_atomic_cmpswap_x2 v[6:7], v31, v[22:25], s[2:3] offset:24 sc0 sc1
	s_waitcnt vmcnt(0)
	buffer_inv sc0 sc1
	v_cmp_ne_u64_e32 vcc, v[6:7], v[24:25]
	s_and_saveexec_b64 s[22:23], vcc
	s_cbranch_execz .LBB6_524
; %bb.521:                              ;   in Loop: Header=BB6_464 Depth=1
	s_mov_b64 s[24:25], 0
.LBB6_522:                              ;   Parent Loop BB6_464 Depth=1
                                        ; =>  This Inner Loop Header: Depth=2
	s_sleep 1
	global_load_dwordx2 v[22:23], v31, s[2:3] offset:40
	global_load_dwordx2 v[32:33], v31, s[2:3]
	v_mov_b64_e32 v[24:25], v[6:7]
	s_waitcnt vmcnt(1)
	v_and_b32_e32 v6, v22, v24
	s_waitcnt vmcnt(0)
	v_mad_u64_u32 v[6:7], s[26:27], v6, 24, v[32:33]
	v_and_b32_e32 v23, v23, v25
	v_mov_b32_e32 v22, v7
	v_mad_u64_u32 v[22:23], s[26:27], v23, 24, v[22:23]
	v_mov_b32_e32 v7, v22
	global_load_dwordx2 v[22:23], v[6:7], off sc0 sc1
	s_waitcnt vmcnt(0)
	global_atomic_cmpswap_x2 v[6:7], v31, v[22:25], s[2:3] offset:24 sc0 sc1
	s_waitcnt vmcnt(0)
	buffer_inv sc0 sc1
	v_cmp_eq_u64_e32 vcc, v[6:7], v[24:25]
	s_or_b64 s[24:25], vcc, s[24:25]
	s_andn2_b64 exec, exec, s[24:25]
	s_cbranch_execnz .LBB6_522
; %bb.523:                              ;   in Loop: Header=BB6_464 Depth=1
	s_or_b64 exec, exec, s[24:25]
.LBB6_524:                              ;   in Loop: Header=BB6_464 Depth=1
	s_or_b64 exec, exec, s[22:23]
.LBB6_525:                              ;   in Loop: Header=BB6_464 Depth=1
	s_or_b64 exec, exec, s[20:21]
	global_load_dwordx2 v[32:33], v31, s[2:3] offset:40
	global_load_dwordx4 v[22:25], v31, s[2:3]
	v_readfirstlane_b32 s20, v6
	v_readfirstlane_b32 s21, v7
	s_mov_b64 s[22:23], exec
	s_waitcnt vmcnt(1)
	v_readfirstlane_b32 s24, v32
	v_readfirstlane_b32 s25, v33
	s_and_b64 s[24:25], s[20:21], s[24:25]
	s_mul_i32 s15, s25, 24
	s_mul_hi_u32 s26, s24, 24
	s_add_i32 s27, s26, s15
	s_mul_i32 s26, s24, 24
	s_waitcnt vmcnt(0)
	v_lshl_add_u64 v[32:33], v[22:23], 0, s[26:27]
	s_and_saveexec_b64 s[26:27], s[0:1]
	s_cbranch_execz .LBB6_527
; %bb.526:                              ;   in Loop: Header=BB6_464 Depth=1
	v_mov_b64_e32 v[6:7], s[22:23]
	global_store_dwordx4 v[32:33], v[6:9], off offset:8
.LBB6_527:                              ;   in Loop: Header=BB6_464 Depth=1
	s_or_b64 exec, exec, s[26:27]
	s_lshl_b64 s[22:23], s[24:25], 12
	v_lshl_add_u64 v[6:7], v[24:25], 0, s[22:23]
	v_or_b32_e32 v25, v0, v26
	v_cmp_gt_u64_e64 vcc, s[16:17], 56
	s_lshl_b32 s15, s18, 2
	s_add_i32 s15, s15, 28
	v_cndmask_b32_e32 v0, v25, v0, vcc
	v_or_b32_e32 v24, 0, v1
	s_and_b32 s15, s15, 0x1e0
	v_and_b32_e32 v0, 0xffffff1f, v0
	v_cndmask_b32_e32 v1, v24, v1, vcc
	v_or_b32_e32 v0, s15, v0
	v_readfirstlane_b32 s22, v6
	v_readfirstlane_b32 s23, v7
	s_nop 4
	global_store_dwordx4 v28, v[0:3], s[22:23]
	global_store_dwordx4 v28, v[10:13], s[22:23] offset:16
	global_store_dwordx4 v28, v[14:17], s[22:23] offset:32
	;; [unrolled: 1-line block ×3, first 2 shown]
	s_and_saveexec_b64 s[22:23], s[0:1]
	s_cbranch_execz .LBB6_535
; %bb.528:                              ;   in Loop: Header=BB6_464 Depth=1
	global_load_dwordx2 v[14:15], v31, s[2:3] offset:32 sc0 sc1
	global_load_dwordx2 v[0:1], v31, s[2:3] offset:40
	v_mov_b32_e32 v12, s20
	v_mov_b32_e32 v13, s21
	s_waitcnt vmcnt(0)
	v_readfirstlane_b32 s24, v0
	v_readfirstlane_b32 s25, v1
	s_and_b64 s[24:25], s[24:25], s[20:21]
	s_mul_i32 s15, s25, 24
	s_mul_hi_u32 s25, s24, 24
	s_mul_i32 s24, s24, 24
	s_add_i32 s25, s25, s15
	v_lshl_add_u64 v[10:11], v[22:23], 0, s[24:25]
	global_store_dwordx2 v[10:11], v[14:15], off
	buffer_wbl2 sc0 sc1
	s_waitcnt vmcnt(0)
	global_atomic_cmpswap_x2 v[2:3], v31, v[12:15], s[2:3] offset:32 sc0 sc1
	s_waitcnt vmcnt(0)
	v_cmp_ne_u64_e32 vcc, v[2:3], v[14:15]
	s_and_saveexec_b64 s[24:25], vcc
	s_cbranch_execz .LBB6_531
; %bb.529:                              ;   in Loop: Header=BB6_464 Depth=1
	s_mov_b64 s[26:27], 0
.LBB6_530:                              ;   Parent Loop BB6_464 Depth=1
                                        ; =>  This Inner Loop Header: Depth=2
	s_sleep 1
	global_store_dwordx2 v[10:11], v[2:3], off
	v_mov_b32_e32 v0, s20
	v_mov_b32_e32 v1, s21
	buffer_wbl2 sc0 sc1
	s_waitcnt vmcnt(0)
	global_atomic_cmpswap_x2 v[0:1], v31, v[0:3], s[2:3] offset:32 sc0 sc1
	s_waitcnt vmcnt(0)
	v_cmp_eq_u64_e32 vcc, v[0:1], v[2:3]
	s_or_b64 s[26:27], vcc, s[26:27]
	v_mov_b64_e32 v[2:3], v[0:1]
	s_andn2_b64 exec, exec, s[26:27]
	s_cbranch_execnz .LBB6_530
.LBB6_531:                              ;   in Loop: Header=BB6_464 Depth=1
	s_or_b64 exec, exec, s[24:25]
	global_load_dwordx2 v[0:1], v31, s[2:3] offset:16
	s_mov_b64 s[26:27], exec
	v_mbcnt_lo_u32_b32 v2, s26, 0
	v_mbcnt_hi_u32_b32 v2, s27, v2
	v_cmp_eq_u32_e32 vcc, 0, v2
	s_and_saveexec_b64 s[24:25], vcc
	s_cbranch_execz .LBB6_533
; %bb.532:                              ;   in Loop: Header=BB6_464 Depth=1
	s_bcnt1_i32_b64 s15, s[26:27]
	v_mov_b32_e32 v30, s15
	buffer_wbl2 sc0 sc1
	s_waitcnt vmcnt(0)
	global_atomic_add_x2 v[0:1], v[30:31], off offset:8 sc1
.LBB6_533:                              ;   in Loop: Header=BB6_464 Depth=1
	s_or_b64 exec, exec, s[24:25]
	s_waitcnt vmcnt(0)
	global_load_dwordx2 v[2:3], v[0:1], off offset:16
	s_waitcnt vmcnt(0)
	v_cmp_eq_u64_e32 vcc, 0, v[2:3]
	s_cbranch_vccnz .LBB6_535
; %bb.534:                              ;   in Loop: Header=BB6_464 Depth=1
	global_load_dword v30, v[0:1], off offset:24
	s_waitcnt vmcnt(0)
	v_and_b32_e32 v0, 0xffffff, v30
	s_nop 0
	v_readfirstlane_b32 m0, v0
	buffer_wbl2 sc0 sc1
	global_store_dwordx2 v[2:3], v[30:31], off sc0 sc1
	s_sendmsg sendmsg(MSG_INTERRUPT)
.LBB6_535:                              ;   in Loop: Header=BB6_464 Depth=1
	s_or_b64 exec, exec, s[22:23]
	v_mov_b32_e32 v29, v31
	v_lshl_add_u64 v[0:1], v[6:7], 0, v[28:29]
	s_branch .LBB6_539
.LBB6_536:                              ;   in Loop: Header=BB6_539 Depth=2
	s_or_b64 exec, exec, s[22:23]
	v_readfirstlane_b32 s15, v2
	s_cmp_eq_u32 s15, 0
	s_cbranch_scc1 .LBB6_538
; %bb.537:                              ;   in Loop: Header=BB6_539 Depth=2
	s_sleep 1
	s_cbranch_execnz .LBB6_539
	s_branch .LBB6_541
.LBB6_538:                              ;   in Loop: Header=BB6_464 Depth=1
	s_branch .LBB6_541
.LBB6_539:                              ;   Parent Loop BB6_464 Depth=1
                                        ; =>  This Inner Loop Header: Depth=2
	v_mov_b32_e32 v2, 1
	s_and_saveexec_b64 s[22:23], s[0:1]
	s_cbranch_execz .LBB6_536
; %bb.540:                              ;   in Loop: Header=BB6_539 Depth=2
	global_load_dword v2, v[32:33], off offset:20 sc0 sc1
	s_waitcnt vmcnt(0)
	buffer_inv sc0 sc1
	v_and_b32_e32 v2, 1, v2
	s_branch .LBB6_536
.LBB6_541:                              ;   in Loop: Header=BB6_464 Depth=1
	global_load_dwordx4 v[0:3], v[0:1], off
	s_and_saveexec_b64 s[22:23], s[0:1]
	s_cbranch_execz .LBB6_463
; %bb.542:                              ;   in Loop: Header=BB6_464 Depth=1
	global_load_dwordx2 v[2:3], v31, s[2:3] offset:40
	global_load_dwordx2 v[6:7], v31, s[2:3] offset:24 sc0 sc1
	global_load_dwordx2 v[14:15], v31, s[2:3]
	s_waitcnt vmcnt(2)
	v_lshl_add_u64 v[10:11], v[2:3], 0, 1
	v_lshl_add_u64 v[16:17], v[10:11], 0, s[20:21]
	v_cmp_eq_u64_e32 vcc, 0, v[16:17]
	s_waitcnt vmcnt(1)
	v_mov_b32_e32 v12, v6
	v_cndmask_b32_e32 v11, v17, v11, vcc
	v_cndmask_b32_e32 v10, v16, v10, vcc
	v_and_b32_e32 v3, v11, v3
	v_and_b32_e32 v2, v10, v2
	v_mul_lo_u32 v3, v3, 24
	v_mul_hi_u32 v13, v2, 24
	v_mul_lo_u32 v2, v2, 24
	v_add_u32_e32 v3, v13, v3
	s_waitcnt vmcnt(0)
	v_lshl_add_u64 v[2:3], v[14:15], 0, v[2:3]
	global_store_dwordx2 v[2:3], v[6:7], off
	v_mov_b32_e32 v13, v7
	buffer_wbl2 sc0 sc1
	s_waitcnt vmcnt(0)
	global_atomic_cmpswap_x2 v[12:13], v31, v[10:13], s[2:3] offset:24 sc0 sc1
	s_waitcnt vmcnt(0)
	v_cmp_ne_u64_e32 vcc, v[12:13], v[6:7]
	s_and_b64 exec, exec, vcc
	s_cbranch_execz .LBB6_463
; %bb.543:                              ;   in Loop: Header=BB6_464 Depth=1
	s_mov_b64 s[0:1], 0
.LBB6_544:                              ;   Parent Loop BB6_464 Depth=1
                                        ; =>  This Inner Loop Header: Depth=2
	s_sleep 1
	global_store_dwordx2 v[2:3], v[12:13], off
	buffer_wbl2 sc0 sc1
	s_waitcnt vmcnt(0)
	global_atomic_cmpswap_x2 v[6:7], v31, v[10:13], s[2:3] offset:24 sc0 sc1
	s_waitcnt vmcnt(0)
	v_cmp_eq_u64_e32 vcc, v[6:7], v[12:13]
	s_or_b64 s[0:1], vcc, s[0:1]
	v_mov_b64_e32 v[12:13], v[6:7]
	s_andn2_b64 exec, exec, s[0:1]
	s_cbranch_execnz .LBB6_544
	s_branch .LBB6_463
.LBB6_545:
	s_branch .LBB6_573
.LBB6_546:
                                        ; implicit-def: $vgpr0_vgpr1
	s_cbranch_execz .LBB6_573
; %bb.547:
	v_readfirstlane_b32 s0, v36
	v_mov_b64_e32 v[6:7], 0
	s_nop 0
	v_cmp_eq_u32_e64 s[0:1], s0, v36
	s_and_saveexec_b64 s[10:11], s[0:1]
	s_cbranch_execz .LBB6_553
; %bb.548:
	s_waitcnt vmcnt(0)
	v_mov_b32_e32 v0, 0
	global_load_dwordx2 v[8:9], v0, s[2:3] offset:24 sc0 sc1
	s_waitcnt vmcnt(0)
	buffer_inv sc0 sc1
	global_load_dwordx2 v[2:3], v0, s[2:3] offset:40
	global_load_dwordx2 v[6:7], v0, s[2:3]
	s_waitcnt vmcnt(1)
	v_and_b32_e32 v1, v2, v8
	v_and_b32_e32 v2, v3, v9
	v_mul_lo_u32 v2, v2, 24
	v_mul_hi_u32 v3, v1, 24
	v_add_u32_e32 v3, v3, v2
	v_mul_lo_u32 v2, v1, 24
	s_waitcnt vmcnt(0)
	v_lshl_add_u64 v[2:3], v[6:7], 0, v[2:3]
	global_load_dwordx2 v[6:7], v[2:3], off sc0 sc1
	s_waitcnt vmcnt(0)
	global_atomic_cmpswap_x2 v[6:7], v0, v[6:9], s[2:3] offset:24 sc0 sc1
	s_waitcnt vmcnt(0)
	buffer_inv sc0 sc1
	v_cmp_ne_u64_e32 vcc, v[6:7], v[8:9]
	s_and_saveexec_b64 s[16:17], vcc
	s_cbranch_execz .LBB6_552
; %bb.549:
	s_mov_b64 s[18:19], 0
.LBB6_550:                              ; =>This Inner Loop Header: Depth=1
	s_sleep 1
	global_load_dwordx2 v[2:3], v0, s[2:3] offset:40
	global_load_dwordx2 v[10:11], v0, s[2:3]
	v_mov_b64_e32 v[8:9], v[6:7]
	s_waitcnt vmcnt(1)
	v_and_b32_e32 v2, v2, v8
	v_and_b32_e32 v1, v3, v9
	s_waitcnt vmcnt(0)
	v_mad_u64_u32 v[2:3], s[20:21], v2, 24, v[10:11]
	v_mov_b32_e32 v6, v3
	v_mad_u64_u32 v[6:7], s[20:21], v1, 24, v[6:7]
	v_mov_b32_e32 v3, v6
	global_load_dwordx2 v[6:7], v[2:3], off sc0 sc1
	s_waitcnt vmcnt(0)
	global_atomic_cmpswap_x2 v[6:7], v0, v[6:9], s[2:3] offset:24 sc0 sc1
	s_waitcnt vmcnt(0)
	buffer_inv sc0 sc1
	v_cmp_eq_u64_e32 vcc, v[6:7], v[8:9]
	s_or_b64 s[18:19], vcc, s[18:19]
	s_andn2_b64 exec, exec, s[18:19]
	s_cbranch_execnz .LBB6_550
; %bb.551:
	s_or_b64 exec, exec, s[18:19]
.LBB6_552:
	s_or_b64 exec, exec, s[16:17]
.LBB6_553:
	s_or_b64 exec, exec, s[10:11]
	v_mov_b32_e32 v29, 0
	global_load_dwordx2 v[8:9], v29, s[2:3] offset:40
	global_load_dwordx4 v[0:3], v29, s[2:3]
	v_readfirstlane_b32 s10, v6
	v_readfirstlane_b32 s11, v7
	s_mov_b64 s[16:17], exec
	s_waitcnt vmcnt(1)
	v_readfirstlane_b32 s18, v8
	v_readfirstlane_b32 s19, v9
	s_and_b64 s[18:19], s[10:11], s[18:19]
	s_mul_i32 s15, s19, 24
	s_mul_hi_u32 s20, s18, 24
	s_add_i32 s21, s20, s15
	s_mul_i32 s20, s18, 24
	s_waitcnt vmcnt(0)
	v_lshl_add_u64 v[8:9], v[0:1], 0, s[20:21]
	s_and_saveexec_b64 s[20:21], s[0:1]
	s_cbranch_execz .LBB6_555
; %bb.554:
	v_mov_b64_e32 v[10:11], s[16:17]
	v_mov_b32_e32 v12, 2
	v_mov_b32_e32 v13, 1
	global_store_dwordx4 v[8:9], v[10:13], off offset:8
.LBB6_555:
	s_or_b64 exec, exec, s[20:21]
	s_lshl_b64 s[16:17], s[18:19], 12
	v_lshl_add_u64 v[10:11], v[2:3], 0, s[16:17]
	s_movk_i32 s15, 0xff1f
	s_mov_b32 s16, 0
	v_and_or_b32 v4, v4, s15, 32
	v_mov_b32_e32 v6, v29
	v_mov_b32_e32 v7, v29
	v_readfirstlane_b32 s20, v10
	v_readfirstlane_b32 s21, v11
	s_mov_b32 s17, s16
	s_mov_b32 s18, s16
	;; [unrolled: 1-line block ×3, first 2 shown]
	s_nop 1
	global_store_dwordx4 v28, v[4:7], s[20:21]
	v_mov_b64_e32 v[2:3], s[16:17]
	s_nop 0
	v_mov_b64_e32 v[4:5], s[18:19]
	global_store_dwordx4 v28, v[2:5], s[20:21] offset:16
	global_store_dwordx4 v28, v[2:5], s[20:21] offset:32
	;; [unrolled: 1-line block ×3, first 2 shown]
	s_and_saveexec_b64 s[16:17], s[0:1]
	s_cbranch_execz .LBB6_563
; %bb.556:
	v_mov_b32_e32 v6, 0
	global_load_dwordx2 v[14:15], v6, s[2:3] offset:32 sc0 sc1
	global_load_dwordx2 v[2:3], v6, s[2:3] offset:40
	v_mov_b32_e32 v12, s10
	v_mov_b32_e32 v13, s11
	s_waitcnt vmcnt(0)
	v_readfirstlane_b32 s18, v2
	v_readfirstlane_b32 s19, v3
	s_and_b64 s[18:19], s[18:19], s[10:11]
	s_mul_i32 s15, s19, 24
	s_mul_hi_u32 s19, s18, 24
	s_mul_i32 s18, s18, 24
	s_add_i32 s19, s19, s15
	v_lshl_add_u64 v[4:5], v[0:1], 0, s[18:19]
	global_store_dwordx2 v[4:5], v[14:15], off
	buffer_wbl2 sc0 sc1
	s_waitcnt vmcnt(0)
	global_atomic_cmpswap_x2 v[2:3], v6, v[12:15], s[2:3] offset:32 sc0 sc1
	s_waitcnt vmcnt(0)
	v_cmp_ne_u64_e32 vcc, v[2:3], v[14:15]
	s_and_saveexec_b64 s[18:19], vcc
	s_cbranch_execz .LBB6_559
; %bb.557:
	s_mov_b64 s[20:21], 0
.LBB6_558:                              ; =>This Inner Loop Header: Depth=1
	s_sleep 1
	global_store_dwordx2 v[4:5], v[2:3], off
	v_mov_b32_e32 v0, s10
	v_mov_b32_e32 v1, s11
	buffer_wbl2 sc0 sc1
	s_waitcnt vmcnt(0)
	global_atomic_cmpswap_x2 v[0:1], v6, v[0:3], s[2:3] offset:32 sc0 sc1
	s_waitcnt vmcnt(0)
	v_cmp_eq_u64_e32 vcc, v[0:1], v[2:3]
	s_or_b64 s[20:21], vcc, s[20:21]
	v_mov_b64_e32 v[2:3], v[0:1]
	s_andn2_b64 exec, exec, s[20:21]
	s_cbranch_execnz .LBB6_558
.LBB6_559:
	s_or_b64 exec, exec, s[18:19]
	v_mov_b32_e32 v3, 0
	global_load_dwordx2 v[0:1], v3, s[2:3] offset:16
	s_mov_b64 s[18:19], exec
	v_mbcnt_lo_u32_b32 v2, s18, 0
	v_mbcnt_hi_u32_b32 v2, s19, v2
	v_cmp_eq_u32_e32 vcc, 0, v2
	s_and_saveexec_b64 s[20:21], vcc
	s_cbranch_execz .LBB6_561
; %bb.560:
	s_bcnt1_i32_b64 s15, s[18:19]
	v_mov_b32_e32 v2, s15
	buffer_wbl2 sc0 sc1
	s_waitcnt vmcnt(0)
	global_atomic_add_x2 v[0:1], v[2:3], off offset:8 sc1
.LBB6_561:
	s_or_b64 exec, exec, s[20:21]
	s_waitcnt vmcnt(0)
	global_load_dwordx2 v[2:3], v[0:1], off offset:16
	s_waitcnt vmcnt(0)
	v_cmp_eq_u64_e32 vcc, 0, v[2:3]
	s_cbranch_vccnz .LBB6_563
; %bb.562:
	global_load_dword v0, v[0:1], off offset:24
	v_mov_b32_e32 v1, 0
	buffer_wbl2 sc0 sc1
	s_waitcnt vmcnt(0)
	global_store_dwordx2 v[2:3], v[0:1], off sc0 sc1
	v_and_b32_e32 v0, 0xffffff, v0
	s_nop 0
	v_readfirstlane_b32 m0, v0
	s_sendmsg sendmsg(MSG_INTERRUPT)
.LBB6_563:
	s_or_b64 exec, exec, s[16:17]
	v_lshl_add_u64 v[0:1], v[10:11], 0, v[28:29]
	s_branch .LBB6_567
.LBB6_564:                              ;   in Loop: Header=BB6_567 Depth=1
	s_or_b64 exec, exec, s[16:17]
	v_readfirstlane_b32 s15, v2
	s_cmp_eq_u32 s15, 0
	s_cbranch_scc1 .LBB6_566
; %bb.565:                              ;   in Loop: Header=BB6_567 Depth=1
	s_sleep 1
	s_cbranch_execnz .LBB6_567
	s_branch .LBB6_569
.LBB6_566:
	s_branch .LBB6_569
.LBB6_567:                              ; =>This Inner Loop Header: Depth=1
	v_mov_b32_e32 v2, 1
	s_and_saveexec_b64 s[16:17], s[0:1]
	s_cbranch_execz .LBB6_564
; %bb.568:                              ;   in Loop: Header=BB6_567 Depth=1
	global_load_dword v2, v[8:9], off offset:20 sc0 sc1
	s_waitcnt vmcnt(0)
	buffer_inv sc0 sc1
	v_and_b32_e32 v2, 1, v2
	s_branch .LBB6_564
.LBB6_569:
	global_load_dwordx2 v[0:1], v[0:1], off
	s_and_saveexec_b64 s[16:17], s[0:1]
	s_cbranch_execz .LBB6_572
; %bb.570:
	v_mov_b32_e32 v8, 0
	global_load_dwordx2 v[6:7], v8, s[2:3] offset:40
	global_load_dwordx2 v[10:11], v8, s[2:3] offset:24 sc0 sc1
	global_load_dwordx2 v[12:13], v8, s[2:3]
	s_mov_b64 s[0:1], 0
	s_waitcnt vmcnt(2)
	v_lshl_add_u64 v[2:3], v[6:7], 0, 1
	v_lshl_add_u64 v[14:15], v[2:3], 0, s[10:11]
	v_cmp_eq_u64_e32 vcc, 0, v[14:15]
	s_waitcnt vmcnt(1)
	v_mov_b32_e32 v4, v10
	v_cndmask_b32_e32 v3, v15, v3, vcc
	v_cndmask_b32_e32 v2, v14, v2, vcc
	v_and_b32_e32 v5, v3, v7
	v_and_b32_e32 v6, v2, v6
	v_mul_lo_u32 v5, v5, 24
	v_mul_hi_u32 v7, v6, 24
	v_mul_lo_u32 v6, v6, 24
	v_add_u32_e32 v7, v7, v5
	s_waitcnt vmcnt(0)
	v_lshl_add_u64 v[6:7], v[12:13], 0, v[6:7]
	global_store_dwordx2 v[6:7], v[10:11], off
	v_mov_b32_e32 v5, v11
	buffer_wbl2 sc0 sc1
	s_waitcnt vmcnt(0)
	global_atomic_cmpswap_x2 v[4:5], v8, v[2:5], s[2:3] offset:24 sc0 sc1
	s_waitcnt vmcnt(0)
	v_cmp_ne_u64_e32 vcc, v[4:5], v[10:11]
	s_and_b64 exec, exec, vcc
	s_cbranch_execz .LBB6_572
.LBB6_571:                              ; =>This Inner Loop Header: Depth=1
	s_sleep 1
	global_store_dwordx2 v[6:7], v[4:5], off
	buffer_wbl2 sc0 sc1
	s_waitcnt vmcnt(0)
	global_atomic_cmpswap_x2 v[10:11], v8, v[2:5], s[2:3] offset:24 sc0 sc1
	s_waitcnt vmcnt(0)
	v_cmp_eq_u64_e32 vcc, v[10:11], v[4:5]
	s_or_b64 s[0:1], vcc, s[0:1]
	v_mov_b64_e32 v[4:5], v[10:11]
	s_andn2_b64 exec, exec, s[0:1]
	s_cbranch_execnz .LBB6_571
.LBB6_572:
	s_or_b64 exec, exec, s[16:17]
.LBB6_573:
	s_getpc_b64 s[10:11]
	s_add_u32 s10, s10, .str.1@rel32@lo+4
	s_addc_u32 s11, s11, .str.1@rel32@hi+12
	s_cmp_lg_u64 s[10:11], 0
	s_cbranch_scc0 .LBB6_658
; %bb.574:
	s_waitcnt vmcnt(0)
	v_and_b32_e32 v6, -3, v0
	v_mov_b32_e32 v7, v1
	s_mov_b64 s[16:17], 0x53
	v_mov_b32_e32 v27, 0
	v_mov_b32_e32 v4, 2
	;; [unrolled: 1-line block ×3, first 2 shown]
	s_branch .LBB6_576
.LBB6_575:                              ;   in Loop: Header=BB6_576 Depth=1
	s_or_b64 exec, exec, s[22:23]
	s_sub_u32 s16, s16, s18
	s_subb_u32 s17, s17, s19
	s_add_u32 s10, s10, s18
	s_addc_u32 s11, s11, s19
	s_cmp_lg_u64 s[16:17], 0
	s_cbranch_scc0 .LBB6_657
.LBB6_576:                              ; =>This Loop Header: Depth=1
                                        ;     Child Loop BB6_579 Depth 2
                                        ;     Child Loop BB6_586 Depth 2
	;; [unrolled: 1-line block ×11, first 2 shown]
	v_cmp_lt_u64_e64 s[0:1], s[16:17], 56
	s_and_b64 s[0:1], s[0:1], exec
	v_cmp_gt_u64_e64 s[0:1], s[16:17], 7
	s_cselect_b32 s19, s17, 0
	s_cselect_b32 s18, s16, 56
	s_and_b64 vcc, exec, s[0:1]
	s_cbranch_vccnz .LBB6_581
; %bb.577:                              ;   in Loop: Header=BB6_576 Depth=1
	s_mov_b64 s[0:1], 0
	s_cmp_eq_u64 s[16:17], 0
	s_waitcnt vmcnt(0)
	v_mov_b64_e32 v[8:9], 0
	s_cbranch_scc1 .LBB6_580
; %bb.578:                              ;   in Loop: Header=BB6_576 Depth=1
	s_lshl_b64 s[20:21], s[18:19], 3
	s_mov_b64 s[22:23], 0
	v_mov_b64_e32 v[8:9], 0
	s_mov_b64 s[24:25], s[10:11]
.LBB6_579:                              ;   Parent Loop BB6_576 Depth=1
                                        ; =>  This Inner Loop Header: Depth=2
	global_load_ubyte v2, v27, s[24:25]
	s_waitcnt vmcnt(0)
	v_and_b32_e32 v26, 0xffff, v2
	v_lshlrev_b64 v[2:3], s22, v[26:27]
	s_add_u32 s22, s22, 8
	s_addc_u32 s23, s23, 0
	s_add_u32 s24, s24, 1
	s_addc_u32 s25, s25, 0
	v_or_b32_e32 v8, v2, v8
	s_cmp_lg_u32 s20, s22
	v_or_b32_e32 v9, v3, v9
	s_cbranch_scc1 .LBB6_579
.LBB6_580:                              ;   in Loop: Header=BB6_576 Depth=1
	s_mov_b32 s15, 0
	s_andn2_b64 vcc, exec, s[0:1]
	s_mov_b64 s[0:1], s[10:11]
	s_cbranch_vccz .LBB6_582
	s_branch .LBB6_583
.LBB6_581:                              ;   in Loop: Header=BB6_576 Depth=1
                                        ; implicit-def: $sgpr15
	s_mov_b64 s[0:1], s[10:11]
.LBB6_582:                              ;   in Loop: Header=BB6_576 Depth=1
	global_load_dwordx2 v[8:9], v27, s[10:11]
	s_add_i32 s15, s18, -8
	s_add_u32 s0, s10, 8
	s_addc_u32 s1, s11, 0
.LBB6_583:                              ;   in Loop: Header=BB6_576 Depth=1
	s_cmp_gt_u32 s15, 7
	s_cbranch_scc1 .LBB6_587
; %bb.584:                              ;   in Loop: Header=BB6_576 Depth=1
	s_cmp_eq_u32 s15, 0
	s_cbranch_scc1 .LBB6_588
; %bb.585:                              ;   in Loop: Header=BB6_576 Depth=1
	s_mov_b64 s[20:21], 0
	v_mov_b64_e32 v[10:11], 0
	s_mov_b64 s[22:23], 0
.LBB6_586:                              ;   Parent Loop BB6_576 Depth=1
                                        ; =>  This Inner Loop Header: Depth=2
	s_add_u32 s24, s0, s22
	s_addc_u32 s25, s1, s23
	global_load_ubyte v2, v27, s[24:25]
	s_add_u32 s22, s22, 1
	s_addc_u32 s23, s23, 0
	s_waitcnt vmcnt(0)
	v_and_b32_e32 v26, 0xffff, v2
	v_lshlrev_b64 v[2:3], s20, v[26:27]
	s_add_u32 s20, s20, 8
	s_addc_u32 s21, s21, 0
	v_or_b32_e32 v10, v2, v10
	s_cmp_lg_u32 s15, s22
	v_or_b32_e32 v11, v3, v11
	s_cbranch_scc1 .LBB6_586
	s_branch .LBB6_589
.LBB6_587:                              ;   in Loop: Header=BB6_576 Depth=1
                                        ; implicit-def: $vgpr10_vgpr11
                                        ; implicit-def: $sgpr24
	s_branch .LBB6_590
.LBB6_588:                              ;   in Loop: Header=BB6_576 Depth=1
	v_mov_b64_e32 v[10:11], 0
.LBB6_589:                              ;   in Loop: Header=BB6_576 Depth=1
	s_mov_b32 s24, 0
	s_cbranch_execnz .LBB6_591
.LBB6_590:                              ;   in Loop: Header=BB6_576 Depth=1
	global_load_dwordx2 v[10:11], v27, s[0:1]
	s_add_i32 s24, s15, -8
	s_add_u32 s0, s0, 8
	s_addc_u32 s1, s1, 0
.LBB6_591:                              ;   in Loop: Header=BB6_576 Depth=1
	s_cmp_gt_u32 s24, 7
	s_cbranch_scc1 .LBB6_595
; %bb.592:                              ;   in Loop: Header=BB6_576 Depth=1
	s_cmp_eq_u32 s24, 0
	s_cbranch_scc1 .LBB6_596
; %bb.593:                              ;   in Loop: Header=BB6_576 Depth=1
	s_mov_b64 s[20:21], 0
	v_mov_b64_e32 v[12:13], 0
	s_mov_b64 s[22:23], 0
.LBB6_594:                              ;   Parent Loop BB6_576 Depth=1
                                        ; =>  This Inner Loop Header: Depth=2
	s_add_u32 s26, s0, s22
	s_addc_u32 s27, s1, s23
	global_load_ubyte v2, v27, s[26:27]
	s_add_u32 s22, s22, 1
	s_addc_u32 s23, s23, 0
	s_waitcnt vmcnt(0)
	v_and_b32_e32 v26, 0xffff, v2
	v_lshlrev_b64 v[2:3], s20, v[26:27]
	s_add_u32 s20, s20, 8
	s_addc_u32 s21, s21, 0
	v_or_b32_e32 v12, v2, v12
	s_cmp_lg_u32 s24, s22
	v_or_b32_e32 v13, v3, v13
	s_cbranch_scc1 .LBB6_594
	s_branch .LBB6_597
.LBB6_595:                              ;   in Loop: Header=BB6_576 Depth=1
                                        ; implicit-def: $sgpr15
	s_branch .LBB6_598
.LBB6_596:                              ;   in Loop: Header=BB6_576 Depth=1
	v_mov_b64_e32 v[12:13], 0
.LBB6_597:                              ;   in Loop: Header=BB6_576 Depth=1
	s_mov_b32 s15, 0
	s_cbranch_execnz .LBB6_599
.LBB6_598:                              ;   in Loop: Header=BB6_576 Depth=1
	global_load_dwordx2 v[12:13], v27, s[0:1]
	s_add_i32 s15, s24, -8
	s_add_u32 s0, s0, 8
	s_addc_u32 s1, s1, 0
.LBB6_599:                              ;   in Loop: Header=BB6_576 Depth=1
	s_cmp_gt_u32 s15, 7
	s_cbranch_scc1 .LBB6_603
; %bb.600:                              ;   in Loop: Header=BB6_576 Depth=1
	s_cmp_eq_u32 s15, 0
	s_cbranch_scc1 .LBB6_604
; %bb.601:                              ;   in Loop: Header=BB6_576 Depth=1
	s_mov_b64 s[20:21], 0
	v_mov_b64_e32 v[14:15], 0
	s_mov_b64 s[22:23], 0
.LBB6_602:                              ;   Parent Loop BB6_576 Depth=1
                                        ; =>  This Inner Loop Header: Depth=2
	s_add_u32 s24, s0, s22
	s_addc_u32 s25, s1, s23
	global_load_ubyte v2, v27, s[24:25]
	s_add_u32 s22, s22, 1
	s_addc_u32 s23, s23, 0
	s_waitcnt vmcnt(0)
	v_and_b32_e32 v26, 0xffff, v2
	v_lshlrev_b64 v[2:3], s20, v[26:27]
	s_add_u32 s20, s20, 8
	s_addc_u32 s21, s21, 0
	v_or_b32_e32 v14, v2, v14
	s_cmp_lg_u32 s15, s22
	v_or_b32_e32 v15, v3, v15
	s_cbranch_scc1 .LBB6_602
	s_branch .LBB6_605
.LBB6_603:                              ;   in Loop: Header=BB6_576 Depth=1
                                        ; implicit-def: $vgpr14_vgpr15
                                        ; implicit-def: $sgpr24
	s_branch .LBB6_606
.LBB6_604:                              ;   in Loop: Header=BB6_576 Depth=1
	v_mov_b64_e32 v[14:15], 0
.LBB6_605:                              ;   in Loop: Header=BB6_576 Depth=1
	s_mov_b32 s24, 0
	s_cbranch_execnz .LBB6_607
.LBB6_606:                              ;   in Loop: Header=BB6_576 Depth=1
	global_load_dwordx2 v[14:15], v27, s[0:1]
	s_add_i32 s24, s15, -8
	s_add_u32 s0, s0, 8
	s_addc_u32 s1, s1, 0
.LBB6_607:                              ;   in Loop: Header=BB6_576 Depth=1
	s_cmp_gt_u32 s24, 7
	s_cbranch_scc1 .LBB6_611
; %bb.608:                              ;   in Loop: Header=BB6_576 Depth=1
	s_cmp_eq_u32 s24, 0
	s_cbranch_scc1 .LBB6_612
; %bb.609:                              ;   in Loop: Header=BB6_576 Depth=1
	s_mov_b64 s[20:21], 0
	v_mov_b64_e32 v[16:17], 0
	s_mov_b64 s[22:23], 0
.LBB6_610:                              ;   Parent Loop BB6_576 Depth=1
                                        ; =>  This Inner Loop Header: Depth=2
	s_add_u32 s26, s0, s22
	s_addc_u32 s27, s1, s23
	global_load_ubyte v2, v27, s[26:27]
	s_add_u32 s22, s22, 1
	s_addc_u32 s23, s23, 0
	s_waitcnt vmcnt(0)
	v_and_b32_e32 v26, 0xffff, v2
	v_lshlrev_b64 v[2:3], s20, v[26:27]
	s_add_u32 s20, s20, 8
	s_addc_u32 s21, s21, 0
	v_or_b32_e32 v16, v2, v16
	s_cmp_lg_u32 s24, s22
	v_or_b32_e32 v17, v3, v17
	s_cbranch_scc1 .LBB6_610
	s_branch .LBB6_613
.LBB6_611:                              ;   in Loop: Header=BB6_576 Depth=1
                                        ; implicit-def: $sgpr15
	s_branch .LBB6_614
.LBB6_612:                              ;   in Loop: Header=BB6_576 Depth=1
	v_mov_b64_e32 v[16:17], 0
.LBB6_613:                              ;   in Loop: Header=BB6_576 Depth=1
	s_mov_b32 s15, 0
	s_cbranch_execnz .LBB6_615
.LBB6_614:                              ;   in Loop: Header=BB6_576 Depth=1
	global_load_dwordx2 v[16:17], v27, s[0:1]
	s_add_i32 s15, s24, -8
	s_add_u32 s0, s0, 8
	s_addc_u32 s1, s1, 0
.LBB6_615:                              ;   in Loop: Header=BB6_576 Depth=1
	s_cmp_gt_u32 s15, 7
	s_cbranch_scc1 .LBB6_619
; %bb.616:                              ;   in Loop: Header=BB6_576 Depth=1
	s_cmp_eq_u32 s15, 0
	s_cbranch_scc1 .LBB6_620
; %bb.617:                              ;   in Loop: Header=BB6_576 Depth=1
	s_mov_b64 s[20:21], 0
	v_mov_b64_e32 v[18:19], 0
	s_mov_b64 s[22:23], 0
.LBB6_618:                              ;   Parent Loop BB6_576 Depth=1
                                        ; =>  This Inner Loop Header: Depth=2
	s_add_u32 s24, s0, s22
	s_addc_u32 s25, s1, s23
	global_load_ubyte v2, v27, s[24:25]
	s_add_u32 s22, s22, 1
	s_addc_u32 s23, s23, 0
	s_waitcnt vmcnt(0)
	v_and_b32_e32 v26, 0xffff, v2
	v_lshlrev_b64 v[2:3], s20, v[26:27]
	s_add_u32 s20, s20, 8
	s_addc_u32 s21, s21, 0
	v_or_b32_e32 v18, v2, v18
	s_cmp_lg_u32 s15, s22
	v_or_b32_e32 v19, v3, v19
	s_cbranch_scc1 .LBB6_618
	s_branch .LBB6_621
.LBB6_619:                              ;   in Loop: Header=BB6_576 Depth=1
                                        ; implicit-def: $vgpr18_vgpr19
                                        ; implicit-def: $sgpr24
	s_branch .LBB6_622
.LBB6_620:                              ;   in Loop: Header=BB6_576 Depth=1
	v_mov_b64_e32 v[18:19], 0
.LBB6_621:                              ;   in Loop: Header=BB6_576 Depth=1
	s_mov_b32 s24, 0
	s_cbranch_execnz .LBB6_623
.LBB6_622:                              ;   in Loop: Header=BB6_576 Depth=1
	global_load_dwordx2 v[18:19], v27, s[0:1]
	s_add_i32 s24, s15, -8
	s_add_u32 s0, s0, 8
	s_addc_u32 s1, s1, 0
.LBB6_623:                              ;   in Loop: Header=BB6_576 Depth=1
	s_cmp_gt_u32 s24, 7
	s_cbranch_scc1 .LBB6_627
; %bb.624:                              ;   in Loop: Header=BB6_576 Depth=1
	s_cmp_eq_u32 s24, 0
	s_cbranch_scc1 .LBB6_628
; %bb.625:                              ;   in Loop: Header=BB6_576 Depth=1
	s_mov_b64 s[20:21], 0
	v_mov_b64_e32 v[20:21], 0
	s_mov_b64 s[22:23], s[0:1]
.LBB6_626:                              ;   Parent Loop BB6_576 Depth=1
                                        ; =>  This Inner Loop Header: Depth=2
	global_load_ubyte v2, v27, s[22:23]
	s_add_i32 s24, s24, -1
	s_waitcnt vmcnt(0)
	v_and_b32_e32 v26, 0xffff, v2
	v_lshlrev_b64 v[2:3], s20, v[26:27]
	s_add_u32 s20, s20, 8
	s_addc_u32 s21, s21, 0
	s_add_u32 s22, s22, 1
	s_addc_u32 s23, s23, 0
	v_or_b32_e32 v20, v2, v20
	s_cmp_lg_u32 s24, 0
	v_or_b32_e32 v21, v3, v21
	s_cbranch_scc1 .LBB6_626
	s_branch .LBB6_629
.LBB6_627:                              ;   in Loop: Header=BB6_576 Depth=1
	s_branch .LBB6_630
.LBB6_628:                              ;   in Loop: Header=BB6_576 Depth=1
	v_mov_b64_e32 v[20:21], 0
.LBB6_629:                              ;   in Loop: Header=BB6_576 Depth=1
	s_cbranch_execnz .LBB6_631
.LBB6_630:                              ;   in Loop: Header=BB6_576 Depth=1
	global_load_dwordx2 v[20:21], v27, s[0:1]
.LBB6_631:                              ;   in Loop: Header=BB6_576 Depth=1
	v_readfirstlane_b32 s0, v36
	v_mov_b64_e32 v[2:3], 0
	s_nop 0
	v_cmp_eq_u32_e64 s[0:1], s0, v36
	s_and_saveexec_b64 s[20:21], s[0:1]
	s_cbranch_execz .LBB6_637
; %bb.632:                              ;   in Loop: Header=BB6_576 Depth=1
	global_load_dwordx2 v[24:25], v27, s[2:3] offset:24 sc0 sc1
	s_waitcnt vmcnt(0)
	buffer_inv sc0 sc1
	global_load_dwordx2 v[2:3], v27, s[2:3] offset:40
	global_load_dwordx2 v[22:23], v27, s[2:3]
	s_waitcnt vmcnt(1)
	v_and_b32_e32 v2, v2, v24
	v_and_b32_e32 v3, v3, v25
	v_mul_lo_u32 v3, v3, 24
	v_mul_hi_u32 v26, v2, 24
	v_add_u32_e32 v3, v26, v3
	v_mul_lo_u32 v2, v2, 24
	s_waitcnt vmcnt(0)
	v_lshl_add_u64 v[2:3], v[22:23], 0, v[2:3]
	global_load_dwordx2 v[22:23], v[2:3], off sc0 sc1
	s_waitcnt vmcnt(0)
	global_atomic_cmpswap_x2 v[2:3], v27, v[22:25], s[2:3] offset:24 sc0 sc1
	s_waitcnt vmcnt(0)
	buffer_inv sc0 sc1
	v_cmp_ne_u64_e32 vcc, v[2:3], v[24:25]
	s_and_saveexec_b64 s[22:23], vcc
	s_cbranch_execz .LBB6_636
; %bb.633:                              ;   in Loop: Header=BB6_576 Depth=1
	s_mov_b64 s[24:25], 0
.LBB6_634:                              ;   Parent Loop BB6_576 Depth=1
                                        ; =>  This Inner Loop Header: Depth=2
	s_sleep 1
	global_load_dwordx2 v[22:23], v27, s[2:3] offset:40
	global_load_dwordx2 v[30:31], v27, s[2:3]
	v_mov_b64_e32 v[24:25], v[2:3]
	s_waitcnt vmcnt(1)
	v_and_b32_e32 v2, v22, v24
	s_waitcnt vmcnt(0)
	v_mad_u64_u32 v[2:3], s[26:27], v2, 24, v[30:31]
	v_and_b32_e32 v23, v23, v25
	v_mov_b32_e32 v22, v3
	v_mad_u64_u32 v[22:23], s[26:27], v23, 24, v[22:23]
	v_mov_b32_e32 v3, v22
	global_load_dwordx2 v[22:23], v[2:3], off sc0 sc1
	s_waitcnt vmcnt(0)
	global_atomic_cmpswap_x2 v[2:3], v27, v[22:25], s[2:3] offset:24 sc0 sc1
	s_waitcnt vmcnt(0)
	buffer_inv sc0 sc1
	v_cmp_eq_u64_e32 vcc, v[2:3], v[24:25]
	s_or_b64 s[24:25], vcc, s[24:25]
	s_andn2_b64 exec, exec, s[24:25]
	s_cbranch_execnz .LBB6_634
; %bb.635:                              ;   in Loop: Header=BB6_576 Depth=1
	s_or_b64 exec, exec, s[24:25]
.LBB6_636:                              ;   in Loop: Header=BB6_576 Depth=1
	s_or_b64 exec, exec, s[22:23]
.LBB6_637:                              ;   in Loop: Header=BB6_576 Depth=1
	s_or_b64 exec, exec, s[20:21]
	global_load_dwordx2 v[30:31], v27, s[2:3] offset:40
	global_load_dwordx4 v[22:25], v27, s[2:3]
	v_readfirstlane_b32 s20, v2
	v_readfirstlane_b32 s21, v3
	s_mov_b64 s[22:23], exec
	s_waitcnt vmcnt(1)
	v_readfirstlane_b32 s24, v30
	v_readfirstlane_b32 s25, v31
	s_and_b64 s[24:25], s[20:21], s[24:25]
	s_mul_i32 s15, s25, 24
	s_mul_hi_u32 s26, s24, 24
	s_add_i32 s27, s26, s15
	s_mul_i32 s26, s24, 24
	s_waitcnt vmcnt(0)
	v_lshl_add_u64 v[30:31], v[22:23], 0, s[26:27]
	s_and_saveexec_b64 s[26:27], s[0:1]
	s_cbranch_execz .LBB6_639
; %bb.638:                              ;   in Loop: Header=BB6_576 Depth=1
	v_mov_b64_e32 v[2:3], s[22:23]
	global_store_dwordx4 v[30:31], v[2:5], off offset:8
.LBB6_639:                              ;   in Loop: Header=BB6_576 Depth=1
	s_or_b64 exec, exec, s[26:27]
	s_lshl_b64 s[22:23], s[24:25], 12
	v_lshl_add_u64 v[2:3], v[24:25], 0, s[22:23]
	v_or_b32_e32 v24, 2, v6
	v_cmp_gt_u64_e64 vcc, s[16:17], 56
	s_lshl_b32 s15, s18, 2
	s_add_i32 s15, s15, 28
	v_cndmask_b32_e32 v6, v24, v6, vcc
	s_and_b32 s15, s15, 0x1e0
	v_and_b32_e32 v6, 0xffffff1f, v6
	v_or_b32_e32 v6, s15, v6
	v_readfirstlane_b32 s22, v2
	v_readfirstlane_b32 s23, v3
	s_nop 4
	global_store_dwordx4 v28, v[6:9], s[22:23]
	global_store_dwordx4 v28, v[10:13], s[22:23] offset:16
	global_store_dwordx4 v28, v[14:17], s[22:23] offset:32
	;; [unrolled: 1-line block ×3, first 2 shown]
	s_and_saveexec_b64 s[22:23], s[0:1]
	s_cbranch_execz .LBB6_647
; %bb.640:                              ;   in Loop: Header=BB6_576 Depth=1
	global_load_dwordx2 v[14:15], v27, s[2:3] offset:32 sc0 sc1
	global_load_dwordx2 v[6:7], v27, s[2:3] offset:40
	v_mov_b32_e32 v12, s20
	v_mov_b32_e32 v13, s21
	s_waitcnt vmcnt(0)
	v_readfirstlane_b32 s24, v6
	v_readfirstlane_b32 s25, v7
	s_and_b64 s[24:25], s[24:25], s[20:21]
	s_mul_i32 s15, s25, 24
	s_mul_hi_u32 s25, s24, 24
	s_mul_i32 s24, s24, 24
	s_add_i32 s25, s25, s15
	v_lshl_add_u64 v[10:11], v[22:23], 0, s[24:25]
	global_store_dwordx2 v[10:11], v[14:15], off
	buffer_wbl2 sc0 sc1
	s_waitcnt vmcnt(0)
	global_atomic_cmpswap_x2 v[8:9], v27, v[12:15], s[2:3] offset:32 sc0 sc1
	s_waitcnt vmcnt(0)
	v_cmp_ne_u64_e32 vcc, v[8:9], v[14:15]
	s_and_saveexec_b64 s[24:25], vcc
	s_cbranch_execz .LBB6_643
; %bb.641:                              ;   in Loop: Header=BB6_576 Depth=1
	s_mov_b64 s[26:27], 0
.LBB6_642:                              ;   Parent Loop BB6_576 Depth=1
                                        ; =>  This Inner Loop Header: Depth=2
	s_sleep 1
	global_store_dwordx2 v[10:11], v[8:9], off
	v_mov_b32_e32 v6, s20
	v_mov_b32_e32 v7, s21
	buffer_wbl2 sc0 sc1
	s_waitcnt vmcnt(0)
	global_atomic_cmpswap_x2 v[6:7], v27, v[6:9], s[2:3] offset:32 sc0 sc1
	s_waitcnt vmcnt(0)
	v_cmp_eq_u64_e32 vcc, v[6:7], v[8:9]
	s_or_b64 s[26:27], vcc, s[26:27]
	v_mov_b64_e32 v[8:9], v[6:7]
	s_andn2_b64 exec, exec, s[26:27]
	s_cbranch_execnz .LBB6_642
.LBB6_643:                              ;   in Loop: Header=BB6_576 Depth=1
	s_or_b64 exec, exec, s[24:25]
	global_load_dwordx2 v[6:7], v27, s[2:3] offset:16
	s_mov_b64 s[26:27], exec
	v_mbcnt_lo_u32_b32 v8, s26, 0
	v_mbcnt_hi_u32_b32 v8, s27, v8
	v_cmp_eq_u32_e32 vcc, 0, v8
	s_and_saveexec_b64 s[24:25], vcc
	s_cbranch_execz .LBB6_645
; %bb.644:                              ;   in Loop: Header=BB6_576 Depth=1
	s_bcnt1_i32_b64 s15, s[26:27]
	v_mov_b32_e32 v26, s15
	buffer_wbl2 sc0 sc1
	s_waitcnt vmcnt(0)
	global_atomic_add_x2 v[6:7], v[26:27], off offset:8 sc1
.LBB6_645:                              ;   in Loop: Header=BB6_576 Depth=1
	s_or_b64 exec, exec, s[24:25]
	s_waitcnt vmcnt(0)
	global_load_dwordx2 v[8:9], v[6:7], off offset:16
	s_waitcnt vmcnt(0)
	v_cmp_eq_u64_e32 vcc, 0, v[8:9]
	s_cbranch_vccnz .LBB6_647
; %bb.646:                              ;   in Loop: Header=BB6_576 Depth=1
	global_load_dword v26, v[6:7], off offset:24
	s_waitcnt vmcnt(0)
	v_and_b32_e32 v6, 0xffffff, v26
	s_nop 0
	v_readfirstlane_b32 m0, v6
	buffer_wbl2 sc0 sc1
	global_store_dwordx2 v[8:9], v[26:27], off sc0 sc1
	s_sendmsg sendmsg(MSG_INTERRUPT)
.LBB6_647:                              ;   in Loop: Header=BB6_576 Depth=1
	s_or_b64 exec, exec, s[22:23]
	v_mov_b32_e32 v29, v27
	v_lshl_add_u64 v[2:3], v[2:3], 0, v[28:29]
	s_branch .LBB6_651
.LBB6_648:                              ;   in Loop: Header=BB6_651 Depth=2
	s_or_b64 exec, exec, s[22:23]
	v_readfirstlane_b32 s15, v6
	s_cmp_eq_u32 s15, 0
	s_cbranch_scc1 .LBB6_650
; %bb.649:                              ;   in Loop: Header=BB6_651 Depth=2
	s_sleep 1
	s_cbranch_execnz .LBB6_651
	s_branch .LBB6_653
.LBB6_650:                              ;   in Loop: Header=BB6_576 Depth=1
	s_branch .LBB6_653
.LBB6_651:                              ;   Parent Loop BB6_576 Depth=1
                                        ; =>  This Inner Loop Header: Depth=2
	v_mov_b32_e32 v6, 1
	s_and_saveexec_b64 s[22:23], s[0:1]
	s_cbranch_execz .LBB6_648
; %bb.652:                              ;   in Loop: Header=BB6_651 Depth=2
	global_load_dword v6, v[30:31], off offset:20 sc0 sc1
	s_waitcnt vmcnt(0)
	buffer_inv sc0 sc1
	v_and_b32_e32 v6, 1, v6
	s_branch .LBB6_648
.LBB6_653:                              ;   in Loop: Header=BB6_576 Depth=1
	global_load_dwordx4 v[6:9], v[2:3], off
	s_and_saveexec_b64 s[22:23], s[0:1]
	s_cbranch_execz .LBB6_575
; %bb.654:                              ;   in Loop: Header=BB6_576 Depth=1
	global_load_dwordx2 v[2:3], v27, s[2:3] offset:40
	global_load_dwordx2 v[12:13], v27, s[2:3] offset:24 sc0 sc1
	global_load_dwordx2 v[14:15], v27, s[2:3]
	s_waitcnt vmcnt(2)
	v_lshl_add_u64 v[8:9], v[2:3], 0, 1
	v_lshl_add_u64 v[16:17], v[8:9], 0, s[20:21]
	v_cmp_eq_u64_e32 vcc, 0, v[16:17]
	s_waitcnt vmcnt(1)
	v_mov_b32_e32 v10, v12
	v_cndmask_b32_e32 v9, v17, v9, vcc
	v_cndmask_b32_e32 v8, v16, v8, vcc
	v_and_b32_e32 v3, v9, v3
	v_and_b32_e32 v2, v8, v2
	v_mul_lo_u32 v3, v3, 24
	v_mul_hi_u32 v11, v2, 24
	v_mul_lo_u32 v2, v2, 24
	v_add_u32_e32 v3, v11, v3
	s_waitcnt vmcnt(0)
	v_lshl_add_u64 v[2:3], v[14:15], 0, v[2:3]
	global_store_dwordx2 v[2:3], v[12:13], off
	v_mov_b32_e32 v11, v13
	buffer_wbl2 sc0 sc1
	s_waitcnt vmcnt(0)
	global_atomic_cmpswap_x2 v[10:11], v27, v[8:11], s[2:3] offset:24 sc0 sc1
	s_waitcnt vmcnt(0)
	v_cmp_ne_u64_e32 vcc, v[10:11], v[12:13]
	s_and_b64 exec, exec, vcc
	s_cbranch_execz .LBB6_575
; %bb.655:                              ;   in Loop: Header=BB6_576 Depth=1
	s_mov_b64 s[0:1], 0
.LBB6_656:                              ;   Parent Loop BB6_576 Depth=1
                                        ; =>  This Inner Loop Header: Depth=2
	s_sleep 1
	global_store_dwordx2 v[2:3], v[10:11], off
	buffer_wbl2 sc0 sc1
	s_waitcnt vmcnt(0)
	global_atomic_cmpswap_x2 v[12:13], v27, v[8:11], s[2:3] offset:24 sc0 sc1
	s_waitcnt vmcnt(0)
	v_cmp_eq_u64_e32 vcc, v[12:13], v[10:11]
	s_or_b64 s[0:1], vcc, s[0:1]
	v_mov_b64_e32 v[10:11], v[12:13]
	s_andn2_b64 exec, exec, s[0:1]
	s_cbranch_execnz .LBB6_656
	s_branch .LBB6_575
.LBB6_657:
	s_branch .LBB6_685
.LBB6_658:
	s_cbranch_execz .LBB6_685
; %bb.659:
	v_readfirstlane_b32 s0, v36
	s_waitcnt vmcnt(0)
	v_mov_b64_e32 v[8:9], 0
	v_cmp_eq_u32_e64 s[0:1], s0, v36
	s_and_saveexec_b64 s[10:11], s[0:1]
	s_cbranch_execz .LBB6_665
; %bb.660:
	v_mov_b32_e32 v2, 0
	global_load_dwordx2 v[6:7], v2, s[2:3] offset:24 sc0 sc1
	s_waitcnt vmcnt(0)
	buffer_inv sc0 sc1
	global_load_dwordx2 v[4:5], v2, s[2:3] offset:40
	global_load_dwordx2 v[8:9], v2, s[2:3]
	s_waitcnt vmcnt(1)
	v_and_b32_e32 v3, v4, v6
	v_and_b32_e32 v4, v5, v7
	v_mul_lo_u32 v4, v4, 24
	v_mul_hi_u32 v5, v3, 24
	v_add_u32_e32 v5, v5, v4
	v_mul_lo_u32 v4, v3, 24
	s_waitcnt vmcnt(0)
	v_lshl_add_u64 v[4:5], v[8:9], 0, v[4:5]
	global_load_dwordx2 v[4:5], v[4:5], off sc0 sc1
	s_waitcnt vmcnt(0)
	global_atomic_cmpswap_x2 v[8:9], v2, v[4:7], s[2:3] offset:24 sc0 sc1
	s_waitcnt vmcnt(0)
	buffer_inv sc0 sc1
	v_cmp_ne_u64_e32 vcc, v[8:9], v[6:7]
	s_and_saveexec_b64 s[16:17], vcc
	s_cbranch_execz .LBB6_664
; %bb.661:
	s_mov_b64 s[18:19], 0
.LBB6_662:                              ; =>This Inner Loop Header: Depth=1
	s_sleep 1
	global_load_dwordx2 v[4:5], v2, s[2:3] offset:40
	global_load_dwordx2 v[10:11], v2, s[2:3]
	v_mov_b64_e32 v[6:7], v[8:9]
	s_waitcnt vmcnt(1)
	v_and_b32_e32 v4, v4, v6
	v_and_b32_e32 v3, v5, v7
	s_waitcnt vmcnt(0)
	v_mad_u64_u32 v[4:5], s[20:21], v4, 24, v[10:11]
	v_mov_b32_e32 v8, v5
	v_mad_u64_u32 v[8:9], s[20:21], v3, 24, v[8:9]
	v_mov_b32_e32 v5, v8
	global_load_dwordx2 v[4:5], v[4:5], off sc0 sc1
	s_waitcnt vmcnt(0)
	global_atomic_cmpswap_x2 v[8:9], v2, v[4:7], s[2:3] offset:24 sc0 sc1
	s_waitcnt vmcnt(0)
	buffer_inv sc0 sc1
	v_cmp_eq_u64_e32 vcc, v[8:9], v[6:7]
	s_or_b64 s[18:19], vcc, s[18:19]
	s_andn2_b64 exec, exec, s[18:19]
	s_cbranch_execnz .LBB6_662
; %bb.663:
	s_or_b64 exec, exec, s[18:19]
.LBB6_664:
	s_or_b64 exec, exec, s[16:17]
.LBB6_665:
	s_or_b64 exec, exec, s[10:11]
	v_mov_b32_e32 v2, 0
	global_load_dwordx2 v[10:11], v2, s[2:3] offset:40
	global_load_dwordx4 v[4:7], v2, s[2:3]
	v_readfirstlane_b32 s10, v8
	v_readfirstlane_b32 s11, v9
	s_mov_b64 s[16:17], exec
	s_waitcnt vmcnt(1)
	v_readfirstlane_b32 s18, v10
	v_readfirstlane_b32 s19, v11
	s_and_b64 s[18:19], s[10:11], s[18:19]
	s_mul_i32 s15, s19, 24
	s_mul_hi_u32 s20, s18, 24
	s_add_i32 s21, s20, s15
	s_mul_i32 s20, s18, 24
	s_waitcnt vmcnt(0)
	v_lshl_add_u64 v[8:9], v[4:5], 0, s[20:21]
	s_and_saveexec_b64 s[20:21], s[0:1]
	s_cbranch_execz .LBB6_667
; %bb.666:
	v_mov_b64_e32 v[10:11], s[16:17]
	v_mov_b32_e32 v12, 2
	v_mov_b32_e32 v13, 1
	global_store_dwordx4 v[8:9], v[10:13], off offset:8
.LBB6_667:
	s_or_b64 exec, exec, s[20:21]
	s_lshl_b64 s[16:17], s[18:19], 12
	v_lshl_add_u64 v[6:7], v[6:7], 0, s[16:17]
	s_movk_i32 s15, 0xff1d
	s_mov_b32 s16, 0
	v_and_or_b32 v0, v0, s15, 34
	v_mov_b32_e32 v3, v2
	v_readfirstlane_b32 s20, v6
	v_readfirstlane_b32 s21, v7
	s_mov_b32 s17, s16
	s_mov_b32 s18, s16
	;; [unrolled: 1-line block ×3, first 2 shown]
	s_nop 1
	global_store_dwordx4 v28, v[0:3], s[20:21]
	s_nop 1
	v_mov_b64_e32 v[0:1], s[16:17]
	v_mov_b64_e32 v[2:3], s[18:19]
	global_store_dwordx4 v28, v[0:3], s[20:21] offset:16
	global_store_dwordx4 v28, v[0:3], s[20:21] offset:32
	;; [unrolled: 1-line block ×3, first 2 shown]
	s_and_saveexec_b64 s[16:17], s[0:1]
	s_cbranch_execz .LBB6_675
; %bb.668:
	v_mov_b32_e32 v6, 0
	global_load_dwordx2 v[12:13], v6, s[2:3] offset:32 sc0 sc1
	global_load_dwordx2 v[0:1], v6, s[2:3] offset:40
	v_mov_b32_e32 v10, s10
	v_mov_b32_e32 v11, s11
	s_waitcnt vmcnt(0)
	v_readfirstlane_b32 s18, v0
	v_readfirstlane_b32 s19, v1
	s_and_b64 s[18:19], s[18:19], s[10:11]
	s_mul_i32 s15, s19, 24
	s_mul_hi_u32 s19, s18, 24
	s_mul_i32 s18, s18, 24
	s_add_i32 s19, s19, s15
	v_lshl_add_u64 v[4:5], v[4:5], 0, s[18:19]
	global_store_dwordx2 v[4:5], v[12:13], off
	buffer_wbl2 sc0 sc1
	s_waitcnt vmcnt(0)
	global_atomic_cmpswap_x2 v[2:3], v6, v[10:13], s[2:3] offset:32 sc0 sc1
	s_waitcnt vmcnt(0)
	v_cmp_ne_u64_e32 vcc, v[2:3], v[12:13]
	s_and_saveexec_b64 s[18:19], vcc
	s_cbranch_execz .LBB6_671
; %bb.669:
	s_mov_b64 s[20:21], 0
.LBB6_670:                              ; =>This Inner Loop Header: Depth=1
	s_sleep 1
	global_store_dwordx2 v[4:5], v[2:3], off
	v_mov_b32_e32 v0, s10
	v_mov_b32_e32 v1, s11
	buffer_wbl2 sc0 sc1
	s_waitcnt vmcnt(0)
	global_atomic_cmpswap_x2 v[0:1], v6, v[0:3], s[2:3] offset:32 sc0 sc1
	s_waitcnt vmcnt(0)
	v_cmp_eq_u64_e32 vcc, v[0:1], v[2:3]
	s_or_b64 s[20:21], vcc, s[20:21]
	v_mov_b64_e32 v[2:3], v[0:1]
	s_andn2_b64 exec, exec, s[20:21]
	s_cbranch_execnz .LBB6_670
.LBB6_671:
	s_or_b64 exec, exec, s[18:19]
	v_mov_b32_e32 v3, 0
	global_load_dwordx2 v[0:1], v3, s[2:3] offset:16
	s_mov_b64 s[18:19], exec
	v_mbcnt_lo_u32_b32 v2, s18, 0
	v_mbcnt_hi_u32_b32 v2, s19, v2
	v_cmp_eq_u32_e32 vcc, 0, v2
	s_and_saveexec_b64 s[20:21], vcc
	s_cbranch_execz .LBB6_673
; %bb.672:
	s_bcnt1_i32_b64 s15, s[18:19]
	v_mov_b32_e32 v2, s15
	buffer_wbl2 sc0 sc1
	s_waitcnt vmcnt(0)
	global_atomic_add_x2 v[0:1], v[2:3], off offset:8 sc1
.LBB6_673:
	s_or_b64 exec, exec, s[20:21]
	s_waitcnt vmcnt(0)
	global_load_dwordx2 v[2:3], v[0:1], off offset:16
	s_waitcnt vmcnt(0)
	v_cmp_eq_u64_e32 vcc, 0, v[2:3]
	s_cbranch_vccnz .LBB6_675
; %bb.674:
	global_load_dword v0, v[0:1], off offset:24
	v_mov_b32_e32 v1, 0
	buffer_wbl2 sc0 sc1
	s_waitcnt vmcnt(0)
	global_store_dwordx2 v[2:3], v[0:1], off sc0 sc1
	v_and_b32_e32 v0, 0xffffff, v0
	s_nop 0
	v_readfirstlane_b32 m0, v0
	s_sendmsg sendmsg(MSG_INTERRUPT)
.LBB6_675:
	s_or_b64 exec, exec, s[16:17]
	s_branch .LBB6_679
.LBB6_676:                              ;   in Loop: Header=BB6_679 Depth=1
	s_or_b64 exec, exec, s[16:17]
	v_readfirstlane_b32 s15, v0
	s_cmp_eq_u32 s15, 0
	s_cbranch_scc1 .LBB6_678
; %bb.677:                              ;   in Loop: Header=BB6_679 Depth=1
	s_sleep 1
	s_cbranch_execnz .LBB6_679
	s_branch .LBB6_681
.LBB6_678:
	s_branch .LBB6_681
.LBB6_679:                              ; =>This Inner Loop Header: Depth=1
	v_mov_b32_e32 v0, 1
	s_and_saveexec_b64 s[16:17], s[0:1]
	s_cbranch_execz .LBB6_676
; %bb.680:                              ;   in Loop: Header=BB6_679 Depth=1
	global_load_dword v0, v[8:9], off offset:20 sc0 sc1
	s_waitcnt vmcnt(0)
	buffer_inv sc0 sc1
	v_and_b32_e32 v0, 1, v0
	s_branch .LBB6_676
.LBB6_681:
	s_and_saveexec_b64 s[16:17], s[0:1]
	s_cbranch_execz .LBB6_684
; %bb.682:
	v_mov_b32_e32 v6, 0
	global_load_dwordx2 v[4:5], v6, s[2:3] offset:40
	global_load_dwordx2 v[8:9], v6, s[2:3] offset:24 sc0 sc1
	global_load_dwordx2 v[10:11], v6, s[2:3]
	s_mov_b64 s[0:1], 0
	s_waitcnt vmcnt(2)
	v_lshl_add_u64 v[0:1], v[4:5], 0, 1
	v_lshl_add_u64 v[12:13], v[0:1], 0, s[10:11]
	v_cmp_eq_u64_e32 vcc, 0, v[12:13]
	s_waitcnt vmcnt(1)
	v_mov_b32_e32 v2, v8
	v_cndmask_b32_e32 v1, v13, v1, vcc
	v_cndmask_b32_e32 v0, v12, v0, vcc
	v_and_b32_e32 v3, v1, v5
	v_and_b32_e32 v4, v0, v4
	v_mul_lo_u32 v3, v3, 24
	v_mul_hi_u32 v5, v4, 24
	v_mul_lo_u32 v4, v4, 24
	v_add_u32_e32 v5, v5, v3
	s_waitcnt vmcnt(0)
	v_lshl_add_u64 v[4:5], v[10:11], 0, v[4:5]
	global_store_dwordx2 v[4:5], v[8:9], off
	v_mov_b32_e32 v3, v9
	buffer_wbl2 sc0 sc1
	s_waitcnt vmcnt(0)
	global_atomic_cmpswap_x2 v[2:3], v6, v[0:3], s[2:3] offset:24 sc0 sc1
	s_waitcnt vmcnt(0)
	v_cmp_ne_u64_e32 vcc, v[2:3], v[8:9]
	s_and_b64 exec, exec, vcc
	s_cbranch_execz .LBB6_684
.LBB6_683:                              ; =>This Inner Loop Header: Depth=1
	s_sleep 1
	global_store_dwordx2 v[4:5], v[2:3], off
	buffer_wbl2 sc0 sc1
	s_waitcnt vmcnt(0)
	global_atomic_cmpswap_x2 v[8:9], v6, v[0:3], s[2:3] offset:24 sc0 sc1
	s_waitcnt vmcnt(0)
	v_cmp_eq_u64_e32 vcc, v[8:9], v[2:3]
	s_or_b64 s[0:1], vcc, s[0:1]
	v_mov_b64_e32 v[2:3], v[8:9]
	s_andn2_b64 exec, exec, s[0:1]
	s_cbranch_execnz .LBB6_683
.LBB6_684:
	s_or_b64 exec, exec, s[16:17]
.LBB6_685:
	v_readfirstlane_b32 s0, v36
	s_waitcnt vmcnt(0)
	v_mov_b64_e32 v[4:5], 0
	v_cmp_eq_u32_e64 s[0:1], s0, v36
	s_and_saveexec_b64 s[10:11], s[0:1]
	s_cbranch_execz .LBB6_691
; %bb.686:
	v_mov_b32_e32 v0, 0
	global_load_dwordx2 v[6:7], v0, s[2:3] offset:24 sc0 sc1
	s_waitcnt vmcnt(0)
	buffer_inv sc0 sc1
	global_load_dwordx2 v[2:3], v0, s[2:3] offset:40
	global_load_dwordx2 v[4:5], v0, s[2:3]
	s_waitcnt vmcnt(1)
	v_and_b32_e32 v1, v2, v6
	v_and_b32_e32 v2, v3, v7
	v_mul_lo_u32 v2, v2, 24
	v_mul_hi_u32 v3, v1, 24
	v_add_u32_e32 v3, v3, v2
	v_mul_lo_u32 v2, v1, 24
	s_waitcnt vmcnt(0)
	v_lshl_add_u64 v[2:3], v[4:5], 0, v[2:3]
	global_load_dwordx2 v[4:5], v[2:3], off sc0 sc1
	s_waitcnt vmcnt(0)
	global_atomic_cmpswap_x2 v[4:5], v0, v[4:7], s[2:3] offset:24 sc0 sc1
	s_waitcnt vmcnt(0)
	buffer_inv sc0 sc1
	v_cmp_ne_u64_e32 vcc, v[4:5], v[6:7]
	s_and_saveexec_b64 s[16:17], vcc
	s_cbranch_execz .LBB6_690
; %bb.687:
	s_mov_b64 s[18:19], 0
.LBB6_688:                              ; =>This Inner Loop Header: Depth=1
	s_sleep 1
	global_load_dwordx2 v[2:3], v0, s[2:3] offset:40
	global_load_dwordx2 v[8:9], v0, s[2:3]
	v_mov_b64_e32 v[6:7], v[4:5]
	s_waitcnt vmcnt(1)
	v_and_b32_e32 v2, v2, v6
	v_and_b32_e32 v1, v3, v7
	s_waitcnt vmcnt(0)
	v_mad_u64_u32 v[2:3], s[20:21], v2, 24, v[8:9]
	v_mov_b32_e32 v4, v3
	v_mad_u64_u32 v[4:5], s[20:21], v1, 24, v[4:5]
	v_mov_b32_e32 v3, v4
	global_load_dwordx2 v[4:5], v[2:3], off sc0 sc1
	s_waitcnt vmcnt(0)
	global_atomic_cmpswap_x2 v[4:5], v0, v[4:7], s[2:3] offset:24 sc0 sc1
	s_waitcnt vmcnt(0)
	buffer_inv sc0 sc1
	v_cmp_eq_u64_e32 vcc, v[4:5], v[6:7]
	s_or_b64 s[18:19], vcc, s[18:19]
	s_andn2_b64 exec, exec, s[18:19]
	s_cbranch_execnz .LBB6_688
; %bb.689:
	s_or_b64 exec, exec, s[18:19]
.LBB6_690:
	s_or_b64 exec, exec, s[16:17]
.LBB6_691:
	s_or_b64 exec, exec, s[10:11]
	v_mov_b32_e32 v29, 0
	global_load_dwordx2 v[6:7], v29, s[2:3] offset:40
	global_load_dwordx4 v[0:3], v29, s[2:3]
	v_readfirstlane_b32 s10, v4
	v_readfirstlane_b32 s11, v5
	s_mov_b64 s[16:17], exec
	s_waitcnt vmcnt(1)
	v_readfirstlane_b32 s18, v6
	v_readfirstlane_b32 s19, v7
	s_and_b64 s[18:19], s[10:11], s[18:19]
	s_mul_i32 s15, s19, 24
	s_mul_hi_u32 s20, s18, 24
	s_add_i32 s21, s20, s15
	s_mul_i32 s20, s18, 24
	s_waitcnt vmcnt(0)
	v_lshl_add_u64 v[4:5], v[0:1], 0, s[20:21]
	s_and_saveexec_b64 s[20:21], s[0:1]
	s_cbranch_execz .LBB6_693
; %bb.692:
	v_mov_b64_e32 v[6:7], s[16:17]
	v_mov_b32_e32 v8, 2
	v_mov_b32_e32 v9, 1
	global_store_dwordx4 v[4:5], v[6:9], off offset:8
.LBB6_693:
	s_or_b64 exec, exec, s[20:21]
	s_lshl_b64 s[16:17], s[18:19], 12
	v_lshl_add_u64 v[6:7], v[2:3], 0, s[16:17]
	s_mov_b32 s16, 0
	v_mov_b32_e32 v8, 33
	v_mov_b32_e32 v9, v29
	;; [unrolled: 1-line block ×4, first 2 shown]
	v_readfirstlane_b32 s20, v6
	v_readfirstlane_b32 s21, v7
	s_mov_b32 s17, s16
	s_mov_b32 s18, s16
	;; [unrolled: 1-line block ×3, first 2 shown]
	s_nop 1
	global_store_dwordx4 v28, v[8:11], s[20:21]
	s_nop 1
	v_mov_b64_e32 v[8:9], s[16:17]
	v_mov_b64_e32 v[10:11], s[18:19]
	global_store_dwordx4 v28, v[8:11], s[20:21] offset:16
	global_store_dwordx4 v28, v[8:11], s[20:21] offset:32
	;; [unrolled: 1-line block ×3, first 2 shown]
	s_and_saveexec_b64 s[16:17], s[0:1]
	s_cbranch_execz .LBB6_701
; %bb.694:
	v_mov_b32_e32 v10, 0
	global_load_dwordx2 v[14:15], v10, s[2:3] offset:32 sc0 sc1
	global_load_dwordx2 v[2:3], v10, s[2:3] offset:40
	v_mov_b32_e32 v12, s10
	v_mov_b32_e32 v13, s11
	s_waitcnt vmcnt(0)
	v_readfirstlane_b32 s18, v2
	v_readfirstlane_b32 s19, v3
	s_and_b64 s[18:19], s[18:19], s[10:11]
	s_mul_i32 s15, s19, 24
	s_mul_hi_u32 s19, s18, 24
	s_mul_i32 s18, s18, 24
	s_add_i32 s19, s19, s15
	v_lshl_add_u64 v[8:9], v[0:1], 0, s[18:19]
	global_store_dwordx2 v[8:9], v[14:15], off
	buffer_wbl2 sc0 sc1
	s_waitcnt vmcnt(0)
	global_atomic_cmpswap_x2 v[2:3], v10, v[12:15], s[2:3] offset:32 sc0 sc1
	s_waitcnt vmcnt(0)
	v_cmp_ne_u64_e32 vcc, v[2:3], v[14:15]
	s_and_saveexec_b64 s[18:19], vcc
	s_cbranch_execz .LBB6_697
; %bb.695:
	s_mov_b64 s[20:21], 0
.LBB6_696:                              ; =>This Inner Loop Header: Depth=1
	s_sleep 1
	global_store_dwordx2 v[8:9], v[2:3], off
	v_mov_b32_e32 v0, s10
	v_mov_b32_e32 v1, s11
	buffer_wbl2 sc0 sc1
	s_waitcnt vmcnt(0)
	global_atomic_cmpswap_x2 v[0:1], v10, v[0:3], s[2:3] offset:32 sc0 sc1
	s_waitcnt vmcnt(0)
	v_cmp_eq_u64_e32 vcc, v[0:1], v[2:3]
	s_or_b64 s[20:21], vcc, s[20:21]
	v_mov_b64_e32 v[2:3], v[0:1]
	s_andn2_b64 exec, exec, s[20:21]
	s_cbranch_execnz .LBB6_696
.LBB6_697:
	s_or_b64 exec, exec, s[18:19]
	v_mov_b32_e32 v3, 0
	global_load_dwordx2 v[0:1], v3, s[2:3] offset:16
	s_mov_b64 s[18:19], exec
	v_mbcnt_lo_u32_b32 v2, s18, 0
	v_mbcnt_hi_u32_b32 v2, s19, v2
	v_cmp_eq_u32_e32 vcc, 0, v2
	s_and_saveexec_b64 s[20:21], vcc
	s_cbranch_execz .LBB6_699
; %bb.698:
	s_bcnt1_i32_b64 s15, s[18:19]
	v_mov_b32_e32 v2, s15
	buffer_wbl2 sc0 sc1
	s_waitcnt vmcnt(0)
	global_atomic_add_x2 v[0:1], v[2:3], off offset:8 sc1
.LBB6_699:
	s_or_b64 exec, exec, s[20:21]
	s_waitcnt vmcnt(0)
	global_load_dwordx2 v[2:3], v[0:1], off offset:16
	s_waitcnt vmcnt(0)
	v_cmp_eq_u64_e32 vcc, 0, v[2:3]
	s_cbranch_vccnz .LBB6_701
; %bb.700:
	global_load_dword v0, v[0:1], off offset:24
	v_mov_b32_e32 v1, 0
	buffer_wbl2 sc0 sc1
	s_waitcnt vmcnt(0)
	global_store_dwordx2 v[2:3], v[0:1], off sc0 sc1
	v_and_b32_e32 v0, 0xffffff, v0
	s_nop 0
	v_readfirstlane_b32 m0, v0
	s_sendmsg sendmsg(MSG_INTERRUPT)
.LBB6_701:
	s_or_b64 exec, exec, s[16:17]
	v_lshl_add_u64 v[0:1], v[6:7], 0, v[28:29]
	s_branch .LBB6_705
.LBB6_702:                              ;   in Loop: Header=BB6_705 Depth=1
	s_or_b64 exec, exec, s[16:17]
	v_readfirstlane_b32 s15, v2
	s_cmp_eq_u32 s15, 0
	s_cbranch_scc1 .LBB6_704
; %bb.703:                              ;   in Loop: Header=BB6_705 Depth=1
	s_sleep 1
	s_cbranch_execnz .LBB6_705
	s_branch .LBB6_707
.LBB6_704:
	s_branch .LBB6_707
.LBB6_705:                              ; =>This Inner Loop Header: Depth=1
	v_mov_b32_e32 v2, 1
	s_and_saveexec_b64 s[16:17], s[0:1]
	s_cbranch_execz .LBB6_702
; %bb.706:                              ;   in Loop: Header=BB6_705 Depth=1
	global_load_dword v2, v[4:5], off offset:20 sc0 sc1
	s_waitcnt vmcnt(0)
	buffer_inv sc0 sc1
	v_and_b32_e32 v2, 1, v2
	s_branch .LBB6_702
.LBB6_707:
	global_load_dwordx2 v[0:1], v[0:1], off
	s_and_saveexec_b64 s[16:17], s[0:1]
	s_cbranch_execz .LBB6_710
; %bb.708:
	v_mov_b32_e32 v8, 0
	global_load_dwordx2 v[6:7], v8, s[2:3] offset:40
	global_load_dwordx2 v[10:11], v8, s[2:3] offset:24 sc0 sc1
	global_load_dwordx2 v[12:13], v8, s[2:3]
	s_mov_b64 s[0:1], 0
	s_waitcnt vmcnt(2)
	v_lshl_add_u64 v[2:3], v[6:7], 0, 1
	v_lshl_add_u64 v[14:15], v[2:3], 0, s[10:11]
	v_cmp_eq_u64_e32 vcc, 0, v[14:15]
	s_waitcnt vmcnt(1)
	v_mov_b32_e32 v4, v10
	v_cndmask_b32_e32 v3, v15, v3, vcc
	v_cndmask_b32_e32 v2, v14, v2, vcc
	v_and_b32_e32 v5, v3, v7
	v_and_b32_e32 v6, v2, v6
	v_mul_lo_u32 v5, v5, 24
	v_mul_hi_u32 v7, v6, 24
	v_mul_lo_u32 v6, v6, 24
	v_add_u32_e32 v7, v7, v5
	s_waitcnt vmcnt(0)
	v_lshl_add_u64 v[6:7], v[12:13], 0, v[6:7]
	global_store_dwordx2 v[6:7], v[10:11], off
	v_mov_b32_e32 v5, v11
	buffer_wbl2 sc0 sc1
	s_waitcnt vmcnt(0)
	global_atomic_cmpswap_x2 v[4:5], v8, v[2:5], s[2:3] offset:24 sc0 sc1
	s_waitcnt vmcnt(0)
	v_cmp_ne_u64_e32 vcc, v[4:5], v[10:11]
	s_and_b64 exec, exec, vcc
	s_cbranch_execz .LBB6_710
.LBB6_709:                              ; =>This Inner Loop Header: Depth=1
	s_sleep 1
	global_store_dwordx2 v[6:7], v[4:5], off
	buffer_wbl2 sc0 sc1
	s_waitcnt vmcnt(0)
	global_atomic_cmpswap_x2 v[10:11], v8, v[2:5], s[2:3] offset:24 sc0 sc1
	s_waitcnt vmcnt(0)
	v_cmp_eq_u64_e32 vcc, v[10:11], v[4:5]
	s_or_b64 s[0:1], vcc, s[0:1]
	v_mov_b64_e32 v[4:5], v[10:11]
	s_andn2_b64 exec, exec, s[0:1]
	s_cbranch_execnz .LBB6_709
.LBB6_710:
	s_or_b64 exec, exec, s[16:17]
	s_and_b64 vcc, exec, s[6:7]
	s_cbranch_vccz .LBB6_795
; %bb.711:
	s_waitcnt vmcnt(0)
	v_and_b32_e32 v30, 2, v0
	v_mov_b32_e32 v33, 0
	v_and_b32_e32 v2, -3, v0
	v_mov_b32_e32 v3, v1
	s_mov_b64 s[16:17], 3
	v_mov_b32_e32 v6, 2
	v_mov_b32_e32 v7, 1
	s_getpc_b64 s[10:11]
	s_add_u32 s10, s10, .str.6@rel32@lo+4
	s_addc_u32 s11, s11, .str.6@rel32@hi+12
	s_branch .LBB6_713
.LBB6_712:                              ;   in Loop: Header=BB6_713 Depth=1
	s_or_b64 exec, exec, s[22:23]
	s_sub_u32 s16, s16, s18
	s_subb_u32 s17, s17, s19
	s_add_u32 s10, s10, s18
	s_addc_u32 s11, s11, s19
	s_cmp_lg_u64 s[16:17], 0
	s_cbranch_scc0 .LBB6_794
.LBB6_713:                              ; =>This Loop Header: Depth=1
                                        ;     Child Loop BB6_716 Depth 2
                                        ;     Child Loop BB6_723 Depth 2
	;; [unrolled: 1-line block ×11, first 2 shown]
	v_cmp_lt_u64_e64 s[0:1], s[16:17], 56
	s_and_b64 s[0:1], s[0:1], exec
	v_cmp_gt_u64_e64 s[0:1], s[16:17], 7
	s_cselect_b32 s19, s17, 0
	s_cselect_b32 s18, s16, 56
	s_and_b64 vcc, exec, s[0:1]
	s_cbranch_vccnz .LBB6_718
; %bb.714:                              ;   in Loop: Header=BB6_713 Depth=1
	s_mov_b64 s[0:1], 0
	s_cmp_eq_u64 s[16:17], 0
	v_mov_b64_e32 v[10:11], 0
	s_cbranch_scc1 .LBB6_717
; %bb.715:                              ;   in Loop: Header=BB6_713 Depth=1
	s_lshl_b64 s[20:21], s[18:19], 3
	s_mov_b64 s[22:23], 0
	v_mov_b64_e32 v[10:11], 0
	s_mov_b64 s[24:25], s[10:11]
.LBB6_716:                              ;   Parent Loop BB6_713 Depth=1
                                        ; =>  This Inner Loop Header: Depth=2
	global_load_ubyte v4, v33, s[24:25]
	s_waitcnt vmcnt(0)
	v_and_b32_e32 v32, 0xffff, v4
	v_lshlrev_b64 v[4:5], s22, v[32:33]
	s_add_u32 s22, s22, 8
	s_addc_u32 s23, s23, 0
	s_add_u32 s24, s24, 1
	s_addc_u32 s25, s25, 0
	v_or_b32_e32 v10, v4, v10
	s_cmp_lg_u32 s20, s22
	v_or_b32_e32 v11, v5, v11
	s_cbranch_scc1 .LBB6_716
.LBB6_717:                              ;   in Loop: Header=BB6_713 Depth=1
	s_mov_b32 s15, 0
	s_andn2_b64 vcc, exec, s[0:1]
	s_mov_b64 s[0:1], s[10:11]
	s_cbranch_vccz .LBB6_719
	s_branch .LBB6_720
.LBB6_718:                              ;   in Loop: Header=BB6_713 Depth=1
                                        ; implicit-def: $vgpr10_vgpr11
                                        ; implicit-def: $sgpr15
	s_mov_b64 s[0:1], s[10:11]
.LBB6_719:                              ;   in Loop: Header=BB6_713 Depth=1
	global_load_dwordx2 v[10:11], v33, s[10:11]
	s_add_i32 s15, s18, -8
	s_add_u32 s0, s10, 8
	s_addc_u32 s1, s11, 0
.LBB6_720:                              ;   in Loop: Header=BB6_713 Depth=1
	s_cmp_gt_u32 s15, 7
	s_cbranch_scc1 .LBB6_724
; %bb.721:                              ;   in Loop: Header=BB6_713 Depth=1
	s_cmp_eq_u32 s15, 0
	s_cbranch_scc1 .LBB6_725
; %bb.722:                              ;   in Loop: Header=BB6_713 Depth=1
	s_mov_b64 s[20:21], 0
	v_mov_b64_e32 v[12:13], 0
	s_mov_b64 s[22:23], 0
.LBB6_723:                              ;   Parent Loop BB6_713 Depth=1
                                        ; =>  This Inner Loop Header: Depth=2
	s_add_u32 s24, s0, s22
	s_addc_u32 s25, s1, s23
	global_load_ubyte v4, v33, s[24:25]
	s_add_u32 s22, s22, 1
	s_addc_u32 s23, s23, 0
	s_waitcnt vmcnt(0)
	v_and_b32_e32 v32, 0xffff, v4
	v_lshlrev_b64 v[4:5], s20, v[32:33]
	s_add_u32 s20, s20, 8
	s_addc_u32 s21, s21, 0
	v_or_b32_e32 v12, v4, v12
	s_cmp_lg_u32 s15, s22
	v_or_b32_e32 v13, v5, v13
	s_cbranch_scc1 .LBB6_723
	s_branch .LBB6_726
.LBB6_724:                              ;   in Loop: Header=BB6_713 Depth=1
                                        ; implicit-def: $vgpr12_vgpr13
                                        ; implicit-def: $sgpr24
	s_branch .LBB6_727
.LBB6_725:                              ;   in Loop: Header=BB6_713 Depth=1
	v_mov_b64_e32 v[12:13], 0
.LBB6_726:                              ;   in Loop: Header=BB6_713 Depth=1
	s_mov_b32 s24, 0
	s_cbranch_execnz .LBB6_728
.LBB6_727:                              ;   in Loop: Header=BB6_713 Depth=1
	global_load_dwordx2 v[12:13], v33, s[0:1]
	s_add_i32 s24, s15, -8
	s_add_u32 s0, s0, 8
	s_addc_u32 s1, s1, 0
.LBB6_728:                              ;   in Loop: Header=BB6_713 Depth=1
	s_cmp_gt_u32 s24, 7
	s_cbranch_scc1 .LBB6_732
; %bb.729:                              ;   in Loop: Header=BB6_713 Depth=1
	s_cmp_eq_u32 s24, 0
	s_cbranch_scc1 .LBB6_733
; %bb.730:                              ;   in Loop: Header=BB6_713 Depth=1
	s_mov_b64 s[20:21], 0
	v_mov_b64_e32 v[14:15], 0
	s_mov_b64 s[22:23], 0
.LBB6_731:                              ;   Parent Loop BB6_713 Depth=1
                                        ; =>  This Inner Loop Header: Depth=2
	s_add_u32 s26, s0, s22
	s_addc_u32 s27, s1, s23
	global_load_ubyte v4, v33, s[26:27]
	s_add_u32 s22, s22, 1
	s_addc_u32 s23, s23, 0
	s_waitcnt vmcnt(0)
	v_and_b32_e32 v32, 0xffff, v4
	v_lshlrev_b64 v[4:5], s20, v[32:33]
	s_add_u32 s20, s20, 8
	s_addc_u32 s21, s21, 0
	v_or_b32_e32 v14, v4, v14
	s_cmp_lg_u32 s24, s22
	v_or_b32_e32 v15, v5, v15
	s_cbranch_scc1 .LBB6_731
	s_branch .LBB6_734
.LBB6_732:                              ;   in Loop: Header=BB6_713 Depth=1
                                        ; implicit-def: $sgpr15
	s_branch .LBB6_735
.LBB6_733:                              ;   in Loop: Header=BB6_713 Depth=1
	v_mov_b64_e32 v[14:15], 0
.LBB6_734:                              ;   in Loop: Header=BB6_713 Depth=1
	s_mov_b32 s15, 0
	s_cbranch_execnz .LBB6_736
.LBB6_735:                              ;   in Loop: Header=BB6_713 Depth=1
	global_load_dwordx2 v[14:15], v33, s[0:1]
	s_add_i32 s15, s24, -8
	s_add_u32 s0, s0, 8
	s_addc_u32 s1, s1, 0
.LBB6_736:                              ;   in Loop: Header=BB6_713 Depth=1
	s_cmp_gt_u32 s15, 7
	s_cbranch_scc1 .LBB6_740
; %bb.737:                              ;   in Loop: Header=BB6_713 Depth=1
	s_cmp_eq_u32 s15, 0
	s_cbranch_scc1 .LBB6_741
; %bb.738:                              ;   in Loop: Header=BB6_713 Depth=1
	s_mov_b64 s[20:21], 0
	v_mov_b64_e32 v[16:17], 0
	s_mov_b64 s[22:23], 0
.LBB6_739:                              ;   Parent Loop BB6_713 Depth=1
                                        ; =>  This Inner Loop Header: Depth=2
	s_add_u32 s24, s0, s22
	s_addc_u32 s25, s1, s23
	global_load_ubyte v4, v33, s[24:25]
	s_add_u32 s22, s22, 1
	s_addc_u32 s23, s23, 0
	s_waitcnt vmcnt(0)
	v_and_b32_e32 v32, 0xffff, v4
	v_lshlrev_b64 v[4:5], s20, v[32:33]
	s_add_u32 s20, s20, 8
	s_addc_u32 s21, s21, 0
	v_or_b32_e32 v16, v4, v16
	s_cmp_lg_u32 s15, s22
	v_or_b32_e32 v17, v5, v17
	s_cbranch_scc1 .LBB6_739
	s_branch .LBB6_742
.LBB6_740:                              ;   in Loop: Header=BB6_713 Depth=1
                                        ; implicit-def: $vgpr16_vgpr17
                                        ; implicit-def: $sgpr24
	s_branch .LBB6_743
.LBB6_741:                              ;   in Loop: Header=BB6_713 Depth=1
	v_mov_b64_e32 v[16:17], 0
.LBB6_742:                              ;   in Loop: Header=BB6_713 Depth=1
	s_mov_b32 s24, 0
	s_cbranch_execnz .LBB6_744
.LBB6_743:                              ;   in Loop: Header=BB6_713 Depth=1
	global_load_dwordx2 v[16:17], v33, s[0:1]
	s_add_i32 s24, s15, -8
	s_add_u32 s0, s0, 8
	s_addc_u32 s1, s1, 0
.LBB6_744:                              ;   in Loop: Header=BB6_713 Depth=1
	s_cmp_gt_u32 s24, 7
	s_cbranch_scc1 .LBB6_748
; %bb.745:                              ;   in Loop: Header=BB6_713 Depth=1
	s_cmp_eq_u32 s24, 0
	s_cbranch_scc1 .LBB6_749
; %bb.746:                              ;   in Loop: Header=BB6_713 Depth=1
	s_mov_b64 s[20:21], 0
	v_mov_b64_e32 v[18:19], 0
	s_mov_b64 s[22:23], 0
.LBB6_747:                              ;   Parent Loop BB6_713 Depth=1
                                        ; =>  This Inner Loop Header: Depth=2
	s_add_u32 s26, s0, s22
	s_addc_u32 s27, s1, s23
	global_load_ubyte v4, v33, s[26:27]
	s_add_u32 s22, s22, 1
	s_addc_u32 s23, s23, 0
	s_waitcnt vmcnt(0)
	v_and_b32_e32 v32, 0xffff, v4
	v_lshlrev_b64 v[4:5], s20, v[32:33]
	s_add_u32 s20, s20, 8
	s_addc_u32 s21, s21, 0
	v_or_b32_e32 v18, v4, v18
	s_cmp_lg_u32 s24, s22
	v_or_b32_e32 v19, v5, v19
	s_cbranch_scc1 .LBB6_747
	s_branch .LBB6_750
.LBB6_748:                              ;   in Loop: Header=BB6_713 Depth=1
                                        ; implicit-def: $sgpr15
	s_branch .LBB6_751
.LBB6_749:                              ;   in Loop: Header=BB6_713 Depth=1
	v_mov_b64_e32 v[18:19], 0
.LBB6_750:                              ;   in Loop: Header=BB6_713 Depth=1
	s_mov_b32 s15, 0
	s_cbranch_execnz .LBB6_752
.LBB6_751:                              ;   in Loop: Header=BB6_713 Depth=1
	global_load_dwordx2 v[18:19], v33, s[0:1]
	s_add_i32 s15, s24, -8
	s_add_u32 s0, s0, 8
	s_addc_u32 s1, s1, 0
.LBB6_752:                              ;   in Loop: Header=BB6_713 Depth=1
	s_cmp_gt_u32 s15, 7
	s_cbranch_scc1 .LBB6_756
; %bb.753:                              ;   in Loop: Header=BB6_713 Depth=1
	s_cmp_eq_u32 s15, 0
	s_cbranch_scc1 .LBB6_757
; %bb.754:                              ;   in Loop: Header=BB6_713 Depth=1
	s_mov_b64 s[20:21], 0
	v_mov_b64_e32 v[20:21], 0
	s_mov_b64 s[22:23], 0
.LBB6_755:                              ;   Parent Loop BB6_713 Depth=1
                                        ; =>  This Inner Loop Header: Depth=2
	s_add_u32 s24, s0, s22
	s_addc_u32 s25, s1, s23
	global_load_ubyte v4, v33, s[24:25]
	s_add_u32 s22, s22, 1
	s_addc_u32 s23, s23, 0
	s_waitcnt vmcnt(0)
	v_and_b32_e32 v32, 0xffff, v4
	v_lshlrev_b64 v[4:5], s20, v[32:33]
	s_add_u32 s20, s20, 8
	s_addc_u32 s21, s21, 0
	v_or_b32_e32 v20, v4, v20
	s_cmp_lg_u32 s15, s22
	v_or_b32_e32 v21, v5, v21
	s_cbranch_scc1 .LBB6_755
	s_branch .LBB6_758
.LBB6_756:                              ;   in Loop: Header=BB6_713 Depth=1
                                        ; implicit-def: $vgpr20_vgpr21
                                        ; implicit-def: $sgpr24
	s_branch .LBB6_759
.LBB6_757:                              ;   in Loop: Header=BB6_713 Depth=1
	v_mov_b64_e32 v[20:21], 0
.LBB6_758:                              ;   in Loop: Header=BB6_713 Depth=1
	s_mov_b32 s24, 0
	s_cbranch_execnz .LBB6_760
.LBB6_759:                              ;   in Loop: Header=BB6_713 Depth=1
	global_load_dwordx2 v[20:21], v33, s[0:1]
	s_add_i32 s24, s15, -8
	s_add_u32 s0, s0, 8
	s_addc_u32 s1, s1, 0
.LBB6_760:                              ;   in Loop: Header=BB6_713 Depth=1
	s_cmp_gt_u32 s24, 7
	s_cbranch_scc1 .LBB6_764
; %bb.761:                              ;   in Loop: Header=BB6_713 Depth=1
	s_cmp_eq_u32 s24, 0
	s_cbranch_scc1 .LBB6_765
; %bb.762:                              ;   in Loop: Header=BB6_713 Depth=1
	s_mov_b64 s[20:21], 0
	v_mov_b64_e32 v[22:23], 0
	s_mov_b64 s[22:23], s[0:1]
.LBB6_763:                              ;   Parent Loop BB6_713 Depth=1
                                        ; =>  This Inner Loop Header: Depth=2
	global_load_ubyte v4, v33, s[22:23]
	s_add_i32 s24, s24, -1
	s_waitcnt vmcnt(0)
	v_and_b32_e32 v32, 0xffff, v4
	v_lshlrev_b64 v[4:5], s20, v[32:33]
	s_add_u32 s20, s20, 8
	s_addc_u32 s21, s21, 0
	s_add_u32 s22, s22, 1
	s_addc_u32 s23, s23, 0
	v_or_b32_e32 v22, v4, v22
	s_cmp_lg_u32 s24, 0
	v_or_b32_e32 v23, v5, v23
	s_cbranch_scc1 .LBB6_763
	s_branch .LBB6_766
.LBB6_764:                              ;   in Loop: Header=BB6_713 Depth=1
	s_branch .LBB6_767
.LBB6_765:                              ;   in Loop: Header=BB6_713 Depth=1
	v_mov_b64_e32 v[22:23], 0
.LBB6_766:                              ;   in Loop: Header=BB6_713 Depth=1
	s_cbranch_execnz .LBB6_768
.LBB6_767:                              ;   in Loop: Header=BB6_713 Depth=1
	global_load_dwordx2 v[22:23], v33, s[0:1]
.LBB6_768:                              ;   in Loop: Header=BB6_713 Depth=1
	v_readfirstlane_b32 s0, v36
	s_waitcnt vmcnt(0)
	v_mov_b64_e32 v[4:5], 0
	v_cmp_eq_u32_e64 s[0:1], s0, v36
	s_and_saveexec_b64 s[20:21], s[0:1]
	s_cbranch_execz .LBB6_774
; %bb.769:                              ;   in Loop: Header=BB6_713 Depth=1
	global_load_dwordx2 v[26:27], v33, s[2:3] offset:24 sc0 sc1
	s_waitcnt vmcnt(0)
	buffer_inv sc0 sc1
	global_load_dwordx2 v[4:5], v33, s[2:3] offset:40
	global_load_dwordx2 v[8:9], v33, s[2:3]
	s_waitcnt vmcnt(1)
	v_and_b32_e32 v4, v4, v26
	v_and_b32_e32 v5, v5, v27
	v_mul_lo_u32 v5, v5, 24
	v_mul_hi_u32 v24, v4, 24
	v_add_u32_e32 v5, v24, v5
	v_mul_lo_u32 v4, v4, 24
	s_waitcnt vmcnt(0)
	v_lshl_add_u64 v[4:5], v[8:9], 0, v[4:5]
	global_load_dwordx2 v[24:25], v[4:5], off sc0 sc1
	s_waitcnt vmcnt(0)
	global_atomic_cmpswap_x2 v[4:5], v33, v[24:27], s[2:3] offset:24 sc0 sc1
	s_waitcnt vmcnt(0)
	buffer_inv sc0 sc1
	v_cmp_ne_u64_e32 vcc, v[4:5], v[26:27]
	s_and_saveexec_b64 s[22:23], vcc
	s_cbranch_execz .LBB6_773
; %bb.770:                              ;   in Loop: Header=BB6_713 Depth=1
	s_mov_b64 s[24:25], 0
.LBB6_771:                              ;   Parent Loop BB6_713 Depth=1
                                        ; =>  This Inner Loop Header: Depth=2
	s_sleep 1
	global_load_dwordx2 v[8:9], v33, s[2:3] offset:40
	global_load_dwordx2 v[24:25], v33, s[2:3]
	v_mov_b64_e32 v[26:27], v[4:5]
	s_waitcnt vmcnt(1)
	v_and_b32_e32 v4, v8, v26
	s_waitcnt vmcnt(0)
	v_mad_u64_u32 v[4:5], s[26:27], v4, 24, v[24:25]
	v_and_b32_e32 v9, v9, v27
	v_mov_b32_e32 v8, v5
	v_mad_u64_u32 v[8:9], s[26:27], v9, 24, v[8:9]
	v_mov_b32_e32 v5, v8
	global_load_dwordx2 v[24:25], v[4:5], off sc0 sc1
	s_waitcnt vmcnt(0)
	global_atomic_cmpswap_x2 v[4:5], v33, v[24:27], s[2:3] offset:24 sc0 sc1
	s_waitcnt vmcnt(0)
	buffer_inv sc0 sc1
	v_cmp_eq_u64_e32 vcc, v[4:5], v[26:27]
	s_or_b64 s[24:25], vcc, s[24:25]
	s_andn2_b64 exec, exec, s[24:25]
	s_cbranch_execnz .LBB6_771
; %bb.772:                              ;   in Loop: Header=BB6_713 Depth=1
	s_or_b64 exec, exec, s[24:25]
.LBB6_773:                              ;   in Loop: Header=BB6_713 Depth=1
	s_or_b64 exec, exec, s[22:23]
.LBB6_774:                              ;   in Loop: Header=BB6_713 Depth=1
	s_or_b64 exec, exec, s[20:21]
	global_load_dwordx2 v[8:9], v33, s[2:3] offset:40
	global_load_dwordx4 v[24:27], v33, s[2:3]
	v_readfirstlane_b32 s20, v4
	v_readfirstlane_b32 s21, v5
	s_mov_b64 s[22:23], exec
	s_waitcnt vmcnt(1)
	v_readfirstlane_b32 s24, v8
	v_readfirstlane_b32 s25, v9
	s_and_b64 s[24:25], s[20:21], s[24:25]
	s_mul_i32 s15, s25, 24
	s_mul_hi_u32 s26, s24, 24
	s_add_i32 s27, s26, s15
	s_mul_i32 s26, s24, 24
	s_waitcnt vmcnt(0)
	v_lshl_add_u64 v[34:35], v[24:25], 0, s[26:27]
	s_and_saveexec_b64 s[26:27], s[0:1]
	s_cbranch_execz .LBB6_776
; %bb.775:                              ;   in Loop: Header=BB6_713 Depth=1
	v_mov_b64_e32 v[4:5], s[22:23]
	global_store_dwordx4 v[34:35], v[4:7], off offset:8
.LBB6_776:                              ;   in Loop: Header=BB6_713 Depth=1
	s_or_b64 exec, exec, s[26:27]
	s_nop 0
	v_or_b32_e32 v5, v2, v30
	v_cmp_gt_u64_e64 vcc, s[16:17], 56
	s_lshl_b32 s15, s18, 2
	s_lshl_b64 s[22:23], s[24:25], 12
	v_cndmask_b32_e32 v2, v5, v2, vcc
	s_add_i32 s15, s15, 28
	v_lshl_add_u64 v[26:27], v[26:27], 0, s[22:23]
	v_or_b32_e32 v4, 0, v3
	s_and_b32 s15, s15, 0x1e0
	v_and_b32_e32 v2, 0xffffff1f, v2
	v_cndmask_b32_e32 v9, v4, v3, vcc
	v_or_b32_e32 v8, s15, v2
	v_readfirstlane_b32 s22, v26
	v_readfirstlane_b32 s23, v27
	s_nop 4
	global_store_dwordx4 v28, v[8:11], s[22:23]
	global_store_dwordx4 v28, v[12:15], s[22:23] offset:16
	global_store_dwordx4 v28, v[16:19], s[22:23] offset:32
	;; [unrolled: 1-line block ×3, first 2 shown]
	s_and_saveexec_b64 s[22:23], s[0:1]
	s_cbranch_execz .LBB6_784
; %bb.777:                              ;   in Loop: Header=BB6_713 Depth=1
	global_load_dwordx2 v[12:13], v33, s[2:3] offset:32 sc0 sc1
	global_load_dwordx2 v[2:3], v33, s[2:3] offset:40
	v_mov_b32_e32 v10, s20
	v_mov_b32_e32 v11, s21
	s_waitcnt vmcnt(0)
	v_readfirstlane_b32 s24, v2
	v_readfirstlane_b32 s25, v3
	s_and_b64 s[24:25], s[24:25], s[20:21]
	s_mul_i32 s15, s25, 24
	s_mul_hi_u32 s25, s24, 24
	s_mul_i32 s24, s24, 24
	s_add_i32 s25, s25, s15
	v_lshl_add_u64 v[8:9], v[24:25], 0, s[24:25]
	global_store_dwordx2 v[8:9], v[12:13], off
	buffer_wbl2 sc0 sc1
	s_waitcnt vmcnt(0)
	global_atomic_cmpswap_x2 v[4:5], v33, v[10:13], s[2:3] offset:32 sc0 sc1
	s_waitcnt vmcnt(0)
	v_cmp_ne_u64_e32 vcc, v[4:5], v[12:13]
	s_and_saveexec_b64 s[24:25], vcc
	s_cbranch_execz .LBB6_780
; %bb.778:                              ;   in Loop: Header=BB6_713 Depth=1
	s_mov_b64 s[26:27], 0
.LBB6_779:                              ;   Parent Loop BB6_713 Depth=1
                                        ; =>  This Inner Loop Header: Depth=2
	s_sleep 1
	global_store_dwordx2 v[8:9], v[4:5], off
	v_mov_b32_e32 v2, s20
	v_mov_b32_e32 v3, s21
	buffer_wbl2 sc0 sc1
	s_waitcnt vmcnt(0)
	global_atomic_cmpswap_x2 v[2:3], v33, v[2:5], s[2:3] offset:32 sc0 sc1
	s_waitcnt vmcnt(0)
	v_cmp_eq_u64_e32 vcc, v[2:3], v[4:5]
	s_or_b64 s[26:27], vcc, s[26:27]
	v_mov_b64_e32 v[4:5], v[2:3]
	s_andn2_b64 exec, exec, s[26:27]
	s_cbranch_execnz .LBB6_779
.LBB6_780:                              ;   in Loop: Header=BB6_713 Depth=1
	s_or_b64 exec, exec, s[24:25]
	global_load_dwordx2 v[2:3], v33, s[2:3] offset:16
	s_mov_b64 s[26:27], exec
	v_mbcnt_lo_u32_b32 v4, s26, 0
	v_mbcnt_hi_u32_b32 v4, s27, v4
	v_cmp_eq_u32_e32 vcc, 0, v4
	s_and_saveexec_b64 s[24:25], vcc
	s_cbranch_execz .LBB6_782
; %bb.781:                              ;   in Loop: Header=BB6_713 Depth=1
	s_bcnt1_i32_b64 s15, s[26:27]
	v_mov_b32_e32 v32, s15
	buffer_wbl2 sc0 sc1
	s_waitcnt vmcnt(0)
	global_atomic_add_x2 v[2:3], v[32:33], off offset:8 sc1
.LBB6_782:                              ;   in Loop: Header=BB6_713 Depth=1
	s_or_b64 exec, exec, s[24:25]
	s_waitcnt vmcnt(0)
	global_load_dwordx2 v[4:5], v[2:3], off offset:16
	s_waitcnt vmcnt(0)
	v_cmp_eq_u64_e32 vcc, 0, v[4:5]
	s_cbranch_vccnz .LBB6_784
; %bb.783:                              ;   in Loop: Header=BB6_713 Depth=1
	global_load_dword v32, v[2:3], off offset:24
	s_waitcnt vmcnt(0)
	v_and_b32_e32 v2, 0xffffff, v32
	s_nop 0
	v_readfirstlane_b32 m0, v2
	buffer_wbl2 sc0 sc1
	global_store_dwordx2 v[4:5], v[32:33], off sc0 sc1
	s_sendmsg sendmsg(MSG_INTERRUPT)
.LBB6_784:                              ;   in Loop: Header=BB6_713 Depth=1
	s_or_b64 exec, exec, s[22:23]
	v_mov_b32_e32 v29, v33
	v_lshl_add_u64 v[2:3], v[26:27], 0, v[28:29]
	s_branch .LBB6_788
.LBB6_785:                              ;   in Loop: Header=BB6_788 Depth=2
	s_or_b64 exec, exec, s[22:23]
	v_readfirstlane_b32 s15, v4
	s_cmp_eq_u32 s15, 0
	s_cbranch_scc1 .LBB6_787
; %bb.786:                              ;   in Loop: Header=BB6_788 Depth=2
	s_sleep 1
	s_cbranch_execnz .LBB6_788
	s_branch .LBB6_790
.LBB6_787:                              ;   in Loop: Header=BB6_713 Depth=1
	s_branch .LBB6_790
.LBB6_788:                              ;   Parent Loop BB6_713 Depth=1
                                        ; =>  This Inner Loop Header: Depth=2
	v_mov_b32_e32 v4, 1
	s_and_saveexec_b64 s[22:23], s[0:1]
	s_cbranch_execz .LBB6_785
; %bb.789:                              ;   in Loop: Header=BB6_788 Depth=2
	global_load_dword v4, v[34:35], off offset:20 sc0 sc1
	s_waitcnt vmcnt(0)
	buffer_inv sc0 sc1
	v_and_b32_e32 v4, 1, v4
	s_branch .LBB6_785
.LBB6_790:                              ;   in Loop: Header=BB6_713 Depth=1
	global_load_dwordx4 v[2:5], v[2:3], off
	s_and_saveexec_b64 s[22:23], s[0:1]
	s_cbranch_execz .LBB6_712
; %bb.791:                              ;   in Loop: Header=BB6_713 Depth=1
	global_load_dwordx2 v[4:5], v33, s[2:3] offset:40
	global_load_dwordx2 v[12:13], v33, s[2:3] offset:24 sc0 sc1
	global_load_dwordx2 v[14:15], v33, s[2:3]
	s_waitcnt vmcnt(2)
	v_lshl_add_u64 v[8:9], v[4:5], 0, 1
	v_lshl_add_u64 v[16:17], v[8:9], 0, s[20:21]
	v_cmp_eq_u64_e32 vcc, 0, v[16:17]
	s_waitcnt vmcnt(1)
	v_mov_b32_e32 v10, v12
	v_cndmask_b32_e32 v9, v17, v9, vcc
	v_cndmask_b32_e32 v8, v16, v8, vcc
	v_and_b32_e32 v5, v9, v5
	v_and_b32_e32 v4, v8, v4
	v_mul_lo_u32 v5, v5, 24
	v_mul_hi_u32 v11, v4, 24
	v_mul_lo_u32 v4, v4, 24
	v_add_u32_e32 v5, v11, v5
	s_waitcnt vmcnt(0)
	v_lshl_add_u64 v[4:5], v[14:15], 0, v[4:5]
	global_store_dwordx2 v[4:5], v[12:13], off
	v_mov_b32_e32 v11, v13
	buffer_wbl2 sc0 sc1
	s_waitcnt vmcnt(0)
	global_atomic_cmpswap_x2 v[10:11], v33, v[8:11], s[2:3] offset:24 sc0 sc1
	s_waitcnt vmcnt(0)
	v_cmp_ne_u64_e32 vcc, v[10:11], v[12:13]
	s_and_b64 exec, exec, vcc
	s_cbranch_execz .LBB6_712
; %bb.792:                              ;   in Loop: Header=BB6_713 Depth=1
	s_mov_b64 s[0:1], 0
.LBB6_793:                              ;   Parent Loop BB6_713 Depth=1
                                        ; =>  This Inner Loop Header: Depth=2
	s_sleep 1
	global_store_dwordx2 v[4:5], v[10:11], off
	buffer_wbl2 sc0 sc1
	s_waitcnt vmcnt(0)
	global_atomic_cmpswap_x2 v[12:13], v33, v[8:11], s[2:3] offset:24 sc0 sc1
	s_waitcnt vmcnt(0)
	v_cmp_eq_u64_e32 vcc, v[12:13], v[10:11]
	s_or_b64 s[0:1], vcc, s[0:1]
	v_mov_b64_e32 v[10:11], v[12:13]
	s_andn2_b64 exec, exec, s[0:1]
	s_cbranch_execnz .LBB6_793
	s_branch .LBB6_712
.LBB6_794:
	s_branch .LBB6_822
.LBB6_795:
                                        ; implicit-def: $vgpr2_vgpr3
	s_cbranch_execz .LBB6_822
; %bb.796:
	v_readfirstlane_b32 s0, v36
	s_waitcnt vmcnt(0)
	v_mov_b64_e32 v[2:3], 0
	v_cmp_eq_u32_e64 s[0:1], s0, v36
	s_and_saveexec_b64 s[10:11], s[0:1]
	s_cbranch_execz .LBB6_802
; %bb.797:
	v_mov_b32_e32 v4, 0
	global_load_dwordx2 v[8:9], v4, s[2:3] offset:24 sc0 sc1
	s_waitcnt vmcnt(0)
	buffer_inv sc0 sc1
	global_load_dwordx2 v[2:3], v4, s[2:3] offset:40
	global_load_dwordx2 v[6:7], v4, s[2:3]
	s_waitcnt vmcnt(1)
	v_and_b32_e32 v2, v2, v8
	v_and_b32_e32 v3, v3, v9
	v_mul_lo_u32 v3, v3, 24
	v_mul_hi_u32 v5, v2, 24
	v_add_u32_e32 v3, v5, v3
	v_mul_lo_u32 v2, v2, 24
	s_waitcnt vmcnt(0)
	v_lshl_add_u64 v[2:3], v[6:7], 0, v[2:3]
	global_load_dwordx2 v[6:7], v[2:3], off sc0 sc1
	s_waitcnt vmcnt(0)
	global_atomic_cmpswap_x2 v[2:3], v4, v[6:9], s[2:3] offset:24 sc0 sc1
	s_waitcnt vmcnt(0)
	buffer_inv sc0 sc1
	v_cmp_ne_u64_e32 vcc, v[2:3], v[8:9]
	s_and_saveexec_b64 s[16:17], vcc
	s_cbranch_execz .LBB6_801
; %bb.798:
	s_mov_b64 s[18:19], 0
.LBB6_799:                              ; =>This Inner Loop Header: Depth=1
	s_sleep 1
	global_load_dwordx2 v[6:7], v4, s[2:3] offset:40
	global_load_dwordx2 v[10:11], v4, s[2:3]
	v_mov_b64_e32 v[8:9], v[2:3]
	s_waitcnt vmcnt(1)
	v_and_b32_e32 v2, v6, v8
	s_waitcnt vmcnt(0)
	v_mad_u64_u32 v[2:3], s[20:21], v2, 24, v[10:11]
	v_and_b32_e32 v5, v7, v9
	v_mov_b32_e32 v6, v3
	v_mad_u64_u32 v[6:7], s[20:21], v5, 24, v[6:7]
	v_mov_b32_e32 v3, v6
	global_load_dwordx2 v[6:7], v[2:3], off sc0 sc1
	s_waitcnt vmcnt(0)
	global_atomic_cmpswap_x2 v[2:3], v4, v[6:9], s[2:3] offset:24 sc0 sc1
	s_waitcnt vmcnt(0)
	buffer_inv sc0 sc1
	v_cmp_eq_u64_e32 vcc, v[2:3], v[8:9]
	s_or_b64 s[18:19], vcc, s[18:19]
	s_andn2_b64 exec, exec, s[18:19]
	s_cbranch_execnz .LBB6_799
; %bb.800:
	s_or_b64 exec, exec, s[18:19]
.LBB6_801:
	s_or_b64 exec, exec, s[16:17]
.LBB6_802:
	s_or_b64 exec, exec, s[10:11]
	v_mov_b32_e32 v29, 0
	global_load_dwordx2 v[8:9], v29, s[2:3] offset:40
	global_load_dwordx4 v[4:7], v29, s[2:3]
	v_readfirstlane_b32 s10, v2
	v_readfirstlane_b32 s11, v3
	s_mov_b64 s[16:17], exec
	s_waitcnt vmcnt(1)
	v_readfirstlane_b32 s18, v8
	v_readfirstlane_b32 s19, v9
	s_and_b64 s[18:19], s[10:11], s[18:19]
	s_mul_i32 s15, s19, 24
	s_mul_hi_u32 s20, s18, 24
	s_add_i32 s21, s20, s15
	s_mul_i32 s20, s18, 24
	s_waitcnt vmcnt(0)
	v_lshl_add_u64 v[8:9], v[4:5], 0, s[20:21]
	s_and_saveexec_b64 s[20:21], s[0:1]
	s_cbranch_execz .LBB6_804
; %bb.803:
	v_mov_b64_e32 v[10:11], s[16:17]
	v_mov_b32_e32 v12, 2
	v_mov_b32_e32 v13, 1
	global_store_dwordx4 v[8:9], v[10:13], off offset:8
.LBB6_804:
	s_or_b64 exec, exec, s[20:21]
	s_lshl_b64 s[16:17], s[18:19], 12
	v_lshl_add_u64 v[6:7], v[6:7], 0, s[16:17]
	s_movk_i32 s15, 0xff1f
	s_mov_b32 s16, 0
	v_and_or_b32 v0, v0, s15, 32
	v_mov_b32_e32 v2, v29
	v_mov_b32_e32 v3, v29
	v_readfirstlane_b32 s20, v6
	v_readfirstlane_b32 s21, v7
	s_mov_b32 s17, s16
	s_mov_b32 s18, s16
	;; [unrolled: 1-line block ×3, first 2 shown]
	s_nop 1
	global_store_dwordx4 v28, v[0:3], s[20:21]
	s_nop 1
	v_mov_b64_e32 v[0:1], s[16:17]
	v_mov_b64_e32 v[2:3], s[18:19]
	global_store_dwordx4 v28, v[0:3], s[20:21] offset:16
	global_store_dwordx4 v28, v[0:3], s[20:21] offset:32
	global_store_dwordx4 v28, v[0:3], s[20:21] offset:48
	s_and_saveexec_b64 s[16:17], s[0:1]
	s_cbranch_execz .LBB6_812
; %bb.805:
	v_mov_b32_e32 v10, 0
	global_load_dwordx2 v[14:15], v10, s[2:3] offset:32 sc0 sc1
	global_load_dwordx2 v[0:1], v10, s[2:3] offset:40
	v_mov_b32_e32 v12, s10
	v_mov_b32_e32 v13, s11
	s_waitcnt vmcnt(0)
	v_readfirstlane_b32 s18, v0
	v_readfirstlane_b32 s19, v1
	s_and_b64 s[18:19], s[18:19], s[10:11]
	s_mul_i32 s15, s19, 24
	s_mul_hi_u32 s19, s18, 24
	s_mul_i32 s18, s18, 24
	s_add_i32 s19, s19, s15
	v_lshl_add_u64 v[4:5], v[4:5], 0, s[18:19]
	global_store_dwordx2 v[4:5], v[14:15], off
	buffer_wbl2 sc0 sc1
	s_waitcnt vmcnt(0)
	global_atomic_cmpswap_x2 v[2:3], v10, v[12:15], s[2:3] offset:32 sc0 sc1
	s_waitcnt vmcnt(0)
	v_cmp_ne_u64_e32 vcc, v[2:3], v[14:15]
	s_and_saveexec_b64 s[18:19], vcc
	s_cbranch_execz .LBB6_808
; %bb.806:
	s_mov_b64 s[20:21], 0
.LBB6_807:                              ; =>This Inner Loop Header: Depth=1
	s_sleep 1
	global_store_dwordx2 v[4:5], v[2:3], off
	v_mov_b32_e32 v0, s10
	v_mov_b32_e32 v1, s11
	buffer_wbl2 sc0 sc1
	s_waitcnt vmcnt(0)
	global_atomic_cmpswap_x2 v[0:1], v10, v[0:3], s[2:3] offset:32 sc0 sc1
	s_waitcnt vmcnt(0)
	v_cmp_eq_u64_e32 vcc, v[0:1], v[2:3]
	s_or_b64 s[20:21], vcc, s[20:21]
	v_mov_b64_e32 v[2:3], v[0:1]
	s_andn2_b64 exec, exec, s[20:21]
	s_cbranch_execnz .LBB6_807
.LBB6_808:
	s_or_b64 exec, exec, s[18:19]
	v_mov_b32_e32 v3, 0
	global_load_dwordx2 v[0:1], v3, s[2:3] offset:16
	s_mov_b64 s[18:19], exec
	v_mbcnt_lo_u32_b32 v2, s18, 0
	v_mbcnt_hi_u32_b32 v2, s19, v2
	v_cmp_eq_u32_e32 vcc, 0, v2
	s_and_saveexec_b64 s[20:21], vcc
	s_cbranch_execz .LBB6_810
; %bb.809:
	s_bcnt1_i32_b64 s15, s[18:19]
	v_mov_b32_e32 v2, s15
	buffer_wbl2 sc0 sc1
	s_waitcnt vmcnt(0)
	global_atomic_add_x2 v[0:1], v[2:3], off offset:8 sc1
.LBB6_810:
	s_or_b64 exec, exec, s[20:21]
	s_waitcnt vmcnt(0)
	global_load_dwordx2 v[2:3], v[0:1], off offset:16
	s_waitcnt vmcnt(0)
	v_cmp_eq_u64_e32 vcc, 0, v[2:3]
	s_cbranch_vccnz .LBB6_812
; %bb.811:
	global_load_dword v0, v[0:1], off offset:24
	v_mov_b32_e32 v1, 0
	buffer_wbl2 sc0 sc1
	s_waitcnt vmcnt(0)
	global_store_dwordx2 v[2:3], v[0:1], off sc0 sc1
	v_and_b32_e32 v0, 0xffffff, v0
	s_nop 0
	v_readfirstlane_b32 m0, v0
	s_sendmsg sendmsg(MSG_INTERRUPT)
.LBB6_812:
	s_or_b64 exec, exec, s[16:17]
	v_lshl_add_u64 v[0:1], v[6:7], 0, v[28:29]
	s_branch .LBB6_816
.LBB6_813:                              ;   in Loop: Header=BB6_816 Depth=1
	s_or_b64 exec, exec, s[16:17]
	v_readfirstlane_b32 s15, v2
	s_cmp_eq_u32 s15, 0
	s_cbranch_scc1 .LBB6_815
; %bb.814:                              ;   in Loop: Header=BB6_816 Depth=1
	s_sleep 1
	s_cbranch_execnz .LBB6_816
	s_branch .LBB6_818
.LBB6_815:
	s_branch .LBB6_818
.LBB6_816:                              ; =>This Inner Loop Header: Depth=1
	v_mov_b32_e32 v2, 1
	s_and_saveexec_b64 s[16:17], s[0:1]
	s_cbranch_execz .LBB6_813
; %bb.817:                              ;   in Loop: Header=BB6_816 Depth=1
	global_load_dword v2, v[8:9], off offset:20 sc0 sc1
	s_waitcnt vmcnt(0)
	buffer_inv sc0 sc1
	v_and_b32_e32 v2, 1, v2
	s_branch .LBB6_813
.LBB6_818:
	global_load_dwordx2 v[2:3], v[0:1], off
	s_and_saveexec_b64 s[16:17], s[0:1]
	s_cbranch_execz .LBB6_821
; %bb.819:
	v_mov_b32_e32 v8, 0
	global_load_dwordx2 v[0:1], v8, s[2:3] offset:40
	global_load_dwordx2 v[10:11], v8, s[2:3] offset:24 sc0 sc1
	global_load_dwordx2 v[12:13], v8, s[2:3]
	s_mov_b64 s[0:1], 0
	s_waitcnt vmcnt(2)
	v_lshl_add_u64 v[4:5], v[0:1], 0, 1
	v_lshl_add_u64 v[14:15], v[4:5], 0, s[10:11]
	v_cmp_eq_u64_e32 vcc, 0, v[14:15]
	s_waitcnt vmcnt(1)
	v_mov_b32_e32 v6, v10
	v_cndmask_b32_e32 v5, v15, v5, vcc
	v_cndmask_b32_e32 v4, v14, v4, vcc
	v_and_b32_e32 v1, v5, v1
	v_and_b32_e32 v0, v4, v0
	v_mul_lo_u32 v1, v1, 24
	v_mul_hi_u32 v7, v0, 24
	v_mul_lo_u32 v0, v0, 24
	v_add_u32_e32 v1, v7, v1
	s_waitcnt vmcnt(0)
	v_lshl_add_u64 v[0:1], v[12:13], 0, v[0:1]
	global_store_dwordx2 v[0:1], v[10:11], off
	v_mov_b32_e32 v7, v11
	buffer_wbl2 sc0 sc1
	s_waitcnt vmcnt(0)
	global_atomic_cmpswap_x2 v[6:7], v8, v[4:7], s[2:3] offset:24 sc0 sc1
	s_waitcnt vmcnt(0)
	v_cmp_ne_u64_e32 vcc, v[6:7], v[10:11]
	s_and_b64 exec, exec, vcc
	s_cbranch_execz .LBB6_821
.LBB6_820:                              ; =>This Inner Loop Header: Depth=1
	s_sleep 1
	global_store_dwordx2 v[0:1], v[6:7], off
	buffer_wbl2 sc0 sc1
	s_waitcnt vmcnt(0)
	global_atomic_cmpswap_x2 v[10:11], v8, v[4:7], s[2:3] offset:24 sc0 sc1
	s_waitcnt vmcnt(0)
	v_cmp_eq_u64_e32 vcc, v[10:11], v[6:7]
	s_or_b64 s[0:1], vcc, s[0:1]
	v_mov_b64_e32 v[6:7], v[10:11]
	s_andn2_b64 exec, exec, s[0:1]
	s_cbranch_execnz .LBB6_820
.LBB6_821:
	s_or_b64 exec, exec, s[16:17]
.LBB6_822:
	v_readfirstlane_b32 s0, v36
	s_waitcnt vmcnt(0)
	v_mov_b64_e32 v[0:1], 0
	v_cmp_eq_u32_e64 s[0:1], s0, v36
	s_and_saveexec_b64 s[10:11], s[0:1]
	s_cbranch_execz .LBB6_828
; %bb.823:
	v_mov_b32_e32 v4, 0
	global_load_dwordx2 v[8:9], v4, s[2:3] offset:24 sc0 sc1
	s_waitcnt vmcnt(0)
	buffer_inv sc0 sc1
	global_load_dwordx2 v[0:1], v4, s[2:3] offset:40
	global_load_dwordx2 v[6:7], v4, s[2:3]
	s_waitcnt vmcnt(1)
	v_and_b32_e32 v0, v0, v8
	v_and_b32_e32 v1, v1, v9
	v_mul_lo_u32 v1, v1, 24
	v_mul_hi_u32 v5, v0, 24
	v_add_u32_e32 v1, v5, v1
	v_mul_lo_u32 v0, v0, 24
	s_waitcnt vmcnt(0)
	v_lshl_add_u64 v[0:1], v[6:7], 0, v[0:1]
	global_load_dwordx2 v[6:7], v[0:1], off sc0 sc1
	s_waitcnt vmcnt(0)
	global_atomic_cmpswap_x2 v[0:1], v4, v[6:9], s[2:3] offset:24 sc0 sc1
	s_waitcnt vmcnt(0)
	buffer_inv sc0 sc1
	v_cmp_ne_u64_e32 vcc, v[0:1], v[8:9]
	s_and_saveexec_b64 s[16:17], vcc
	s_cbranch_execz .LBB6_827
; %bb.824:
	s_mov_b64 s[18:19], 0
.LBB6_825:                              ; =>This Inner Loop Header: Depth=1
	s_sleep 1
	global_load_dwordx2 v[6:7], v4, s[2:3] offset:40
	global_load_dwordx2 v[10:11], v4, s[2:3]
	v_mov_b64_e32 v[8:9], v[0:1]
	s_waitcnt vmcnt(1)
	v_and_b32_e32 v0, v6, v8
	s_waitcnt vmcnt(0)
	v_mad_u64_u32 v[0:1], s[20:21], v0, 24, v[10:11]
	v_and_b32_e32 v5, v7, v9
	v_mov_b32_e32 v6, v1
	v_mad_u64_u32 v[6:7], s[20:21], v5, 24, v[6:7]
	v_mov_b32_e32 v1, v6
	global_load_dwordx2 v[6:7], v[0:1], off sc0 sc1
	s_waitcnt vmcnt(0)
	global_atomic_cmpswap_x2 v[0:1], v4, v[6:9], s[2:3] offset:24 sc0 sc1
	s_waitcnt vmcnt(0)
	buffer_inv sc0 sc1
	v_cmp_eq_u64_e32 vcc, v[0:1], v[8:9]
	s_or_b64 s[18:19], vcc, s[18:19]
	s_andn2_b64 exec, exec, s[18:19]
	s_cbranch_execnz .LBB6_825
; %bb.826:
	s_or_b64 exec, exec, s[18:19]
.LBB6_827:
	s_or_b64 exec, exec, s[16:17]
.LBB6_828:
	s_or_b64 exec, exec, s[10:11]
	v_mov_b32_e32 v5, 0
	global_load_dwordx2 v[10:11], v5, s[2:3] offset:40
	global_load_dwordx4 v[6:9], v5, s[2:3]
	v_readfirstlane_b32 s10, v0
	v_readfirstlane_b32 s11, v1
	s_mov_b64 s[16:17], exec
	s_waitcnt vmcnt(1)
	v_readfirstlane_b32 s18, v10
	v_readfirstlane_b32 s19, v11
	s_and_b64 s[18:19], s[10:11], s[18:19]
	s_mul_i32 s15, s19, 24
	s_mul_hi_u32 s20, s18, 24
	s_add_i32 s21, s20, s15
	s_mul_i32 s20, s18, 24
	s_waitcnt vmcnt(0)
	v_lshl_add_u64 v[10:11], v[6:7], 0, s[20:21]
	s_and_saveexec_b64 s[20:21], s[0:1]
	s_cbranch_execz .LBB6_830
; %bb.829:
	v_mov_b64_e32 v[12:13], s[16:17]
	v_mov_b32_e32 v14, 2
	v_mov_b32_e32 v15, 1
	global_store_dwordx4 v[10:11], v[12:15], off offset:8
.LBB6_830:
	s_or_b64 exec, exec, s[20:21]
	s_lshl_b64 s[16:17], s[18:19], 12
	v_lshl_add_u64 v[0:1], v[8:9], 0, s[16:17]
	s_movk_i32 s15, 0xff1d
	s_mov_b32 s16, 0
	v_and_or_b32 v2, v2, s15, 34
	v_mov_b32_e32 v4, 58
	v_readfirstlane_b32 s20, v0
	v_readfirstlane_b32 s21, v1
	s_mov_b32 s17, s16
	s_mov_b32 s18, s16
	;; [unrolled: 1-line block ×3, first 2 shown]
	s_nop 1
	global_store_dwordx4 v28, v[2:5], s[20:21]
	v_mov_b64_e32 v[0:1], s[16:17]
	s_nop 0
	v_mov_b64_e32 v[2:3], s[18:19]
	global_store_dwordx4 v28, v[0:3], s[20:21] offset:16
	global_store_dwordx4 v28, v[0:3], s[20:21] offset:32
	;; [unrolled: 1-line block ×3, first 2 shown]
	s_and_saveexec_b64 s[16:17], s[0:1]
	s_cbranch_execz .LBB6_838
; %bb.831:
	v_mov_b32_e32 v8, 0
	global_load_dwordx2 v[14:15], v8, s[2:3] offset:32 sc0 sc1
	global_load_dwordx2 v[0:1], v8, s[2:3] offset:40
	v_mov_b32_e32 v12, s10
	v_mov_b32_e32 v13, s11
	s_waitcnt vmcnt(0)
	v_readfirstlane_b32 s18, v0
	v_readfirstlane_b32 s19, v1
	s_and_b64 s[18:19], s[18:19], s[10:11]
	s_mul_i32 s15, s19, 24
	s_mul_hi_u32 s19, s18, 24
	s_mul_i32 s18, s18, 24
	s_add_i32 s19, s19, s15
	v_lshl_add_u64 v[4:5], v[6:7], 0, s[18:19]
	global_store_dwordx2 v[4:5], v[14:15], off
	buffer_wbl2 sc0 sc1
	s_waitcnt vmcnt(0)
	global_atomic_cmpswap_x2 v[2:3], v8, v[12:15], s[2:3] offset:32 sc0 sc1
	s_waitcnt vmcnt(0)
	v_cmp_ne_u64_e32 vcc, v[2:3], v[14:15]
	s_and_saveexec_b64 s[18:19], vcc
	s_cbranch_execz .LBB6_834
; %bb.832:
	s_mov_b64 s[20:21], 0
.LBB6_833:                              ; =>This Inner Loop Header: Depth=1
	s_sleep 1
	global_store_dwordx2 v[4:5], v[2:3], off
	v_mov_b32_e32 v0, s10
	v_mov_b32_e32 v1, s11
	buffer_wbl2 sc0 sc1
	s_waitcnt vmcnt(0)
	global_atomic_cmpswap_x2 v[0:1], v8, v[0:3], s[2:3] offset:32 sc0 sc1
	s_waitcnt vmcnt(0)
	v_cmp_eq_u64_e32 vcc, v[0:1], v[2:3]
	s_or_b64 s[20:21], vcc, s[20:21]
	v_mov_b64_e32 v[2:3], v[0:1]
	s_andn2_b64 exec, exec, s[20:21]
	s_cbranch_execnz .LBB6_833
.LBB6_834:
	s_or_b64 exec, exec, s[18:19]
	v_mov_b32_e32 v3, 0
	global_load_dwordx2 v[0:1], v3, s[2:3] offset:16
	s_mov_b64 s[18:19], exec
	v_mbcnt_lo_u32_b32 v2, s18, 0
	v_mbcnt_hi_u32_b32 v2, s19, v2
	v_cmp_eq_u32_e32 vcc, 0, v2
	s_and_saveexec_b64 s[20:21], vcc
	s_cbranch_execz .LBB6_836
; %bb.835:
	s_bcnt1_i32_b64 s15, s[18:19]
	v_mov_b32_e32 v2, s15
	buffer_wbl2 sc0 sc1
	s_waitcnt vmcnt(0)
	global_atomic_add_x2 v[0:1], v[2:3], off offset:8 sc1
.LBB6_836:
	s_or_b64 exec, exec, s[20:21]
	s_waitcnt vmcnt(0)
	global_load_dwordx2 v[2:3], v[0:1], off offset:16
	s_waitcnt vmcnt(0)
	v_cmp_eq_u64_e32 vcc, 0, v[2:3]
	s_cbranch_vccnz .LBB6_838
; %bb.837:
	global_load_dword v0, v[0:1], off offset:24
	v_mov_b32_e32 v1, 0
	buffer_wbl2 sc0 sc1
	s_waitcnt vmcnt(0)
	global_store_dwordx2 v[2:3], v[0:1], off sc0 sc1
	v_and_b32_e32 v0, 0xffffff, v0
	s_nop 0
	v_readfirstlane_b32 m0, v0
	s_sendmsg sendmsg(MSG_INTERRUPT)
.LBB6_838:
	s_or_b64 exec, exec, s[16:17]
	s_branch .LBB6_842
.LBB6_839:                              ;   in Loop: Header=BB6_842 Depth=1
	s_or_b64 exec, exec, s[16:17]
	v_readfirstlane_b32 s15, v0
	s_cmp_eq_u32 s15, 0
	s_cbranch_scc1 .LBB6_841
; %bb.840:                              ;   in Loop: Header=BB6_842 Depth=1
	s_sleep 1
	s_cbranch_execnz .LBB6_842
	s_branch .LBB6_844
.LBB6_841:
	s_branch .LBB6_844
.LBB6_842:                              ; =>This Inner Loop Header: Depth=1
	v_mov_b32_e32 v0, 1
	s_and_saveexec_b64 s[16:17], s[0:1]
	s_cbranch_execz .LBB6_839
; %bb.843:                              ;   in Loop: Header=BB6_842 Depth=1
	global_load_dword v0, v[10:11], off offset:20 sc0 sc1
	s_waitcnt vmcnt(0)
	buffer_inv sc0 sc1
	v_and_b32_e32 v0, 1, v0
	s_branch .LBB6_839
.LBB6_844:
	s_and_saveexec_b64 s[16:17], s[0:1]
	s_cbranch_execz .LBB6_847
; %bb.845:
	v_mov_b32_e32 v6, 0
	global_load_dwordx2 v[4:5], v6, s[2:3] offset:40
	global_load_dwordx2 v[8:9], v6, s[2:3] offset:24 sc0 sc1
	global_load_dwordx2 v[10:11], v6, s[2:3]
	s_mov_b64 s[0:1], 0
	s_waitcnt vmcnt(2)
	v_lshl_add_u64 v[0:1], v[4:5], 0, 1
	v_lshl_add_u64 v[12:13], v[0:1], 0, s[10:11]
	v_cmp_eq_u64_e32 vcc, 0, v[12:13]
	s_waitcnt vmcnt(1)
	v_mov_b32_e32 v2, v8
	v_cndmask_b32_e32 v1, v13, v1, vcc
	v_cndmask_b32_e32 v0, v12, v0, vcc
	v_and_b32_e32 v3, v1, v5
	v_and_b32_e32 v4, v0, v4
	v_mul_lo_u32 v3, v3, 24
	v_mul_hi_u32 v5, v4, 24
	v_mul_lo_u32 v4, v4, 24
	v_add_u32_e32 v5, v5, v3
	s_waitcnt vmcnt(0)
	v_lshl_add_u64 v[4:5], v[10:11], 0, v[4:5]
	global_store_dwordx2 v[4:5], v[8:9], off
	v_mov_b32_e32 v3, v9
	buffer_wbl2 sc0 sc1
	s_waitcnt vmcnt(0)
	global_atomic_cmpswap_x2 v[2:3], v6, v[0:3], s[2:3] offset:24 sc0 sc1
	s_waitcnt vmcnt(0)
	v_cmp_ne_u64_e32 vcc, v[2:3], v[8:9]
	s_and_b64 exec, exec, vcc
	s_cbranch_execz .LBB6_847
.LBB6_846:                              ; =>This Inner Loop Header: Depth=1
	s_sleep 1
	global_store_dwordx2 v[4:5], v[2:3], off
	buffer_wbl2 sc0 sc1
	s_waitcnt vmcnt(0)
	global_atomic_cmpswap_x2 v[8:9], v6, v[0:3], s[2:3] offset:24 sc0 sc1
	s_waitcnt vmcnt(0)
	v_cmp_eq_u64_e32 vcc, v[8:9], v[2:3]
	s_or_b64 s[0:1], vcc, s[0:1]
	v_mov_b64_e32 v[2:3], v[8:9]
	s_andn2_b64 exec, exec, s[0:1]
	s_cbranch_execnz .LBB6_846
.LBB6_847:
	s_or_b64 exec, exec, s[16:17]
	v_readfirstlane_b32 s0, v36
	v_mov_b64_e32 v[4:5], 0
	s_nop 0
	v_cmp_eq_u32_e64 s[0:1], s0, v36
	s_and_saveexec_b64 s[10:11], s[0:1]
	s_cbranch_execz .LBB6_853
; %bb.848:
	v_mov_b32_e32 v0, 0
	global_load_dwordx2 v[6:7], v0, s[2:3] offset:24 sc0 sc1
	s_waitcnt vmcnt(0)
	buffer_inv sc0 sc1
	global_load_dwordx2 v[2:3], v0, s[2:3] offset:40
	global_load_dwordx2 v[4:5], v0, s[2:3]
	s_waitcnt vmcnt(1)
	v_and_b32_e32 v1, v2, v6
	v_and_b32_e32 v2, v3, v7
	v_mul_lo_u32 v2, v2, 24
	v_mul_hi_u32 v3, v1, 24
	v_add_u32_e32 v3, v3, v2
	v_mul_lo_u32 v2, v1, 24
	s_waitcnt vmcnt(0)
	v_lshl_add_u64 v[2:3], v[4:5], 0, v[2:3]
	global_load_dwordx2 v[4:5], v[2:3], off sc0 sc1
	s_waitcnt vmcnt(0)
	global_atomic_cmpswap_x2 v[4:5], v0, v[4:7], s[2:3] offset:24 sc0 sc1
	s_waitcnt vmcnt(0)
	buffer_inv sc0 sc1
	v_cmp_ne_u64_e32 vcc, v[4:5], v[6:7]
	s_and_saveexec_b64 s[16:17], vcc
	s_cbranch_execz .LBB6_852
; %bb.849:
	s_mov_b64 s[18:19], 0
.LBB6_850:                              ; =>This Inner Loop Header: Depth=1
	s_sleep 1
	global_load_dwordx2 v[2:3], v0, s[2:3] offset:40
	global_load_dwordx2 v[8:9], v0, s[2:3]
	v_mov_b64_e32 v[6:7], v[4:5]
	s_waitcnt vmcnt(1)
	v_and_b32_e32 v2, v2, v6
	v_and_b32_e32 v1, v3, v7
	s_waitcnt vmcnt(0)
	v_mad_u64_u32 v[2:3], s[20:21], v2, 24, v[8:9]
	v_mov_b32_e32 v4, v3
	v_mad_u64_u32 v[4:5], s[20:21], v1, 24, v[4:5]
	v_mov_b32_e32 v3, v4
	global_load_dwordx2 v[4:5], v[2:3], off sc0 sc1
	s_waitcnt vmcnt(0)
	global_atomic_cmpswap_x2 v[4:5], v0, v[4:7], s[2:3] offset:24 sc0 sc1
	s_waitcnt vmcnt(0)
	buffer_inv sc0 sc1
	v_cmp_eq_u64_e32 vcc, v[4:5], v[6:7]
	s_or_b64 s[18:19], vcc, s[18:19]
	s_andn2_b64 exec, exec, s[18:19]
	s_cbranch_execnz .LBB6_850
; %bb.851:
	s_or_b64 exec, exec, s[18:19]
.LBB6_852:
	s_or_b64 exec, exec, s[16:17]
.LBB6_853:
	s_or_b64 exec, exec, s[10:11]
	v_mov_b32_e32 v29, 0
	global_load_dwordx2 v[6:7], v29, s[2:3] offset:40
	global_load_dwordx4 v[0:3], v29, s[2:3]
	v_readfirstlane_b32 s10, v4
	v_readfirstlane_b32 s11, v5
	s_mov_b64 s[16:17], exec
	s_waitcnt vmcnt(1)
	v_readfirstlane_b32 s18, v6
	v_readfirstlane_b32 s19, v7
	s_and_b64 s[18:19], s[10:11], s[18:19]
	s_mul_i32 s15, s19, 24
	s_mul_hi_u32 s20, s18, 24
	s_add_i32 s21, s20, s15
	s_mul_i32 s20, s18, 24
	s_waitcnt vmcnt(0)
	v_lshl_add_u64 v[4:5], v[0:1], 0, s[20:21]
	s_and_saveexec_b64 s[20:21], s[0:1]
	s_cbranch_execz .LBB6_855
; %bb.854:
	v_mov_b64_e32 v[6:7], s[16:17]
	v_mov_b32_e32 v8, 2
	v_mov_b32_e32 v9, 1
	global_store_dwordx4 v[4:5], v[6:9], off offset:8
.LBB6_855:
	s_or_b64 exec, exec, s[20:21]
	s_lshl_b64 s[16:17], s[18:19], 12
	v_lshl_add_u64 v[6:7], v[2:3], 0, s[16:17]
	s_mov_b32 s16, 0
	v_mov_b32_e32 v8, 33
	v_mov_b32_e32 v9, v29
	v_mov_b32_e32 v10, v29
	v_mov_b32_e32 v11, v29
	v_readfirstlane_b32 s20, v6
	v_readfirstlane_b32 s21, v7
	s_mov_b32 s17, s16
	s_mov_b32 s18, s16
	;; [unrolled: 1-line block ×3, first 2 shown]
	s_nop 1
	global_store_dwordx4 v28, v[8:11], s[20:21]
	s_nop 1
	v_mov_b64_e32 v[8:9], s[16:17]
	v_mov_b64_e32 v[10:11], s[18:19]
	global_store_dwordx4 v28, v[8:11], s[20:21] offset:16
	global_store_dwordx4 v28, v[8:11], s[20:21] offset:32
	;; [unrolled: 1-line block ×3, first 2 shown]
	s_and_saveexec_b64 s[16:17], s[0:1]
	s_cbranch_execz .LBB6_863
; %bb.856:
	v_mov_b32_e32 v10, 0
	global_load_dwordx2 v[14:15], v10, s[2:3] offset:32 sc0 sc1
	global_load_dwordx2 v[2:3], v10, s[2:3] offset:40
	v_mov_b32_e32 v12, s10
	v_mov_b32_e32 v13, s11
	s_waitcnt vmcnt(0)
	v_readfirstlane_b32 s18, v2
	v_readfirstlane_b32 s19, v3
	s_and_b64 s[18:19], s[18:19], s[10:11]
	s_mul_i32 s15, s19, 24
	s_mul_hi_u32 s19, s18, 24
	s_mul_i32 s18, s18, 24
	s_add_i32 s19, s19, s15
	v_lshl_add_u64 v[8:9], v[0:1], 0, s[18:19]
	global_store_dwordx2 v[8:9], v[14:15], off
	buffer_wbl2 sc0 sc1
	s_waitcnt vmcnt(0)
	global_atomic_cmpswap_x2 v[2:3], v10, v[12:15], s[2:3] offset:32 sc0 sc1
	s_waitcnt vmcnt(0)
	v_cmp_ne_u64_e32 vcc, v[2:3], v[14:15]
	s_and_saveexec_b64 s[18:19], vcc
	s_cbranch_execz .LBB6_859
; %bb.857:
	s_mov_b64 s[20:21], 0
.LBB6_858:                              ; =>This Inner Loop Header: Depth=1
	s_sleep 1
	global_store_dwordx2 v[8:9], v[2:3], off
	v_mov_b32_e32 v0, s10
	v_mov_b32_e32 v1, s11
	buffer_wbl2 sc0 sc1
	s_waitcnt vmcnt(0)
	global_atomic_cmpswap_x2 v[0:1], v10, v[0:3], s[2:3] offset:32 sc0 sc1
	s_waitcnt vmcnt(0)
	v_cmp_eq_u64_e32 vcc, v[0:1], v[2:3]
	s_or_b64 s[20:21], vcc, s[20:21]
	v_mov_b64_e32 v[2:3], v[0:1]
	s_andn2_b64 exec, exec, s[20:21]
	s_cbranch_execnz .LBB6_858
.LBB6_859:
	s_or_b64 exec, exec, s[18:19]
	v_mov_b32_e32 v3, 0
	global_load_dwordx2 v[0:1], v3, s[2:3] offset:16
	s_mov_b64 s[18:19], exec
	v_mbcnt_lo_u32_b32 v2, s18, 0
	v_mbcnt_hi_u32_b32 v2, s19, v2
	v_cmp_eq_u32_e32 vcc, 0, v2
	s_and_saveexec_b64 s[20:21], vcc
	s_cbranch_execz .LBB6_861
; %bb.860:
	s_bcnt1_i32_b64 s15, s[18:19]
	v_mov_b32_e32 v2, s15
	buffer_wbl2 sc0 sc1
	s_waitcnt vmcnt(0)
	global_atomic_add_x2 v[0:1], v[2:3], off offset:8 sc1
.LBB6_861:
	s_or_b64 exec, exec, s[20:21]
	s_waitcnt vmcnt(0)
	global_load_dwordx2 v[2:3], v[0:1], off offset:16
	s_waitcnt vmcnt(0)
	v_cmp_eq_u64_e32 vcc, 0, v[2:3]
	s_cbranch_vccnz .LBB6_863
; %bb.862:
	global_load_dword v0, v[0:1], off offset:24
	v_mov_b32_e32 v1, 0
	buffer_wbl2 sc0 sc1
	s_waitcnt vmcnt(0)
	global_store_dwordx2 v[2:3], v[0:1], off sc0 sc1
	v_and_b32_e32 v0, 0xffffff, v0
	s_nop 0
	v_readfirstlane_b32 m0, v0
	s_sendmsg sendmsg(MSG_INTERRUPT)
.LBB6_863:
	s_or_b64 exec, exec, s[16:17]
	v_lshl_add_u64 v[0:1], v[6:7], 0, v[28:29]
	s_branch .LBB6_867
.LBB6_864:                              ;   in Loop: Header=BB6_867 Depth=1
	s_or_b64 exec, exec, s[16:17]
	v_readfirstlane_b32 s15, v2
	s_cmp_eq_u32 s15, 0
	s_cbranch_scc1 .LBB6_866
; %bb.865:                              ;   in Loop: Header=BB6_867 Depth=1
	s_sleep 1
	s_cbranch_execnz .LBB6_867
	s_branch .LBB6_869
.LBB6_866:
	s_branch .LBB6_869
.LBB6_867:                              ; =>This Inner Loop Header: Depth=1
	v_mov_b32_e32 v2, 1
	s_and_saveexec_b64 s[16:17], s[0:1]
	s_cbranch_execz .LBB6_864
; %bb.868:                              ;   in Loop: Header=BB6_867 Depth=1
	global_load_dword v2, v[4:5], off offset:20 sc0 sc1
	s_waitcnt vmcnt(0)
	buffer_inv sc0 sc1
	v_and_b32_e32 v2, 1, v2
	s_branch .LBB6_864
.LBB6_869:
	global_load_dwordx2 v[0:1], v[0:1], off
	s_and_saveexec_b64 s[16:17], s[0:1]
	s_cbranch_execz .LBB6_872
; %bb.870:
	v_mov_b32_e32 v8, 0
	global_load_dwordx2 v[6:7], v8, s[2:3] offset:40
	global_load_dwordx2 v[10:11], v8, s[2:3] offset:24 sc0 sc1
	global_load_dwordx2 v[12:13], v8, s[2:3]
	s_mov_b64 s[0:1], 0
	s_waitcnt vmcnt(2)
	v_lshl_add_u64 v[2:3], v[6:7], 0, 1
	v_lshl_add_u64 v[14:15], v[2:3], 0, s[10:11]
	v_cmp_eq_u64_e32 vcc, 0, v[14:15]
	s_waitcnt vmcnt(1)
	v_mov_b32_e32 v4, v10
	v_cndmask_b32_e32 v3, v15, v3, vcc
	v_cndmask_b32_e32 v2, v14, v2, vcc
	v_and_b32_e32 v5, v3, v7
	v_and_b32_e32 v6, v2, v6
	v_mul_lo_u32 v5, v5, 24
	v_mul_hi_u32 v7, v6, 24
	v_mul_lo_u32 v6, v6, 24
	v_add_u32_e32 v7, v7, v5
	s_waitcnt vmcnt(0)
	v_lshl_add_u64 v[6:7], v[12:13], 0, v[6:7]
	global_store_dwordx2 v[6:7], v[10:11], off
	v_mov_b32_e32 v5, v11
	buffer_wbl2 sc0 sc1
	s_waitcnt vmcnt(0)
	global_atomic_cmpswap_x2 v[4:5], v8, v[2:5], s[2:3] offset:24 sc0 sc1
	s_waitcnt vmcnt(0)
	v_cmp_ne_u64_e32 vcc, v[4:5], v[10:11]
	s_and_b64 exec, exec, vcc
	s_cbranch_execz .LBB6_872
.LBB6_871:                              ; =>This Inner Loop Header: Depth=1
	s_sleep 1
	global_store_dwordx2 v[6:7], v[4:5], off
	buffer_wbl2 sc0 sc1
	s_waitcnt vmcnt(0)
	global_atomic_cmpswap_x2 v[10:11], v8, v[2:5], s[2:3] offset:24 sc0 sc1
	s_waitcnt vmcnt(0)
	v_cmp_eq_u64_e32 vcc, v[10:11], v[4:5]
	s_or_b64 s[0:1], vcc, s[0:1]
	v_mov_b64_e32 v[4:5], v[10:11]
	s_andn2_b64 exec, exec, s[0:1]
	s_cbranch_execnz .LBB6_871
.LBB6_872:
	s_or_b64 exec, exec, s[16:17]
	s_getpc_b64 s[10:11]
	s_add_u32 s10, s10, .str.7@rel32@lo+4
	s_addc_u32 s11, s11, .str.7@rel32@hi+12
	s_cmp_lg_u64 s[10:11], 0
	s_cbranch_scc0 .LBB6_957
; %bb.873:
	s_waitcnt vmcnt(0)
	v_and_b32_e32 v30, 2, v0
	v_mov_b32_e32 v33, 0
	v_and_b32_e32 v2, -3, v0
	v_mov_b32_e32 v3, v1
	s_mov_b64 s[16:17], 4
	v_mov_b32_e32 v6, 2
	v_mov_b32_e32 v7, 1
	s_branch .LBB6_875
.LBB6_874:                              ;   in Loop: Header=BB6_875 Depth=1
	s_or_b64 exec, exec, s[22:23]
	s_sub_u32 s16, s16, s18
	s_subb_u32 s17, s17, s19
	s_add_u32 s10, s10, s18
	s_addc_u32 s11, s11, s19
	s_cmp_lg_u64 s[16:17], 0
	s_cbranch_scc0 .LBB6_956
.LBB6_875:                              ; =>This Loop Header: Depth=1
                                        ;     Child Loop BB6_878 Depth 2
                                        ;     Child Loop BB6_885 Depth 2
	;; [unrolled: 1-line block ×11, first 2 shown]
	v_cmp_lt_u64_e64 s[0:1], s[16:17], 56
	s_and_b64 s[0:1], s[0:1], exec
	v_cmp_gt_u64_e64 s[0:1], s[16:17], 7
	s_cselect_b32 s19, s17, 0
	s_cselect_b32 s18, s16, 56
	s_and_b64 vcc, exec, s[0:1]
	s_cbranch_vccnz .LBB6_880
; %bb.876:                              ;   in Loop: Header=BB6_875 Depth=1
	s_mov_b64 s[0:1], 0
	s_cmp_eq_u64 s[16:17], 0
	v_mov_b64_e32 v[10:11], 0
	s_cbranch_scc1 .LBB6_879
; %bb.877:                              ;   in Loop: Header=BB6_875 Depth=1
	s_lshl_b64 s[20:21], s[18:19], 3
	s_mov_b64 s[22:23], 0
	v_mov_b64_e32 v[10:11], 0
	s_mov_b64 s[24:25], s[10:11]
.LBB6_878:                              ;   Parent Loop BB6_875 Depth=1
                                        ; =>  This Inner Loop Header: Depth=2
	global_load_ubyte v4, v33, s[24:25]
	s_waitcnt vmcnt(0)
	v_and_b32_e32 v32, 0xffff, v4
	v_lshlrev_b64 v[4:5], s22, v[32:33]
	s_add_u32 s22, s22, 8
	s_addc_u32 s23, s23, 0
	s_add_u32 s24, s24, 1
	s_addc_u32 s25, s25, 0
	v_or_b32_e32 v10, v4, v10
	s_cmp_lg_u32 s20, s22
	v_or_b32_e32 v11, v5, v11
	s_cbranch_scc1 .LBB6_878
.LBB6_879:                              ;   in Loop: Header=BB6_875 Depth=1
	s_mov_b32 s15, 0
	s_andn2_b64 vcc, exec, s[0:1]
	s_mov_b64 s[0:1], s[10:11]
	s_cbranch_vccz .LBB6_881
	s_branch .LBB6_882
.LBB6_880:                              ;   in Loop: Header=BB6_875 Depth=1
                                        ; implicit-def: $vgpr10_vgpr11
                                        ; implicit-def: $sgpr15
	s_mov_b64 s[0:1], s[10:11]
.LBB6_881:                              ;   in Loop: Header=BB6_875 Depth=1
	global_load_dwordx2 v[10:11], v33, s[10:11]
	s_add_i32 s15, s18, -8
	s_add_u32 s0, s10, 8
	s_addc_u32 s1, s11, 0
.LBB6_882:                              ;   in Loop: Header=BB6_875 Depth=1
	s_cmp_gt_u32 s15, 7
	s_cbranch_scc1 .LBB6_886
; %bb.883:                              ;   in Loop: Header=BB6_875 Depth=1
	s_cmp_eq_u32 s15, 0
	s_cbranch_scc1 .LBB6_887
; %bb.884:                              ;   in Loop: Header=BB6_875 Depth=1
	s_mov_b64 s[20:21], 0
	v_mov_b64_e32 v[12:13], 0
	s_mov_b64 s[22:23], 0
.LBB6_885:                              ;   Parent Loop BB6_875 Depth=1
                                        ; =>  This Inner Loop Header: Depth=2
	s_add_u32 s24, s0, s22
	s_addc_u32 s25, s1, s23
	global_load_ubyte v4, v33, s[24:25]
	s_add_u32 s22, s22, 1
	s_addc_u32 s23, s23, 0
	s_waitcnt vmcnt(0)
	v_and_b32_e32 v32, 0xffff, v4
	v_lshlrev_b64 v[4:5], s20, v[32:33]
	s_add_u32 s20, s20, 8
	s_addc_u32 s21, s21, 0
	v_or_b32_e32 v12, v4, v12
	s_cmp_lg_u32 s15, s22
	v_or_b32_e32 v13, v5, v13
	s_cbranch_scc1 .LBB6_885
	s_branch .LBB6_888
.LBB6_886:                              ;   in Loop: Header=BB6_875 Depth=1
                                        ; implicit-def: $vgpr12_vgpr13
                                        ; implicit-def: $sgpr24
	s_branch .LBB6_889
.LBB6_887:                              ;   in Loop: Header=BB6_875 Depth=1
	v_mov_b64_e32 v[12:13], 0
.LBB6_888:                              ;   in Loop: Header=BB6_875 Depth=1
	s_mov_b32 s24, 0
	s_cbranch_execnz .LBB6_890
.LBB6_889:                              ;   in Loop: Header=BB6_875 Depth=1
	global_load_dwordx2 v[12:13], v33, s[0:1]
	s_add_i32 s24, s15, -8
	s_add_u32 s0, s0, 8
	s_addc_u32 s1, s1, 0
.LBB6_890:                              ;   in Loop: Header=BB6_875 Depth=1
	s_cmp_gt_u32 s24, 7
	s_cbranch_scc1 .LBB6_894
; %bb.891:                              ;   in Loop: Header=BB6_875 Depth=1
	s_cmp_eq_u32 s24, 0
	s_cbranch_scc1 .LBB6_895
; %bb.892:                              ;   in Loop: Header=BB6_875 Depth=1
	s_mov_b64 s[20:21], 0
	v_mov_b64_e32 v[14:15], 0
	s_mov_b64 s[22:23], 0
.LBB6_893:                              ;   Parent Loop BB6_875 Depth=1
                                        ; =>  This Inner Loop Header: Depth=2
	s_add_u32 s26, s0, s22
	s_addc_u32 s27, s1, s23
	global_load_ubyte v4, v33, s[26:27]
	s_add_u32 s22, s22, 1
	s_addc_u32 s23, s23, 0
	s_waitcnt vmcnt(0)
	v_and_b32_e32 v32, 0xffff, v4
	v_lshlrev_b64 v[4:5], s20, v[32:33]
	s_add_u32 s20, s20, 8
	s_addc_u32 s21, s21, 0
	v_or_b32_e32 v14, v4, v14
	s_cmp_lg_u32 s24, s22
	v_or_b32_e32 v15, v5, v15
	s_cbranch_scc1 .LBB6_893
	s_branch .LBB6_896
.LBB6_894:                              ;   in Loop: Header=BB6_875 Depth=1
                                        ; implicit-def: $sgpr15
	s_branch .LBB6_897
.LBB6_895:                              ;   in Loop: Header=BB6_875 Depth=1
	v_mov_b64_e32 v[14:15], 0
.LBB6_896:                              ;   in Loop: Header=BB6_875 Depth=1
	s_mov_b32 s15, 0
	s_cbranch_execnz .LBB6_898
.LBB6_897:                              ;   in Loop: Header=BB6_875 Depth=1
	global_load_dwordx2 v[14:15], v33, s[0:1]
	s_add_i32 s15, s24, -8
	s_add_u32 s0, s0, 8
	s_addc_u32 s1, s1, 0
.LBB6_898:                              ;   in Loop: Header=BB6_875 Depth=1
	s_cmp_gt_u32 s15, 7
	s_cbranch_scc1 .LBB6_902
; %bb.899:                              ;   in Loop: Header=BB6_875 Depth=1
	s_cmp_eq_u32 s15, 0
	s_cbranch_scc1 .LBB6_903
; %bb.900:                              ;   in Loop: Header=BB6_875 Depth=1
	s_mov_b64 s[20:21], 0
	v_mov_b64_e32 v[16:17], 0
	s_mov_b64 s[22:23], 0
.LBB6_901:                              ;   Parent Loop BB6_875 Depth=1
                                        ; =>  This Inner Loop Header: Depth=2
	s_add_u32 s24, s0, s22
	s_addc_u32 s25, s1, s23
	global_load_ubyte v4, v33, s[24:25]
	s_add_u32 s22, s22, 1
	s_addc_u32 s23, s23, 0
	s_waitcnt vmcnt(0)
	v_and_b32_e32 v32, 0xffff, v4
	v_lshlrev_b64 v[4:5], s20, v[32:33]
	s_add_u32 s20, s20, 8
	s_addc_u32 s21, s21, 0
	v_or_b32_e32 v16, v4, v16
	s_cmp_lg_u32 s15, s22
	v_or_b32_e32 v17, v5, v17
	s_cbranch_scc1 .LBB6_901
	s_branch .LBB6_904
.LBB6_902:                              ;   in Loop: Header=BB6_875 Depth=1
                                        ; implicit-def: $vgpr16_vgpr17
                                        ; implicit-def: $sgpr24
	s_branch .LBB6_905
.LBB6_903:                              ;   in Loop: Header=BB6_875 Depth=1
	v_mov_b64_e32 v[16:17], 0
.LBB6_904:                              ;   in Loop: Header=BB6_875 Depth=1
	s_mov_b32 s24, 0
	s_cbranch_execnz .LBB6_906
.LBB6_905:                              ;   in Loop: Header=BB6_875 Depth=1
	global_load_dwordx2 v[16:17], v33, s[0:1]
	s_add_i32 s24, s15, -8
	s_add_u32 s0, s0, 8
	s_addc_u32 s1, s1, 0
.LBB6_906:                              ;   in Loop: Header=BB6_875 Depth=1
	s_cmp_gt_u32 s24, 7
	s_cbranch_scc1 .LBB6_910
; %bb.907:                              ;   in Loop: Header=BB6_875 Depth=1
	s_cmp_eq_u32 s24, 0
	s_cbranch_scc1 .LBB6_911
; %bb.908:                              ;   in Loop: Header=BB6_875 Depth=1
	s_mov_b64 s[20:21], 0
	v_mov_b64_e32 v[18:19], 0
	s_mov_b64 s[22:23], 0
.LBB6_909:                              ;   Parent Loop BB6_875 Depth=1
                                        ; =>  This Inner Loop Header: Depth=2
	s_add_u32 s26, s0, s22
	s_addc_u32 s27, s1, s23
	global_load_ubyte v4, v33, s[26:27]
	s_add_u32 s22, s22, 1
	s_addc_u32 s23, s23, 0
	s_waitcnt vmcnt(0)
	v_and_b32_e32 v32, 0xffff, v4
	v_lshlrev_b64 v[4:5], s20, v[32:33]
	s_add_u32 s20, s20, 8
	s_addc_u32 s21, s21, 0
	v_or_b32_e32 v18, v4, v18
	s_cmp_lg_u32 s24, s22
	v_or_b32_e32 v19, v5, v19
	s_cbranch_scc1 .LBB6_909
	s_branch .LBB6_912
.LBB6_910:                              ;   in Loop: Header=BB6_875 Depth=1
                                        ; implicit-def: $sgpr15
	s_branch .LBB6_913
.LBB6_911:                              ;   in Loop: Header=BB6_875 Depth=1
	v_mov_b64_e32 v[18:19], 0
.LBB6_912:                              ;   in Loop: Header=BB6_875 Depth=1
	s_mov_b32 s15, 0
	s_cbranch_execnz .LBB6_914
.LBB6_913:                              ;   in Loop: Header=BB6_875 Depth=1
	global_load_dwordx2 v[18:19], v33, s[0:1]
	s_add_i32 s15, s24, -8
	s_add_u32 s0, s0, 8
	s_addc_u32 s1, s1, 0
.LBB6_914:                              ;   in Loop: Header=BB6_875 Depth=1
	s_cmp_gt_u32 s15, 7
	s_cbranch_scc1 .LBB6_918
; %bb.915:                              ;   in Loop: Header=BB6_875 Depth=1
	s_cmp_eq_u32 s15, 0
	s_cbranch_scc1 .LBB6_919
; %bb.916:                              ;   in Loop: Header=BB6_875 Depth=1
	s_mov_b64 s[20:21], 0
	v_mov_b64_e32 v[20:21], 0
	s_mov_b64 s[22:23], 0
.LBB6_917:                              ;   Parent Loop BB6_875 Depth=1
                                        ; =>  This Inner Loop Header: Depth=2
	s_add_u32 s24, s0, s22
	s_addc_u32 s25, s1, s23
	global_load_ubyte v4, v33, s[24:25]
	s_add_u32 s22, s22, 1
	s_addc_u32 s23, s23, 0
	s_waitcnt vmcnt(0)
	v_and_b32_e32 v32, 0xffff, v4
	v_lshlrev_b64 v[4:5], s20, v[32:33]
	s_add_u32 s20, s20, 8
	s_addc_u32 s21, s21, 0
	v_or_b32_e32 v20, v4, v20
	s_cmp_lg_u32 s15, s22
	v_or_b32_e32 v21, v5, v21
	s_cbranch_scc1 .LBB6_917
	s_branch .LBB6_920
.LBB6_918:                              ;   in Loop: Header=BB6_875 Depth=1
                                        ; implicit-def: $vgpr20_vgpr21
                                        ; implicit-def: $sgpr24
	s_branch .LBB6_921
.LBB6_919:                              ;   in Loop: Header=BB6_875 Depth=1
	v_mov_b64_e32 v[20:21], 0
.LBB6_920:                              ;   in Loop: Header=BB6_875 Depth=1
	s_mov_b32 s24, 0
	s_cbranch_execnz .LBB6_922
.LBB6_921:                              ;   in Loop: Header=BB6_875 Depth=1
	global_load_dwordx2 v[20:21], v33, s[0:1]
	s_add_i32 s24, s15, -8
	s_add_u32 s0, s0, 8
	s_addc_u32 s1, s1, 0
.LBB6_922:                              ;   in Loop: Header=BB6_875 Depth=1
	s_cmp_gt_u32 s24, 7
	s_cbranch_scc1 .LBB6_926
; %bb.923:                              ;   in Loop: Header=BB6_875 Depth=1
	s_cmp_eq_u32 s24, 0
	s_cbranch_scc1 .LBB6_927
; %bb.924:                              ;   in Loop: Header=BB6_875 Depth=1
	s_mov_b64 s[20:21], 0
	v_mov_b64_e32 v[22:23], 0
	s_mov_b64 s[22:23], s[0:1]
.LBB6_925:                              ;   Parent Loop BB6_875 Depth=1
                                        ; =>  This Inner Loop Header: Depth=2
	global_load_ubyte v4, v33, s[22:23]
	s_add_i32 s24, s24, -1
	s_waitcnt vmcnt(0)
	v_and_b32_e32 v32, 0xffff, v4
	v_lshlrev_b64 v[4:5], s20, v[32:33]
	s_add_u32 s20, s20, 8
	s_addc_u32 s21, s21, 0
	s_add_u32 s22, s22, 1
	s_addc_u32 s23, s23, 0
	v_or_b32_e32 v22, v4, v22
	s_cmp_lg_u32 s24, 0
	v_or_b32_e32 v23, v5, v23
	s_cbranch_scc1 .LBB6_925
	s_branch .LBB6_928
.LBB6_926:                              ;   in Loop: Header=BB6_875 Depth=1
	s_branch .LBB6_929
.LBB6_927:                              ;   in Loop: Header=BB6_875 Depth=1
	v_mov_b64_e32 v[22:23], 0
.LBB6_928:                              ;   in Loop: Header=BB6_875 Depth=1
	s_cbranch_execnz .LBB6_930
.LBB6_929:                              ;   in Loop: Header=BB6_875 Depth=1
	global_load_dwordx2 v[22:23], v33, s[0:1]
.LBB6_930:                              ;   in Loop: Header=BB6_875 Depth=1
	v_readfirstlane_b32 s0, v36
	s_waitcnt vmcnt(0)
	v_mov_b64_e32 v[4:5], 0
	v_cmp_eq_u32_e64 s[0:1], s0, v36
	s_and_saveexec_b64 s[20:21], s[0:1]
	s_cbranch_execz .LBB6_936
; %bb.931:                              ;   in Loop: Header=BB6_875 Depth=1
	global_load_dwordx2 v[26:27], v33, s[2:3] offset:24 sc0 sc1
	s_waitcnt vmcnt(0)
	buffer_inv sc0 sc1
	global_load_dwordx2 v[4:5], v33, s[2:3] offset:40
	global_load_dwordx2 v[8:9], v33, s[2:3]
	s_waitcnt vmcnt(1)
	v_and_b32_e32 v4, v4, v26
	v_and_b32_e32 v5, v5, v27
	v_mul_lo_u32 v5, v5, 24
	v_mul_hi_u32 v24, v4, 24
	v_add_u32_e32 v5, v24, v5
	v_mul_lo_u32 v4, v4, 24
	s_waitcnt vmcnt(0)
	v_lshl_add_u64 v[4:5], v[8:9], 0, v[4:5]
	global_load_dwordx2 v[24:25], v[4:5], off sc0 sc1
	s_waitcnt vmcnt(0)
	global_atomic_cmpswap_x2 v[4:5], v33, v[24:27], s[2:3] offset:24 sc0 sc1
	s_waitcnt vmcnt(0)
	buffer_inv sc0 sc1
	v_cmp_ne_u64_e32 vcc, v[4:5], v[26:27]
	s_and_saveexec_b64 s[22:23], vcc
	s_cbranch_execz .LBB6_935
; %bb.932:                              ;   in Loop: Header=BB6_875 Depth=1
	s_mov_b64 s[24:25], 0
.LBB6_933:                              ;   Parent Loop BB6_875 Depth=1
                                        ; =>  This Inner Loop Header: Depth=2
	s_sleep 1
	global_load_dwordx2 v[8:9], v33, s[2:3] offset:40
	global_load_dwordx2 v[24:25], v33, s[2:3]
	v_mov_b64_e32 v[26:27], v[4:5]
	s_waitcnt vmcnt(1)
	v_and_b32_e32 v4, v8, v26
	s_waitcnt vmcnt(0)
	v_mad_u64_u32 v[4:5], s[26:27], v4, 24, v[24:25]
	v_and_b32_e32 v9, v9, v27
	v_mov_b32_e32 v8, v5
	v_mad_u64_u32 v[8:9], s[26:27], v9, 24, v[8:9]
	v_mov_b32_e32 v5, v8
	global_load_dwordx2 v[24:25], v[4:5], off sc0 sc1
	s_waitcnt vmcnt(0)
	global_atomic_cmpswap_x2 v[4:5], v33, v[24:27], s[2:3] offset:24 sc0 sc1
	s_waitcnt vmcnt(0)
	buffer_inv sc0 sc1
	v_cmp_eq_u64_e32 vcc, v[4:5], v[26:27]
	s_or_b64 s[24:25], vcc, s[24:25]
	s_andn2_b64 exec, exec, s[24:25]
	s_cbranch_execnz .LBB6_933
; %bb.934:                              ;   in Loop: Header=BB6_875 Depth=1
	s_or_b64 exec, exec, s[24:25]
.LBB6_935:                              ;   in Loop: Header=BB6_875 Depth=1
	s_or_b64 exec, exec, s[22:23]
.LBB6_936:                              ;   in Loop: Header=BB6_875 Depth=1
	s_or_b64 exec, exec, s[20:21]
	global_load_dwordx2 v[8:9], v33, s[2:3] offset:40
	global_load_dwordx4 v[24:27], v33, s[2:3]
	v_readfirstlane_b32 s20, v4
	v_readfirstlane_b32 s21, v5
	s_mov_b64 s[22:23], exec
	s_waitcnt vmcnt(1)
	v_readfirstlane_b32 s24, v8
	v_readfirstlane_b32 s25, v9
	s_and_b64 s[24:25], s[20:21], s[24:25]
	s_mul_i32 s15, s25, 24
	s_mul_hi_u32 s26, s24, 24
	s_add_i32 s27, s26, s15
	s_mul_i32 s26, s24, 24
	s_waitcnt vmcnt(0)
	v_lshl_add_u64 v[34:35], v[24:25], 0, s[26:27]
	s_and_saveexec_b64 s[26:27], s[0:1]
	s_cbranch_execz .LBB6_938
; %bb.937:                              ;   in Loop: Header=BB6_875 Depth=1
	v_mov_b64_e32 v[4:5], s[22:23]
	global_store_dwordx4 v[34:35], v[4:7], off offset:8
.LBB6_938:                              ;   in Loop: Header=BB6_875 Depth=1
	s_or_b64 exec, exec, s[26:27]
	s_nop 0
	v_or_b32_e32 v5, v2, v30
	v_cmp_gt_u64_e64 vcc, s[16:17], 56
	s_lshl_b32 s15, s18, 2
	s_lshl_b64 s[22:23], s[24:25], 12
	v_cndmask_b32_e32 v2, v5, v2, vcc
	s_add_i32 s15, s15, 28
	v_lshl_add_u64 v[26:27], v[26:27], 0, s[22:23]
	v_or_b32_e32 v4, 0, v3
	s_and_b32 s15, s15, 0x1e0
	v_and_b32_e32 v2, 0xffffff1f, v2
	v_cndmask_b32_e32 v9, v4, v3, vcc
	v_or_b32_e32 v8, s15, v2
	v_readfirstlane_b32 s22, v26
	v_readfirstlane_b32 s23, v27
	s_nop 4
	global_store_dwordx4 v28, v[8:11], s[22:23]
	global_store_dwordx4 v28, v[12:15], s[22:23] offset:16
	global_store_dwordx4 v28, v[16:19], s[22:23] offset:32
	;; [unrolled: 1-line block ×3, first 2 shown]
	s_and_saveexec_b64 s[22:23], s[0:1]
	s_cbranch_execz .LBB6_946
; %bb.939:                              ;   in Loop: Header=BB6_875 Depth=1
	global_load_dwordx2 v[12:13], v33, s[2:3] offset:32 sc0 sc1
	global_load_dwordx2 v[2:3], v33, s[2:3] offset:40
	v_mov_b32_e32 v10, s20
	v_mov_b32_e32 v11, s21
	s_waitcnt vmcnt(0)
	v_readfirstlane_b32 s24, v2
	v_readfirstlane_b32 s25, v3
	s_and_b64 s[24:25], s[24:25], s[20:21]
	s_mul_i32 s15, s25, 24
	s_mul_hi_u32 s25, s24, 24
	s_mul_i32 s24, s24, 24
	s_add_i32 s25, s25, s15
	v_lshl_add_u64 v[8:9], v[24:25], 0, s[24:25]
	global_store_dwordx2 v[8:9], v[12:13], off
	buffer_wbl2 sc0 sc1
	s_waitcnt vmcnt(0)
	global_atomic_cmpswap_x2 v[4:5], v33, v[10:13], s[2:3] offset:32 sc0 sc1
	s_waitcnt vmcnt(0)
	v_cmp_ne_u64_e32 vcc, v[4:5], v[12:13]
	s_and_saveexec_b64 s[24:25], vcc
	s_cbranch_execz .LBB6_942
; %bb.940:                              ;   in Loop: Header=BB6_875 Depth=1
	s_mov_b64 s[26:27], 0
.LBB6_941:                              ;   Parent Loop BB6_875 Depth=1
                                        ; =>  This Inner Loop Header: Depth=2
	s_sleep 1
	global_store_dwordx2 v[8:9], v[4:5], off
	v_mov_b32_e32 v2, s20
	v_mov_b32_e32 v3, s21
	buffer_wbl2 sc0 sc1
	s_waitcnt vmcnt(0)
	global_atomic_cmpswap_x2 v[2:3], v33, v[2:5], s[2:3] offset:32 sc0 sc1
	s_waitcnt vmcnt(0)
	v_cmp_eq_u64_e32 vcc, v[2:3], v[4:5]
	s_or_b64 s[26:27], vcc, s[26:27]
	v_mov_b64_e32 v[4:5], v[2:3]
	s_andn2_b64 exec, exec, s[26:27]
	s_cbranch_execnz .LBB6_941
.LBB6_942:                              ;   in Loop: Header=BB6_875 Depth=1
	s_or_b64 exec, exec, s[24:25]
	global_load_dwordx2 v[2:3], v33, s[2:3] offset:16
	s_mov_b64 s[26:27], exec
	v_mbcnt_lo_u32_b32 v4, s26, 0
	v_mbcnt_hi_u32_b32 v4, s27, v4
	v_cmp_eq_u32_e32 vcc, 0, v4
	s_and_saveexec_b64 s[24:25], vcc
	s_cbranch_execz .LBB6_944
; %bb.943:                              ;   in Loop: Header=BB6_875 Depth=1
	s_bcnt1_i32_b64 s15, s[26:27]
	v_mov_b32_e32 v32, s15
	buffer_wbl2 sc0 sc1
	s_waitcnt vmcnt(0)
	global_atomic_add_x2 v[2:3], v[32:33], off offset:8 sc1
.LBB6_944:                              ;   in Loop: Header=BB6_875 Depth=1
	s_or_b64 exec, exec, s[24:25]
	s_waitcnt vmcnt(0)
	global_load_dwordx2 v[4:5], v[2:3], off offset:16
	s_waitcnt vmcnt(0)
	v_cmp_eq_u64_e32 vcc, 0, v[4:5]
	s_cbranch_vccnz .LBB6_946
; %bb.945:                              ;   in Loop: Header=BB6_875 Depth=1
	global_load_dword v32, v[2:3], off offset:24
	s_waitcnt vmcnt(0)
	v_and_b32_e32 v2, 0xffffff, v32
	s_nop 0
	v_readfirstlane_b32 m0, v2
	buffer_wbl2 sc0 sc1
	global_store_dwordx2 v[4:5], v[32:33], off sc0 sc1
	s_sendmsg sendmsg(MSG_INTERRUPT)
.LBB6_946:                              ;   in Loop: Header=BB6_875 Depth=1
	s_or_b64 exec, exec, s[22:23]
	v_mov_b32_e32 v29, v33
	v_lshl_add_u64 v[2:3], v[26:27], 0, v[28:29]
	s_branch .LBB6_950
.LBB6_947:                              ;   in Loop: Header=BB6_950 Depth=2
	s_or_b64 exec, exec, s[22:23]
	v_readfirstlane_b32 s15, v4
	s_cmp_eq_u32 s15, 0
	s_cbranch_scc1 .LBB6_949
; %bb.948:                              ;   in Loop: Header=BB6_950 Depth=2
	s_sleep 1
	s_cbranch_execnz .LBB6_950
	s_branch .LBB6_952
.LBB6_949:                              ;   in Loop: Header=BB6_875 Depth=1
	s_branch .LBB6_952
.LBB6_950:                              ;   Parent Loop BB6_875 Depth=1
                                        ; =>  This Inner Loop Header: Depth=2
	v_mov_b32_e32 v4, 1
	s_and_saveexec_b64 s[22:23], s[0:1]
	s_cbranch_execz .LBB6_947
; %bb.951:                              ;   in Loop: Header=BB6_950 Depth=2
	global_load_dword v4, v[34:35], off offset:20 sc0 sc1
	s_waitcnt vmcnt(0)
	buffer_inv sc0 sc1
	v_and_b32_e32 v4, 1, v4
	s_branch .LBB6_947
.LBB6_952:                              ;   in Loop: Header=BB6_875 Depth=1
	global_load_dwordx4 v[2:5], v[2:3], off
	s_and_saveexec_b64 s[22:23], s[0:1]
	s_cbranch_execz .LBB6_874
; %bb.953:                              ;   in Loop: Header=BB6_875 Depth=1
	global_load_dwordx2 v[4:5], v33, s[2:3] offset:40
	global_load_dwordx2 v[12:13], v33, s[2:3] offset:24 sc0 sc1
	global_load_dwordx2 v[14:15], v33, s[2:3]
	s_waitcnt vmcnt(2)
	v_lshl_add_u64 v[8:9], v[4:5], 0, 1
	v_lshl_add_u64 v[16:17], v[8:9], 0, s[20:21]
	v_cmp_eq_u64_e32 vcc, 0, v[16:17]
	s_waitcnt vmcnt(1)
	v_mov_b32_e32 v10, v12
	v_cndmask_b32_e32 v9, v17, v9, vcc
	v_cndmask_b32_e32 v8, v16, v8, vcc
	v_and_b32_e32 v5, v9, v5
	v_and_b32_e32 v4, v8, v4
	v_mul_lo_u32 v5, v5, 24
	v_mul_hi_u32 v11, v4, 24
	v_mul_lo_u32 v4, v4, 24
	v_add_u32_e32 v5, v11, v5
	s_waitcnt vmcnt(0)
	v_lshl_add_u64 v[4:5], v[14:15], 0, v[4:5]
	global_store_dwordx2 v[4:5], v[12:13], off
	v_mov_b32_e32 v11, v13
	buffer_wbl2 sc0 sc1
	s_waitcnt vmcnt(0)
	global_atomic_cmpswap_x2 v[10:11], v33, v[8:11], s[2:3] offset:24 sc0 sc1
	s_waitcnt vmcnt(0)
	v_cmp_ne_u64_e32 vcc, v[10:11], v[12:13]
	s_and_b64 exec, exec, vcc
	s_cbranch_execz .LBB6_874
; %bb.954:                              ;   in Loop: Header=BB6_875 Depth=1
	s_mov_b64 s[0:1], 0
.LBB6_955:                              ;   Parent Loop BB6_875 Depth=1
                                        ; =>  This Inner Loop Header: Depth=2
	s_sleep 1
	global_store_dwordx2 v[4:5], v[10:11], off
	buffer_wbl2 sc0 sc1
	s_waitcnt vmcnt(0)
	global_atomic_cmpswap_x2 v[12:13], v33, v[8:11], s[2:3] offset:24 sc0 sc1
	s_waitcnt vmcnt(0)
	v_cmp_eq_u64_e32 vcc, v[12:13], v[10:11]
	s_or_b64 s[0:1], vcc, s[0:1]
	v_mov_b64_e32 v[10:11], v[12:13]
	s_andn2_b64 exec, exec, s[0:1]
	s_cbranch_execnz .LBB6_955
	s_branch .LBB6_874
.LBB6_956:
	s_branch .LBB6_984
.LBB6_957:
                                        ; implicit-def: $vgpr2_vgpr3
	s_cbranch_execz .LBB6_984
; %bb.958:
	v_readfirstlane_b32 s0, v36
	s_waitcnt vmcnt(0)
	v_mov_b64_e32 v[2:3], 0
	v_cmp_eq_u32_e64 s[0:1], s0, v36
	s_and_saveexec_b64 s[10:11], s[0:1]
	s_cbranch_execz .LBB6_964
; %bb.959:
	v_mov_b32_e32 v4, 0
	global_load_dwordx2 v[8:9], v4, s[2:3] offset:24 sc0 sc1
	s_waitcnt vmcnt(0)
	buffer_inv sc0 sc1
	global_load_dwordx2 v[2:3], v4, s[2:3] offset:40
	global_load_dwordx2 v[6:7], v4, s[2:3]
	s_waitcnt vmcnt(1)
	v_and_b32_e32 v2, v2, v8
	v_and_b32_e32 v3, v3, v9
	v_mul_lo_u32 v3, v3, 24
	v_mul_hi_u32 v5, v2, 24
	v_add_u32_e32 v3, v5, v3
	v_mul_lo_u32 v2, v2, 24
	s_waitcnt vmcnt(0)
	v_lshl_add_u64 v[2:3], v[6:7], 0, v[2:3]
	global_load_dwordx2 v[6:7], v[2:3], off sc0 sc1
	s_waitcnt vmcnt(0)
	global_atomic_cmpswap_x2 v[2:3], v4, v[6:9], s[2:3] offset:24 sc0 sc1
	s_waitcnt vmcnt(0)
	buffer_inv sc0 sc1
	v_cmp_ne_u64_e32 vcc, v[2:3], v[8:9]
	s_and_saveexec_b64 s[16:17], vcc
	s_cbranch_execz .LBB6_963
; %bb.960:
	s_mov_b64 s[18:19], 0
.LBB6_961:                              ; =>This Inner Loop Header: Depth=1
	s_sleep 1
	global_load_dwordx2 v[6:7], v4, s[2:3] offset:40
	global_load_dwordx2 v[10:11], v4, s[2:3]
	v_mov_b64_e32 v[8:9], v[2:3]
	s_waitcnt vmcnt(1)
	v_and_b32_e32 v2, v6, v8
	s_waitcnt vmcnt(0)
	v_mad_u64_u32 v[2:3], s[20:21], v2, 24, v[10:11]
	v_and_b32_e32 v5, v7, v9
	v_mov_b32_e32 v6, v3
	v_mad_u64_u32 v[6:7], s[20:21], v5, 24, v[6:7]
	v_mov_b32_e32 v3, v6
	global_load_dwordx2 v[6:7], v[2:3], off sc0 sc1
	s_waitcnt vmcnt(0)
	global_atomic_cmpswap_x2 v[2:3], v4, v[6:9], s[2:3] offset:24 sc0 sc1
	s_waitcnt vmcnt(0)
	buffer_inv sc0 sc1
	v_cmp_eq_u64_e32 vcc, v[2:3], v[8:9]
	s_or_b64 s[18:19], vcc, s[18:19]
	s_andn2_b64 exec, exec, s[18:19]
	s_cbranch_execnz .LBB6_961
; %bb.962:
	s_or_b64 exec, exec, s[18:19]
.LBB6_963:
	s_or_b64 exec, exec, s[16:17]
.LBB6_964:
	s_or_b64 exec, exec, s[10:11]
	v_mov_b32_e32 v29, 0
	global_load_dwordx2 v[8:9], v29, s[2:3] offset:40
	global_load_dwordx4 v[4:7], v29, s[2:3]
	v_readfirstlane_b32 s10, v2
	v_readfirstlane_b32 s11, v3
	s_mov_b64 s[16:17], exec
	s_waitcnt vmcnt(1)
	v_readfirstlane_b32 s18, v8
	v_readfirstlane_b32 s19, v9
	s_and_b64 s[18:19], s[10:11], s[18:19]
	s_mul_i32 s15, s19, 24
	s_mul_hi_u32 s20, s18, 24
	s_add_i32 s21, s20, s15
	s_mul_i32 s20, s18, 24
	s_waitcnt vmcnt(0)
	v_lshl_add_u64 v[8:9], v[4:5], 0, s[20:21]
	s_and_saveexec_b64 s[20:21], s[0:1]
	s_cbranch_execz .LBB6_966
; %bb.965:
	v_mov_b64_e32 v[10:11], s[16:17]
	v_mov_b32_e32 v12, 2
	v_mov_b32_e32 v13, 1
	global_store_dwordx4 v[8:9], v[10:13], off offset:8
.LBB6_966:
	s_or_b64 exec, exec, s[20:21]
	s_lshl_b64 s[16:17], s[18:19], 12
	v_lshl_add_u64 v[6:7], v[6:7], 0, s[16:17]
	s_movk_i32 s15, 0xff1f
	s_mov_b32 s16, 0
	v_and_or_b32 v0, v0, s15, 32
	v_mov_b32_e32 v2, v29
	v_mov_b32_e32 v3, v29
	v_readfirstlane_b32 s20, v6
	v_readfirstlane_b32 s21, v7
	s_mov_b32 s17, s16
	s_mov_b32 s18, s16
	s_mov_b32 s19, s16
	s_nop 1
	global_store_dwordx4 v28, v[0:3], s[20:21]
	s_nop 1
	v_mov_b64_e32 v[0:1], s[16:17]
	v_mov_b64_e32 v[2:3], s[18:19]
	global_store_dwordx4 v28, v[0:3], s[20:21] offset:16
	global_store_dwordx4 v28, v[0:3], s[20:21] offset:32
	;; [unrolled: 1-line block ×3, first 2 shown]
	s_and_saveexec_b64 s[16:17], s[0:1]
	s_cbranch_execz .LBB6_974
; %bb.967:
	v_mov_b32_e32 v10, 0
	global_load_dwordx2 v[14:15], v10, s[2:3] offset:32 sc0 sc1
	global_load_dwordx2 v[0:1], v10, s[2:3] offset:40
	v_mov_b32_e32 v12, s10
	v_mov_b32_e32 v13, s11
	s_waitcnt vmcnt(0)
	v_readfirstlane_b32 s18, v0
	v_readfirstlane_b32 s19, v1
	s_and_b64 s[18:19], s[18:19], s[10:11]
	s_mul_i32 s15, s19, 24
	s_mul_hi_u32 s19, s18, 24
	s_mul_i32 s18, s18, 24
	s_add_i32 s19, s19, s15
	v_lshl_add_u64 v[4:5], v[4:5], 0, s[18:19]
	global_store_dwordx2 v[4:5], v[14:15], off
	buffer_wbl2 sc0 sc1
	s_waitcnt vmcnt(0)
	global_atomic_cmpswap_x2 v[2:3], v10, v[12:15], s[2:3] offset:32 sc0 sc1
	s_waitcnt vmcnt(0)
	v_cmp_ne_u64_e32 vcc, v[2:3], v[14:15]
	s_and_saveexec_b64 s[18:19], vcc
	s_cbranch_execz .LBB6_970
; %bb.968:
	s_mov_b64 s[20:21], 0
.LBB6_969:                              ; =>This Inner Loop Header: Depth=1
	s_sleep 1
	global_store_dwordx2 v[4:5], v[2:3], off
	v_mov_b32_e32 v0, s10
	v_mov_b32_e32 v1, s11
	buffer_wbl2 sc0 sc1
	s_waitcnt vmcnt(0)
	global_atomic_cmpswap_x2 v[0:1], v10, v[0:3], s[2:3] offset:32 sc0 sc1
	s_waitcnt vmcnt(0)
	v_cmp_eq_u64_e32 vcc, v[0:1], v[2:3]
	s_or_b64 s[20:21], vcc, s[20:21]
	v_mov_b64_e32 v[2:3], v[0:1]
	s_andn2_b64 exec, exec, s[20:21]
	s_cbranch_execnz .LBB6_969
.LBB6_970:
	s_or_b64 exec, exec, s[18:19]
	v_mov_b32_e32 v3, 0
	global_load_dwordx2 v[0:1], v3, s[2:3] offset:16
	s_mov_b64 s[18:19], exec
	v_mbcnt_lo_u32_b32 v2, s18, 0
	v_mbcnt_hi_u32_b32 v2, s19, v2
	v_cmp_eq_u32_e32 vcc, 0, v2
	s_and_saveexec_b64 s[20:21], vcc
	s_cbranch_execz .LBB6_972
; %bb.971:
	s_bcnt1_i32_b64 s15, s[18:19]
	v_mov_b32_e32 v2, s15
	buffer_wbl2 sc0 sc1
	s_waitcnt vmcnt(0)
	global_atomic_add_x2 v[0:1], v[2:3], off offset:8 sc1
.LBB6_972:
	s_or_b64 exec, exec, s[20:21]
	s_waitcnt vmcnt(0)
	global_load_dwordx2 v[2:3], v[0:1], off offset:16
	s_waitcnt vmcnt(0)
	v_cmp_eq_u64_e32 vcc, 0, v[2:3]
	s_cbranch_vccnz .LBB6_974
; %bb.973:
	global_load_dword v0, v[0:1], off offset:24
	v_mov_b32_e32 v1, 0
	buffer_wbl2 sc0 sc1
	s_waitcnt vmcnt(0)
	global_store_dwordx2 v[2:3], v[0:1], off sc0 sc1
	v_and_b32_e32 v0, 0xffffff, v0
	s_nop 0
	v_readfirstlane_b32 m0, v0
	s_sendmsg sendmsg(MSG_INTERRUPT)
.LBB6_974:
	s_or_b64 exec, exec, s[16:17]
	v_lshl_add_u64 v[0:1], v[6:7], 0, v[28:29]
	s_branch .LBB6_978
.LBB6_975:                              ;   in Loop: Header=BB6_978 Depth=1
	s_or_b64 exec, exec, s[16:17]
	v_readfirstlane_b32 s15, v2
	s_cmp_eq_u32 s15, 0
	s_cbranch_scc1 .LBB6_977
; %bb.976:                              ;   in Loop: Header=BB6_978 Depth=1
	s_sleep 1
	s_cbranch_execnz .LBB6_978
	s_branch .LBB6_980
.LBB6_977:
	s_branch .LBB6_980
.LBB6_978:                              ; =>This Inner Loop Header: Depth=1
	v_mov_b32_e32 v2, 1
	s_and_saveexec_b64 s[16:17], s[0:1]
	s_cbranch_execz .LBB6_975
; %bb.979:                              ;   in Loop: Header=BB6_978 Depth=1
	global_load_dword v2, v[8:9], off offset:20 sc0 sc1
	s_waitcnt vmcnt(0)
	buffer_inv sc0 sc1
	v_and_b32_e32 v2, 1, v2
	s_branch .LBB6_975
.LBB6_980:
	global_load_dwordx2 v[2:3], v[0:1], off
	s_and_saveexec_b64 s[16:17], s[0:1]
	s_cbranch_execz .LBB6_983
; %bb.981:
	v_mov_b32_e32 v8, 0
	global_load_dwordx2 v[0:1], v8, s[2:3] offset:40
	global_load_dwordx2 v[10:11], v8, s[2:3] offset:24 sc0 sc1
	global_load_dwordx2 v[12:13], v8, s[2:3]
	s_mov_b64 s[0:1], 0
	s_waitcnt vmcnt(2)
	v_lshl_add_u64 v[4:5], v[0:1], 0, 1
	v_lshl_add_u64 v[14:15], v[4:5], 0, s[10:11]
	v_cmp_eq_u64_e32 vcc, 0, v[14:15]
	s_waitcnt vmcnt(1)
	v_mov_b32_e32 v6, v10
	v_cndmask_b32_e32 v5, v15, v5, vcc
	v_cndmask_b32_e32 v4, v14, v4, vcc
	v_and_b32_e32 v1, v5, v1
	v_and_b32_e32 v0, v4, v0
	v_mul_lo_u32 v1, v1, 24
	v_mul_hi_u32 v7, v0, 24
	v_mul_lo_u32 v0, v0, 24
	v_add_u32_e32 v1, v7, v1
	s_waitcnt vmcnt(0)
	v_lshl_add_u64 v[0:1], v[12:13], 0, v[0:1]
	global_store_dwordx2 v[0:1], v[10:11], off
	v_mov_b32_e32 v7, v11
	buffer_wbl2 sc0 sc1
	s_waitcnt vmcnt(0)
	global_atomic_cmpswap_x2 v[6:7], v8, v[4:7], s[2:3] offset:24 sc0 sc1
	s_waitcnt vmcnt(0)
	v_cmp_ne_u64_e32 vcc, v[6:7], v[10:11]
	s_and_b64 exec, exec, vcc
	s_cbranch_execz .LBB6_983
.LBB6_982:                              ; =>This Inner Loop Header: Depth=1
	s_sleep 1
	global_store_dwordx2 v[0:1], v[6:7], off
	buffer_wbl2 sc0 sc1
	s_waitcnt vmcnt(0)
	global_atomic_cmpswap_x2 v[10:11], v8, v[4:7], s[2:3] offset:24 sc0 sc1
	s_waitcnt vmcnt(0)
	v_cmp_eq_u64_e32 vcc, v[10:11], v[6:7]
	s_or_b64 s[0:1], vcc, s[0:1]
	v_mov_b64_e32 v[6:7], v[10:11]
	s_andn2_b64 exec, exec, s[0:1]
	s_cbranch_execnz .LBB6_982
.LBB6_983:
	s_or_b64 exec, exec, s[16:17]
.LBB6_984:
	v_readfirstlane_b32 s0, v36
	s_waitcnt vmcnt(0)
	v_mov_b64_e32 v[0:1], 0
	v_cmp_eq_u32_e64 s[0:1], s0, v36
	s_and_saveexec_b64 s[10:11], s[0:1]
	s_cbranch_execz .LBB6_990
; %bb.985:
	v_mov_b32_e32 v4, 0
	global_load_dwordx2 v[8:9], v4, s[2:3] offset:24 sc0 sc1
	s_waitcnt vmcnt(0)
	buffer_inv sc0 sc1
	global_load_dwordx2 v[0:1], v4, s[2:3] offset:40
	global_load_dwordx2 v[6:7], v4, s[2:3]
	s_waitcnt vmcnt(1)
	v_and_b32_e32 v0, v0, v8
	v_and_b32_e32 v1, v1, v9
	v_mul_lo_u32 v1, v1, 24
	v_mul_hi_u32 v5, v0, 24
	v_add_u32_e32 v1, v5, v1
	v_mul_lo_u32 v0, v0, 24
	s_waitcnt vmcnt(0)
	v_lshl_add_u64 v[0:1], v[6:7], 0, v[0:1]
	global_load_dwordx2 v[6:7], v[0:1], off sc0 sc1
	s_waitcnt vmcnt(0)
	global_atomic_cmpswap_x2 v[0:1], v4, v[6:9], s[2:3] offset:24 sc0 sc1
	s_waitcnt vmcnt(0)
	buffer_inv sc0 sc1
	v_cmp_ne_u64_e32 vcc, v[0:1], v[8:9]
	s_and_saveexec_b64 s[16:17], vcc
	s_cbranch_execz .LBB6_989
; %bb.986:
	s_mov_b64 s[18:19], 0
.LBB6_987:                              ; =>This Inner Loop Header: Depth=1
	s_sleep 1
	global_load_dwordx2 v[6:7], v4, s[2:3] offset:40
	global_load_dwordx2 v[10:11], v4, s[2:3]
	v_mov_b64_e32 v[8:9], v[0:1]
	s_waitcnt vmcnt(1)
	v_and_b32_e32 v0, v6, v8
	s_waitcnt vmcnt(0)
	v_mad_u64_u32 v[0:1], s[20:21], v0, 24, v[10:11]
	v_and_b32_e32 v5, v7, v9
	v_mov_b32_e32 v6, v1
	v_mad_u64_u32 v[6:7], s[20:21], v5, 24, v[6:7]
	v_mov_b32_e32 v1, v6
	global_load_dwordx2 v[6:7], v[0:1], off sc0 sc1
	s_waitcnt vmcnt(0)
	global_atomic_cmpswap_x2 v[0:1], v4, v[6:9], s[2:3] offset:24 sc0 sc1
	s_waitcnt vmcnt(0)
	buffer_inv sc0 sc1
	v_cmp_eq_u64_e32 vcc, v[0:1], v[8:9]
	s_or_b64 s[18:19], vcc, s[18:19]
	s_andn2_b64 exec, exec, s[18:19]
	s_cbranch_execnz .LBB6_987
; %bb.988:
	s_or_b64 exec, exec, s[18:19]
.LBB6_989:
	s_or_b64 exec, exec, s[16:17]
.LBB6_990:
	s_or_b64 exec, exec, s[10:11]
	v_mov_b32_e32 v5, 0
	global_load_dwordx2 v[10:11], v5, s[2:3] offset:40
	global_load_dwordx4 v[6:9], v5, s[2:3]
	v_readfirstlane_b32 s10, v0
	v_readfirstlane_b32 s11, v1
	s_mov_b64 s[16:17], exec
	s_waitcnt vmcnt(1)
	v_readfirstlane_b32 s18, v10
	v_readfirstlane_b32 s19, v11
	s_and_b64 s[18:19], s[10:11], s[18:19]
	s_mul_i32 s15, s19, 24
	s_mul_hi_u32 s20, s18, 24
	s_add_i32 s21, s20, s15
	s_mul_i32 s20, s18, 24
	s_waitcnt vmcnt(0)
	v_lshl_add_u64 v[10:11], v[6:7], 0, s[20:21]
	s_and_saveexec_b64 s[20:21], s[0:1]
	s_cbranch_execz .LBB6_992
; %bb.991:
	v_mov_b64_e32 v[12:13], s[16:17]
	v_mov_b32_e32 v14, 2
	v_mov_b32_e32 v15, 1
	global_store_dwordx4 v[10:11], v[12:15], off offset:8
.LBB6_992:
	s_or_b64 exec, exec, s[20:21]
	s_lshl_b64 s[16:17], s[18:19], 12
	v_lshl_add_u64 v[0:1], v[8:9], 0, s[16:17]
	s_movk_i32 s15, 0xff1d
	s_mov_b32 s16, 0
	v_and_or_b32 v2, v2, s15, 34
	v_mov_b32_e32 v4, 0x41e
	v_readfirstlane_b32 s20, v0
	v_readfirstlane_b32 s21, v1
	s_mov_b32 s17, s16
	s_mov_b32 s18, s16
	;; [unrolled: 1-line block ×3, first 2 shown]
	s_nop 1
	global_store_dwordx4 v28, v[2:5], s[20:21]
	v_mov_b64_e32 v[0:1], s[16:17]
	s_nop 0
	v_mov_b64_e32 v[2:3], s[18:19]
	global_store_dwordx4 v28, v[0:3], s[20:21] offset:16
	global_store_dwordx4 v28, v[0:3], s[20:21] offset:32
	;; [unrolled: 1-line block ×3, first 2 shown]
	s_and_saveexec_b64 s[16:17], s[0:1]
	s_cbranch_execz .LBB6_1000
; %bb.993:
	v_mov_b32_e32 v8, 0
	global_load_dwordx2 v[14:15], v8, s[2:3] offset:32 sc0 sc1
	global_load_dwordx2 v[0:1], v8, s[2:3] offset:40
	v_mov_b32_e32 v12, s10
	v_mov_b32_e32 v13, s11
	s_waitcnt vmcnt(0)
	v_readfirstlane_b32 s18, v0
	v_readfirstlane_b32 s19, v1
	s_and_b64 s[18:19], s[18:19], s[10:11]
	s_mul_i32 s15, s19, 24
	s_mul_hi_u32 s19, s18, 24
	s_mul_i32 s18, s18, 24
	s_add_i32 s19, s19, s15
	v_lshl_add_u64 v[4:5], v[6:7], 0, s[18:19]
	global_store_dwordx2 v[4:5], v[14:15], off
	buffer_wbl2 sc0 sc1
	s_waitcnt vmcnt(0)
	global_atomic_cmpswap_x2 v[2:3], v8, v[12:15], s[2:3] offset:32 sc0 sc1
	s_waitcnt vmcnt(0)
	v_cmp_ne_u64_e32 vcc, v[2:3], v[14:15]
	s_and_saveexec_b64 s[18:19], vcc
	s_cbranch_execz .LBB6_996
; %bb.994:
	s_mov_b64 s[20:21], 0
.LBB6_995:                              ; =>This Inner Loop Header: Depth=1
	s_sleep 1
	global_store_dwordx2 v[4:5], v[2:3], off
	v_mov_b32_e32 v0, s10
	v_mov_b32_e32 v1, s11
	buffer_wbl2 sc0 sc1
	s_waitcnt vmcnt(0)
	global_atomic_cmpswap_x2 v[0:1], v8, v[0:3], s[2:3] offset:32 sc0 sc1
	s_waitcnt vmcnt(0)
	v_cmp_eq_u64_e32 vcc, v[0:1], v[2:3]
	s_or_b64 s[20:21], vcc, s[20:21]
	v_mov_b64_e32 v[2:3], v[0:1]
	s_andn2_b64 exec, exec, s[20:21]
	s_cbranch_execnz .LBB6_995
.LBB6_996:
	s_or_b64 exec, exec, s[18:19]
	v_mov_b32_e32 v3, 0
	global_load_dwordx2 v[0:1], v3, s[2:3] offset:16
	s_mov_b64 s[18:19], exec
	v_mbcnt_lo_u32_b32 v2, s18, 0
	v_mbcnt_hi_u32_b32 v2, s19, v2
	v_cmp_eq_u32_e32 vcc, 0, v2
	s_and_saveexec_b64 s[20:21], vcc
	s_cbranch_execz .LBB6_998
; %bb.997:
	s_bcnt1_i32_b64 s15, s[18:19]
	v_mov_b32_e32 v2, s15
	buffer_wbl2 sc0 sc1
	s_waitcnt vmcnt(0)
	global_atomic_add_x2 v[0:1], v[2:3], off offset:8 sc1
.LBB6_998:
	s_or_b64 exec, exec, s[20:21]
	s_waitcnt vmcnt(0)
	global_load_dwordx2 v[2:3], v[0:1], off offset:16
	s_waitcnt vmcnt(0)
	v_cmp_eq_u64_e32 vcc, 0, v[2:3]
	s_cbranch_vccnz .LBB6_1000
; %bb.999:
	global_load_dword v0, v[0:1], off offset:24
	v_mov_b32_e32 v1, 0
	buffer_wbl2 sc0 sc1
	s_waitcnt vmcnt(0)
	global_store_dwordx2 v[2:3], v[0:1], off sc0 sc1
	v_and_b32_e32 v0, 0xffffff, v0
	s_nop 0
	v_readfirstlane_b32 m0, v0
	s_sendmsg sendmsg(MSG_INTERRUPT)
.LBB6_1000:
	s_or_b64 exec, exec, s[16:17]
	s_branch .LBB6_1004
.LBB6_1001:                             ;   in Loop: Header=BB6_1004 Depth=1
	s_or_b64 exec, exec, s[16:17]
	v_readfirstlane_b32 s15, v0
	s_cmp_eq_u32 s15, 0
	s_cbranch_scc1 .LBB6_1003
; %bb.1002:                             ;   in Loop: Header=BB6_1004 Depth=1
	s_sleep 1
	s_cbranch_execnz .LBB6_1004
	s_branch .LBB6_1006
.LBB6_1003:
	s_branch .LBB6_1006
.LBB6_1004:                             ; =>This Inner Loop Header: Depth=1
	v_mov_b32_e32 v0, 1
	s_and_saveexec_b64 s[16:17], s[0:1]
	s_cbranch_execz .LBB6_1001
; %bb.1005:                             ;   in Loop: Header=BB6_1004 Depth=1
	global_load_dword v0, v[10:11], off offset:20 sc0 sc1
	s_waitcnt vmcnt(0)
	buffer_inv sc0 sc1
	v_and_b32_e32 v0, 1, v0
	s_branch .LBB6_1001
.LBB6_1006:
	s_and_saveexec_b64 s[16:17], s[0:1]
	s_cbranch_execz .LBB6_1009
; %bb.1007:
	v_mov_b32_e32 v6, 0
	global_load_dwordx2 v[4:5], v6, s[2:3] offset:40
	global_load_dwordx2 v[8:9], v6, s[2:3] offset:24 sc0 sc1
	global_load_dwordx2 v[10:11], v6, s[2:3]
	s_mov_b64 s[0:1], 0
	s_waitcnt vmcnt(2)
	v_lshl_add_u64 v[0:1], v[4:5], 0, 1
	v_lshl_add_u64 v[12:13], v[0:1], 0, s[10:11]
	v_cmp_eq_u64_e32 vcc, 0, v[12:13]
	s_waitcnt vmcnt(1)
	v_mov_b32_e32 v2, v8
	v_cndmask_b32_e32 v1, v13, v1, vcc
	v_cndmask_b32_e32 v0, v12, v0, vcc
	v_and_b32_e32 v3, v1, v5
	v_and_b32_e32 v4, v0, v4
	v_mul_lo_u32 v3, v3, 24
	v_mul_hi_u32 v5, v4, 24
	v_mul_lo_u32 v4, v4, 24
	v_add_u32_e32 v5, v5, v3
	s_waitcnt vmcnt(0)
	v_lshl_add_u64 v[4:5], v[10:11], 0, v[4:5]
	global_store_dwordx2 v[4:5], v[8:9], off
	v_mov_b32_e32 v3, v9
	buffer_wbl2 sc0 sc1
	s_waitcnt vmcnt(0)
	global_atomic_cmpswap_x2 v[2:3], v6, v[0:3], s[2:3] offset:24 sc0 sc1
	s_waitcnt vmcnt(0)
	v_cmp_ne_u64_e32 vcc, v[2:3], v[8:9]
	s_and_b64 exec, exec, vcc
	s_cbranch_execz .LBB6_1009
.LBB6_1008:                             ; =>This Inner Loop Header: Depth=1
	s_sleep 1
	global_store_dwordx2 v[4:5], v[2:3], off
	buffer_wbl2 sc0 sc1
	s_waitcnt vmcnt(0)
	global_atomic_cmpswap_x2 v[8:9], v6, v[0:3], s[2:3] offset:24 sc0 sc1
	s_waitcnt vmcnt(0)
	v_cmp_eq_u64_e32 vcc, v[8:9], v[2:3]
	s_or_b64 s[0:1], vcc, s[0:1]
	v_mov_b64_e32 v[2:3], v[8:9]
	s_andn2_b64 exec, exec, s[0:1]
	s_cbranch_execnz .LBB6_1008
.LBB6_1009:
	s_or_b64 exec, exec, s[16:17]
	v_readfirstlane_b32 s0, v36
	v_mov_b64_e32 v[4:5], 0
	s_nop 0
	v_cmp_eq_u32_e64 s[0:1], s0, v36
	s_and_saveexec_b64 s[10:11], s[0:1]
	s_cbranch_execz .LBB6_1015
; %bb.1010:
	v_mov_b32_e32 v0, 0
	global_load_dwordx2 v[6:7], v0, s[2:3] offset:24 sc0 sc1
	s_waitcnt vmcnt(0)
	buffer_inv sc0 sc1
	global_load_dwordx2 v[2:3], v0, s[2:3] offset:40
	global_load_dwordx2 v[4:5], v0, s[2:3]
	s_waitcnt vmcnt(1)
	v_and_b32_e32 v1, v2, v6
	v_and_b32_e32 v2, v3, v7
	v_mul_lo_u32 v2, v2, 24
	v_mul_hi_u32 v3, v1, 24
	v_add_u32_e32 v3, v3, v2
	v_mul_lo_u32 v2, v1, 24
	s_waitcnt vmcnt(0)
	v_lshl_add_u64 v[2:3], v[4:5], 0, v[2:3]
	global_load_dwordx2 v[4:5], v[2:3], off sc0 sc1
	s_waitcnt vmcnt(0)
	global_atomic_cmpswap_x2 v[4:5], v0, v[4:7], s[2:3] offset:24 sc0 sc1
	s_waitcnt vmcnt(0)
	buffer_inv sc0 sc1
	v_cmp_ne_u64_e32 vcc, v[4:5], v[6:7]
	s_and_saveexec_b64 s[16:17], vcc
	s_cbranch_execz .LBB6_1014
; %bb.1011:
	s_mov_b64 s[18:19], 0
.LBB6_1012:                             ; =>This Inner Loop Header: Depth=1
	s_sleep 1
	global_load_dwordx2 v[2:3], v0, s[2:3] offset:40
	global_load_dwordx2 v[8:9], v0, s[2:3]
	v_mov_b64_e32 v[6:7], v[4:5]
	s_waitcnt vmcnt(1)
	v_and_b32_e32 v2, v2, v6
	v_and_b32_e32 v1, v3, v7
	s_waitcnt vmcnt(0)
	v_mad_u64_u32 v[2:3], s[20:21], v2, 24, v[8:9]
	v_mov_b32_e32 v4, v3
	v_mad_u64_u32 v[4:5], s[20:21], v1, 24, v[4:5]
	v_mov_b32_e32 v3, v4
	global_load_dwordx2 v[4:5], v[2:3], off sc0 sc1
	s_waitcnt vmcnt(0)
	global_atomic_cmpswap_x2 v[4:5], v0, v[4:7], s[2:3] offset:24 sc0 sc1
	s_waitcnt vmcnt(0)
	buffer_inv sc0 sc1
	v_cmp_eq_u64_e32 vcc, v[4:5], v[6:7]
	s_or_b64 s[18:19], vcc, s[18:19]
	s_andn2_b64 exec, exec, s[18:19]
	s_cbranch_execnz .LBB6_1012
; %bb.1013:
	s_or_b64 exec, exec, s[18:19]
.LBB6_1014:
	s_or_b64 exec, exec, s[16:17]
.LBB6_1015:
	s_or_b64 exec, exec, s[10:11]
	v_mov_b32_e32 v29, 0
	global_load_dwordx2 v[6:7], v29, s[2:3] offset:40
	global_load_dwordx4 v[0:3], v29, s[2:3]
	v_readfirstlane_b32 s10, v4
	v_readfirstlane_b32 s11, v5
	s_mov_b64 s[16:17], exec
	s_waitcnt vmcnt(1)
	v_readfirstlane_b32 s18, v6
	v_readfirstlane_b32 s19, v7
	s_and_b64 s[18:19], s[10:11], s[18:19]
	s_mul_i32 s15, s19, 24
	s_mul_hi_u32 s20, s18, 24
	s_add_i32 s21, s20, s15
	s_mul_i32 s20, s18, 24
	s_waitcnt vmcnt(0)
	v_lshl_add_u64 v[4:5], v[0:1], 0, s[20:21]
	s_and_saveexec_b64 s[20:21], s[0:1]
	s_cbranch_execz .LBB6_1017
; %bb.1016:
	v_mov_b64_e32 v[6:7], s[16:17]
	v_mov_b32_e32 v8, 2
	v_mov_b32_e32 v9, 1
	global_store_dwordx4 v[4:5], v[6:9], off offset:8
.LBB6_1017:
	s_or_b64 exec, exec, s[20:21]
	s_lshl_b64 s[16:17], s[18:19], 12
	v_lshl_add_u64 v[6:7], v[2:3], 0, s[16:17]
	s_mov_b32 s16, 0
	v_mov_b32_e32 v8, 33
	v_mov_b32_e32 v9, v29
	;; [unrolled: 1-line block ×4, first 2 shown]
	v_readfirstlane_b32 s20, v6
	v_readfirstlane_b32 s21, v7
	s_mov_b32 s17, s16
	s_mov_b32 s18, s16
	;; [unrolled: 1-line block ×3, first 2 shown]
	s_nop 1
	global_store_dwordx4 v28, v[8:11], s[20:21]
	s_nop 1
	v_mov_b64_e32 v[8:9], s[16:17]
	v_mov_b64_e32 v[10:11], s[18:19]
	global_store_dwordx4 v28, v[8:11], s[20:21] offset:16
	global_store_dwordx4 v28, v[8:11], s[20:21] offset:32
	;; [unrolled: 1-line block ×3, first 2 shown]
	s_and_saveexec_b64 s[16:17], s[0:1]
	s_cbranch_execz .LBB6_1025
; %bb.1018:
	v_mov_b32_e32 v10, 0
	global_load_dwordx2 v[14:15], v10, s[2:3] offset:32 sc0 sc1
	global_load_dwordx2 v[2:3], v10, s[2:3] offset:40
	v_mov_b32_e32 v12, s10
	v_mov_b32_e32 v13, s11
	s_waitcnt vmcnt(0)
	v_readfirstlane_b32 s18, v2
	v_readfirstlane_b32 s19, v3
	s_and_b64 s[18:19], s[18:19], s[10:11]
	s_mul_i32 s15, s19, 24
	s_mul_hi_u32 s19, s18, 24
	s_mul_i32 s18, s18, 24
	s_add_i32 s19, s19, s15
	v_lshl_add_u64 v[8:9], v[0:1], 0, s[18:19]
	global_store_dwordx2 v[8:9], v[14:15], off
	buffer_wbl2 sc0 sc1
	s_waitcnt vmcnt(0)
	global_atomic_cmpswap_x2 v[2:3], v10, v[12:15], s[2:3] offset:32 sc0 sc1
	s_waitcnt vmcnt(0)
	v_cmp_ne_u64_e32 vcc, v[2:3], v[14:15]
	s_and_saveexec_b64 s[18:19], vcc
	s_cbranch_execz .LBB6_1021
; %bb.1019:
	s_mov_b64 s[20:21], 0
.LBB6_1020:                             ; =>This Inner Loop Header: Depth=1
	s_sleep 1
	global_store_dwordx2 v[8:9], v[2:3], off
	v_mov_b32_e32 v0, s10
	v_mov_b32_e32 v1, s11
	buffer_wbl2 sc0 sc1
	s_waitcnt vmcnt(0)
	global_atomic_cmpswap_x2 v[0:1], v10, v[0:3], s[2:3] offset:32 sc0 sc1
	s_waitcnt vmcnt(0)
	v_cmp_eq_u64_e32 vcc, v[0:1], v[2:3]
	s_or_b64 s[20:21], vcc, s[20:21]
	v_mov_b64_e32 v[2:3], v[0:1]
	s_andn2_b64 exec, exec, s[20:21]
	s_cbranch_execnz .LBB6_1020
.LBB6_1021:
	s_or_b64 exec, exec, s[18:19]
	v_mov_b32_e32 v3, 0
	global_load_dwordx2 v[0:1], v3, s[2:3] offset:16
	s_mov_b64 s[18:19], exec
	v_mbcnt_lo_u32_b32 v2, s18, 0
	v_mbcnt_hi_u32_b32 v2, s19, v2
	v_cmp_eq_u32_e32 vcc, 0, v2
	s_and_saveexec_b64 s[20:21], vcc
	s_cbranch_execz .LBB6_1023
; %bb.1022:
	s_bcnt1_i32_b64 s15, s[18:19]
	v_mov_b32_e32 v2, s15
	buffer_wbl2 sc0 sc1
	s_waitcnt vmcnt(0)
	global_atomic_add_x2 v[0:1], v[2:3], off offset:8 sc1
.LBB6_1023:
	s_or_b64 exec, exec, s[20:21]
	s_waitcnt vmcnt(0)
	global_load_dwordx2 v[2:3], v[0:1], off offset:16
	s_waitcnt vmcnt(0)
	v_cmp_eq_u64_e32 vcc, 0, v[2:3]
	s_cbranch_vccnz .LBB6_1025
; %bb.1024:
	global_load_dword v0, v[0:1], off offset:24
	v_mov_b32_e32 v1, 0
	buffer_wbl2 sc0 sc1
	s_waitcnt vmcnt(0)
	global_store_dwordx2 v[2:3], v[0:1], off sc0 sc1
	v_and_b32_e32 v0, 0xffffff, v0
	s_nop 0
	v_readfirstlane_b32 m0, v0
	s_sendmsg sendmsg(MSG_INTERRUPT)
.LBB6_1025:
	s_or_b64 exec, exec, s[16:17]
	v_lshl_add_u64 v[0:1], v[6:7], 0, v[28:29]
	s_branch .LBB6_1029
.LBB6_1026:                             ;   in Loop: Header=BB6_1029 Depth=1
	s_or_b64 exec, exec, s[16:17]
	v_readfirstlane_b32 s15, v2
	s_cmp_eq_u32 s15, 0
	s_cbranch_scc1 .LBB6_1028
; %bb.1027:                             ;   in Loop: Header=BB6_1029 Depth=1
	s_sleep 1
	s_cbranch_execnz .LBB6_1029
	s_branch .LBB6_1031
.LBB6_1028:
	s_branch .LBB6_1031
.LBB6_1029:                             ; =>This Inner Loop Header: Depth=1
	v_mov_b32_e32 v2, 1
	s_and_saveexec_b64 s[16:17], s[0:1]
	s_cbranch_execz .LBB6_1026
; %bb.1030:                             ;   in Loop: Header=BB6_1029 Depth=1
	global_load_dword v2, v[4:5], off offset:20 sc0 sc1
	s_waitcnt vmcnt(0)
	buffer_inv sc0 sc1
	v_and_b32_e32 v2, 1, v2
	s_branch .LBB6_1026
.LBB6_1031:
	global_load_dwordx2 v[0:1], v[0:1], off
	s_and_saveexec_b64 s[16:17], s[0:1]
	s_cbranch_execz .LBB6_1034
; %bb.1032:
	v_mov_b32_e32 v8, 0
	global_load_dwordx2 v[6:7], v8, s[2:3] offset:40
	global_load_dwordx2 v[10:11], v8, s[2:3] offset:24 sc0 sc1
	global_load_dwordx2 v[12:13], v8, s[2:3]
	s_mov_b64 s[0:1], 0
	s_waitcnt vmcnt(2)
	v_lshl_add_u64 v[2:3], v[6:7], 0, 1
	v_lshl_add_u64 v[14:15], v[2:3], 0, s[10:11]
	v_cmp_eq_u64_e32 vcc, 0, v[14:15]
	s_waitcnt vmcnt(1)
	v_mov_b32_e32 v4, v10
	v_cndmask_b32_e32 v3, v15, v3, vcc
	v_cndmask_b32_e32 v2, v14, v2, vcc
	v_and_b32_e32 v5, v3, v7
	v_and_b32_e32 v6, v2, v6
	v_mul_lo_u32 v5, v5, 24
	v_mul_hi_u32 v7, v6, 24
	v_mul_lo_u32 v6, v6, 24
	v_add_u32_e32 v7, v7, v5
	s_waitcnt vmcnt(0)
	v_lshl_add_u64 v[6:7], v[12:13], 0, v[6:7]
	global_store_dwordx2 v[6:7], v[10:11], off
	v_mov_b32_e32 v5, v11
	buffer_wbl2 sc0 sc1
	s_waitcnt vmcnt(0)
	global_atomic_cmpswap_x2 v[4:5], v8, v[2:5], s[2:3] offset:24 sc0 sc1
	s_waitcnt vmcnt(0)
	v_cmp_ne_u64_e32 vcc, v[4:5], v[10:11]
	s_and_b64 exec, exec, vcc
	s_cbranch_execz .LBB6_1034
.LBB6_1033:                             ; =>This Inner Loop Header: Depth=1
	s_sleep 1
	global_store_dwordx2 v[6:7], v[4:5], off
	buffer_wbl2 sc0 sc1
	s_waitcnt vmcnt(0)
	global_atomic_cmpswap_x2 v[10:11], v8, v[2:5], s[2:3] offset:24 sc0 sc1
	s_waitcnt vmcnt(0)
	v_cmp_eq_u64_e32 vcc, v[10:11], v[4:5]
	s_or_b64 s[0:1], vcc, s[0:1]
	v_mov_b64_e32 v[4:5], v[10:11]
	s_andn2_b64 exec, exec, s[0:1]
	s_cbranch_execnz .LBB6_1033
.LBB6_1034:
	s_or_b64 exec, exec, s[16:17]
	s_and_b64 vcc, exec, s[6:7]
	s_cbranch_vccz .LBB6_1119
; %bb.1035:
	s_waitcnt vmcnt(0)
	v_and_b32_e32 v30, 2, v0
	v_mov_b32_e32 v33, 0
	v_and_b32_e32 v2, -3, v0
	v_mov_b32_e32 v3, v1
	s_mov_b64 s[16:17], 3
	v_mov_b32_e32 v6, 2
	v_mov_b32_e32 v7, 1
	s_getpc_b64 s[10:11]
	s_add_u32 s10, s10, .str.6@rel32@lo+4
	s_addc_u32 s11, s11, .str.6@rel32@hi+12
	s_branch .LBB6_1037
.LBB6_1036:                             ;   in Loop: Header=BB6_1037 Depth=1
	s_or_b64 exec, exec, s[22:23]
	s_sub_u32 s16, s16, s18
	s_subb_u32 s17, s17, s19
	s_add_u32 s10, s10, s18
	s_addc_u32 s11, s11, s19
	s_cmp_lg_u64 s[16:17], 0
	s_cbranch_scc0 .LBB6_1118
.LBB6_1037:                             ; =>This Loop Header: Depth=1
                                        ;     Child Loop BB6_1040 Depth 2
                                        ;     Child Loop BB6_1047 Depth 2
	;; [unrolled: 1-line block ×11, first 2 shown]
	v_cmp_lt_u64_e64 s[0:1], s[16:17], 56
	s_and_b64 s[0:1], s[0:1], exec
	v_cmp_gt_u64_e64 s[0:1], s[16:17], 7
	s_cselect_b32 s19, s17, 0
	s_cselect_b32 s18, s16, 56
	s_and_b64 vcc, exec, s[0:1]
	s_cbranch_vccnz .LBB6_1042
; %bb.1038:                             ;   in Loop: Header=BB6_1037 Depth=1
	s_mov_b64 s[0:1], 0
	s_cmp_eq_u64 s[16:17], 0
	v_mov_b64_e32 v[10:11], 0
	s_cbranch_scc1 .LBB6_1041
; %bb.1039:                             ;   in Loop: Header=BB6_1037 Depth=1
	s_lshl_b64 s[20:21], s[18:19], 3
	s_mov_b64 s[22:23], 0
	v_mov_b64_e32 v[10:11], 0
	s_mov_b64 s[24:25], s[10:11]
.LBB6_1040:                             ;   Parent Loop BB6_1037 Depth=1
                                        ; =>  This Inner Loop Header: Depth=2
	global_load_ubyte v4, v33, s[24:25]
	s_waitcnt vmcnt(0)
	v_and_b32_e32 v32, 0xffff, v4
	v_lshlrev_b64 v[4:5], s22, v[32:33]
	s_add_u32 s22, s22, 8
	s_addc_u32 s23, s23, 0
	s_add_u32 s24, s24, 1
	s_addc_u32 s25, s25, 0
	v_or_b32_e32 v10, v4, v10
	s_cmp_lg_u32 s20, s22
	v_or_b32_e32 v11, v5, v11
	s_cbranch_scc1 .LBB6_1040
.LBB6_1041:                             ;   in Loop: Header=BB6_1037 Depth=1
	s_mov_b32 s15, 0
	s_andn2_b64 vcc, exec, s[0:1]
	s_mov_b64 s[0:1], s[10:11]
	s_cbranch_vccz .LBB6_1043
	s_branch .LBB6_1044
.LBB6_1042:                             ;   in Loop: Header=BB6_1037 Depth=1
                                        ; implicit-def: $vgpr10_vgpr11
                                        ; implicit-def: $sgpr15
	s_mov_b64 s[0:1], s[10:11]
.LBB6_1043:                             ;   in Loop: Header=BB6_1037 Depth=1
	global_load_dwordx2 v[10:11], v33, s[10:11]
	s_add_i32 s15, s18, -8
	s_add_u32 s0, s10, 8
	s_addc_u32 s1, s11, 0
.LBB6_1044:                             ;   in Loop: Header=BB6_1037 Depth=1
	s_cmp_gt_u32 s15, 7
	s_cbranch_scc1 .LBB6_1048
; %bb.1045:                             ;   in Loop: Header=BB6_1037 Depth=1
	s_cmp_eq_u32 s15, 0
	s_cbranch_scc1 .LBB6_1049
; %bb.1046:                             ;   in Loop: Header=BB6_1037 Depth=1
	s_mov_b64 s[20:21], 0
	v_mov_b64_e32 v[12:13], 0
	s_mov_b64 s[22:23], 0
.LBB6_1047:                             ;   Parent Loop BB6_1037 Depth=1
                                        ; =>  This Inner Loop Header: Depth=2
	s_add_u32 s24, s0, s22
	s_addc_u32 s25, s1, s23
	global_load_ubyte v4, v33, s[24:25]
	s_add_u32 s22, s22, 1
	s_addc_u32 s23, s23, 0
	s_waitcnt vmcnt(0)
	v_and_b32_e32 v32, 0xffff, v4
	v_lshlrev_b64 v[4:5], s20, v[32:33]
	s_add_u32 s20, s20, 8
	s_addc_u32 s21, s21, 0
	v_or_b32_e32 v12, v4, v12
	s_cmp_lg_u32 s15, s22
	v_or_b32_e32 v13, v5, v13
	s_cbranch_scc1 .LBB6_1047
	s_branch .LBB6_1050
.LBB6_1048:                             ;   in Loop: Header=BB6_1037 Depth=1
                                        ; implicit-def: $vgpr12_vgpr13
                                        ; implicit-def: $sgpr24
	s_branch .LBB6_1051
.LBB6_1049:                             ;   in Loop: Header=BB6_1037 Depth=1
	v_mov_b64_e32 v[12:13], 0
.LBB6_1050:                             ;   in Loop: Header=BB6_1037 Depth=1
	s_mov_b32 s24, 0
	s_cbranch_execnz .LBB6_1052
.LBB6_1051:                             ;   in Loop: Header=BB6_1037 Depth=1
	global_load_dwordx2 v[12:13], v33, s[0:1]
	s_add_i32 s24, s15, -8
	s_add_u32 s0, s0, 8
	s_addc_u32 s1, s1, 0
.LBB6_1052:                             ;   in Loop: Header=BB6_1037 Depth=1
	s_cmp_gt_u32 s24, 7
	s_cbranch_scc1 .LBB6_1056
; %bb.1053:                             ;   in Loop: Header=BB6_1037 Depth=1
	s_cmp_eq_u32 s24, 0
	s_cbranch_scc1 .LBB6_1057
; %bb.1054:                             ;   in Loop: Header=BB6_1037 Depth=1
	s_mov_b64 s[20:21], 0
	v_mov_b64_e32 v[14:15], 0
	s_mov_b64 s[22:23], 0
.LBB6_1055:                             ;   Parent Loop BB6_1037 Depth=1
                                        ; =>  This Inner Loop Header: Depth=2
	s_add_u32 s26, s0, s22
	s_addc_u32 s27, s1, s23
	global_load_ubyte v4, v33, s[26:27]
	s_add_u32 s22, s22, 1
	s_addc_u32 s23, s23, 0
	s_waitcnt vmcnt(0)
	v_and_b32_e32 v32, 0xffff, v4
	v_lshlrev_b64 v[4:5], s20, v[32:33]
	s_add_u32 s20, s20, 8
	s_addc_u32 s21, s21, 0
	v_or_b32_e32 v14, v4, v14
	s_cmp_lg_u32 s24, s22
	v_or_b32_e32 v15, v5, v15
	s_cbranch_scc1 .LBB6_1055
	s_branch .LBB6_1058
.LBB6_1056:                             ;   in Loop: Header=BB6_1037 Depth=1
                                        ; implicit-def: $sgpr15
	s_branch .LBB6_1059
.LBB6_1057:                             ;   in Loop: Header=BB6_1037 Depth=1
	v_mov_b64_e32 v[14:15], 0
.LBB6_1058:                             ;   in Loop: Header=BB6_1037 Depth=1
	s_mov_b32 s15, 0
	s_cbranch_execnz .LBB6_1060
.LBB6_1059:                             ;   in Loop: Header=BB6_1037 Depth=1
	global_load_dwordx2 v[14:15], v33, s[0:1]
	s_add_i32 s15, s24, -8
	s_add_u32 s0, s0, 8
	s_addc_u32 s1, s1, 0
.LBB6_1060:                             ;   in Loop: Header=BB6_1037 Depth=1
	s_cmp_gt_u32 s15, 7
	s_cbranch_scc1 .LBB6_1064
; %bb.1061:                             ;   in Loop: Header=BB6_1037 Depth=1
	s_cmp_eq_u32 s15, 0
	s_cbranch_scc1 .LBB6_1065
; %bb.1062:                             ;   in Loop: Header=BB6_1037 Depth=1
	s_mov_b64 s[20:21], 0
	v_mov_b64_e32 v[16:17], 0
	s_mov_b64 s[22:23], 0
.LBB6_1063:                             ;   Parent Loop BB6_1037 Depth=1
                                        ; =>  This Inner Loop Header: Depth=2
	s_add_u32 s24, s0, s22
	s_addc_u32 s25, s1, s23
	global_load_ubyte v4, v33, s[24:25]
	s_add_u32 s22, s22, 1
	s_addc_u32 s23, s23, 0
	s_waitcnt vmcnt(0)
	v_and_b32_e32 v32, 0xffff, v4
	v_lshlrev_b64 v[4:5], s20, v[32:33]
	s_add_u32 s20, s20, 8
	s_addc_u32 s21, s21, 0
	v_or_b32_e32 v16, v4, v16
	s_cmp_lg_u32 s15, s22
	v_or_b32_e32 v17, v5, v17
	s_cbranch_scc1 .LBB6_1063
	s_branch .LBB6_1066
.LBB6_1064:                             ;   in Loop: Header=BB6_1037 Depth=1
                                        ; implicit-def: $vgpr16_vgpr17
                                        ; implicit-def: $sgpr24
	s_branch .LBB6_1067
.LBB6_1065:                             ;   in Loop: Header=BB6_1037 Depth=1
	v_mov_b64_e32 v[16:17], 0
.LBB6_1066:                             ;   in Loop: Header=BB6_1037 Depth=1
	s_mov_b32 s24, 0
	s_cbranch_execnz .LBB6_1068
.LBB6_1067:                             ;   in Loop: Header=BB6_1037 Depth=1
	global_load_dwordx2 v[16:17], v33, s[0:1]
	s_add_i32 s24, s15, -8
	s_add_u32 s0, s0, 8
	s_addc_u32 s1, s1, 0
.LBB6_1068:                             ;   in Loop: Header=BB6_1037 Depth=1
	s_cmp_gt_u32 s24, 7
	s_cbranch_scc1 .LBB6_1072
; %bb.1069:                             ;   in Loop: Header=BB6_1037 Depth=1
	s_cmp_eq_u32 s24, 0
	s_cbranch_scc1 .LBB6_1073
; %bb.1070:                             ;   in Loop: Header=BB6_1037 Depth=1
	s_mov_b64 s[20:21], 0
	v_mov_b64_e32 v[18:19], 0
	s_mov_b64 s[22:23], 0
.LBB6_1071:                             ;   Parent Loop BB6_1037 Depth=1
                                        ; =>  This Inner Loop Header: Depth=2
	s_add_u32 s26, s0, s22
	s_addc_u32 s27, s1, s23
	global_load_ubyte v4, v33, s[26:27]
	s_add_u32 s22, s22, 1
	s_addc_u32 s23, s23, 0
	s_waitcnt vmcnt(0)
	v_and_b32_e32 v32, 0xffff, v4
	v_lshlrev_b64 v[4:5], s20, v[32:33]
	s_add_u32 s20, s20, 8
	s_addc_u32 s21, s21, 0
	v_or_b32_e32 v18, v4, v18
	s_cmp_lg_u32 s24, s22
	v_or_b32_e32 v19, v5, v19
	s_cbranch_scc1 .LBB6_1071
	s_branch .LBB6_1074
.LBB6_1072:                             ;   in Loop: Header=BB6_1037 Depth=1
                                        ; implicit-def: $sgpr15
	s_branch .LBB6_1075
.LBB6_1073:                             ;   in Loop: Header=BB6_1037 Depth=1
	v_mov_b64_e32 v[18:19], 0
.LBB6_1074:                             ;   in Loop: Header=BB6_1037 Depth=1
	s_mov_b32 s15, 0
	s_cbranch_execnz .LBB6_1076
.LBB6_1075:                             ;   in Loop: Header=BB6_1037 Depth=1
	global_load_dwordx2 v[18:19], v33, s[0:1]
	s_add_i32 s15, s24, -8
	s_add_u32 s0, s0, 8
	s_addc_u32 s1, s1, 0
.LBB6_1076:                             ;   in Loop: Header=BB6_1037 Depth=1
	s_cmp_gt_u32 s15, 7
	s_cbranch_scc1 .LBB6_1080
; %bb.1077:                             ;   in Loop: Header=BB6_1037 Depth=1
	s_cmp_eq_u32 s15, 0
	s_cbranch_scc1 .LBB6_1081
; %bb.1078:                             ;   in Loop: Header=BB6_1037 Depth=1
	s_mov_b64 s[20:21], 0
	v_mov_b64_e32 v[20:21], 0
	s_mov_b64 s[22:23], 0
.LBB6_1079:                             ;   Parent Loop BB6_1037 Depth=1
                                        ; =>  This Inner Loop Header: Depth=2
	s_add_u32 s24, s0, s22
	s_addc_u32 s25, s1, s23
	global_load_ubyte v4, v33, s[24:25]
	s_add_u32 s22, s22, 1
	s_addc_u32 s23, s23, 0
	s_waitcnt vmcnt(0)
	v_and_b32_e32 v32, 0xffff, v4
	v_lshlrev_b64 v[4:5], s20, v[32:33]
	s_add_u32 s20, s20, 8
	s_addc_u32 s21, s21, 0
	v_or_b32_e32 v20, v4, v20
	s_cmp_lg_u32 s15, s22
	v_or_b32_e32 v21, v5, v21
	s_cbranch_scc1 .LBB6_1079
	s_branch .LBB6_1082
.LBB6_1080:                             ;   in Loop: Header=BB6_1037 Depth=1
                                        ; implicit-def: $vgpr20_vgpr21
                                        ; implicit-def: $sgpr24
	s_branch .LBB6_1083
.LBB6_1081:                             ;   in Loop: Header=BB6_1037 Depth=1
	v_mov_b64_e32 v[20:21], 0
.LBB6_1082:                             ;   in Loop: Header=BB6_1037 Depth=1
	s_mov_b32 s24, 0
	s_cbranch_execnz .LBB6_1084
.LBB6_1083:                             ;   in Loop: Header=BB6_1037 Depth=1
	global_load_dwordx2 v[20:21], v33, s[0:1]
	s_add_i32 s24, s15, -8
	s_add_u32 s0, s0, 8
	s_addc_u32 s1, s1, 0
.LBB6_1084:                             ;   in Loop: Header=BB6_1037 Depth=1
	s_cmp_gt_u32 s24, 7
	s_cbranch_scc1 .LBB6_1088
; %bb.1085:                             ;   in Loop: Header=BB6_1037 Depth=1
	s_cmp_eq_u32 s24, 0
	s_cbranch_scc1 .LBB6_1089
; %bb.1086:                             ;   in Loop: Header=BB6_1037 Depth=1
	s_mov_b64 s[20:21], 0
	v_mov_b64_e32 v[22:23], 0
	s_mov_b64 s[22:23], s[0:1]
.LBB6_1087:                             ;   Parent Loop BB6_1037 Depth=1
                                        ; =>  This Inner Loop Header: Depth=2
	global_load_ubyte v4, v33, s[22:23]
	s_add_i32 s24, s24, -1
	s_waitcnt vmcnt(0)
	v_and_b32_e32 v32, 0xffff, v4
	v_lshlrev_b64 v[4:5], s20, v[32:33]
	s_add_u32 s20, s20, 8
	s_addc_u32 s21, s21, 0
	s_add_u32 s22, s22, 1
	s_addc_u32 s23, s23, 0
	v_or_b32_e32 v22, v4, v22
	s_cmp_lg_u32 s24, 0
	v_or_b32_e32 v23, v5, v23
	s_cbranch_scc1 .LBB6_1087
	s_branch .LBB6_1090
.LBB6_1088:                             ;   in Loop: Header=BB6_1037 Depth=1
	s_branch .LBB6_1091
.LBB6_1089:                             ;   in Loop: Header=BB6_1037 Depth=1
	v_mov_b64_e32 v[22:23], 0
.LBB6_1090:                             ;   in Loop: Header=BB6_1037 Depth=1
	s_cbranch_execnz .LBB6_1092
.LBB6_1091:                             ;   in Loop: Header=BB6_1037 Depth=1
	global_load_dwordx2 v[22:23], v33, s[0:1]
.LBB6_1092:                             ;   in Loop: Header=BB6_1037 Depth=1
	v_readfirstlane_b32 s0, v36
	s_waitcnt vmcnt(0)
	v_mov_b64_e32 v[4:5], 0
	v_cmp_eq_u32_e64 s[0:1], s0, v36
	s_and_saveexec_b64 s[20:21], s[0:1]
	s_cbranch_execz .LBB6_1098
; %bb.1093:                             ;   in Loop: Header=BB6_1037 Depth=1
	global_load_dwordx2 v[26:27], v33, s[2:3] offset:24 sc0 sc1
	s_waitcnt vmcnt(0)
	buffer_inv sc0 sc1
	global_load_dwordx2 v[4:5], v33, s[2:3] offset:40
	global_load_dwordx2 v[8:9], v33, s[2:3]
	s_waitcnt vmcnt(1)
	v_and_b32_e32 v4, v4, v26
	v_and_b32_e32 v5, v5, v27
	v_mul_lo_u32 v5, v5, 24
	v_mul_hi_u32 v24, v4, 24
	v_add_u32_e32 v5, v24, v5
	v_mul_lo_u32 v4, v4, 24
	s_waitcnt vmcnt(0)
	v_lshl_add_u64 v[4:5], v[8:9], 0, v[4:5]
	global_load_dwordx2 v[24:25], v[4:5], off sc0 sc1
	s_waitcnt vmcnt(0)
	global_atomic_cmpswap_x2 v[4:5], v33, v[24:27], s[2:3] offset:24 sc0 sc1
	s_waitcnt vmcnt(0)
	buffer_inv sc0 sc1
	v_cmp_ne_u64_e32 vcc, v[4:5], v[26:27]
	s_and_saveexec_b64 s[22:23], vcc
	s_cbranch_execz .LBB6_1097
; %bb.1094:                             ;   in Loop: Header=BB6_1037 Depth=1
	s_mov_b64 s[24:25], 0
.LBB6_1095:                             ;   Parent Loop BB6_1037 Depth=1
                                        ; =>  This Inner Loop Header: Depth=2
	s_sleep 1
	global_load_dwordx2 v[8:9], v33, s[2:3] offset:40
	global_load_dwordx2 v[24:25], v33, s[2:3]
	v_mov_b64_e32 v[26:27], v[4:5]
	s_waitcnt vmcnt(1)
	v_and_b32_e32 v4, v8, v26
	s_waitcnt vmcnt(0)
	v_mad_u64_u32 v[4:5], s[26:27], v4, 24, v[24:25]
	v_and_b32_e32 v9, v9, v27
	v_mov_b32_e32 v8, v5
	v_mad_u64_u32 v[8:9], s[26:27], v9, 24, v[8:9]
	v_mov_b32_e32 v5, v8
	global_load_dwordx2 v[24:25], v[4:5], off sc0 sc1
	s_waitcnt vmcnt(0)
	global_atomic_cmpswap_x2 v[4:5], v33, v[24:27], s[2:3] offset:24 sc0 sc1
	s_waitcnt vmcnt(0)
	buffer_inv sc0 sc1
	v_cmp_eq_u64_e32 vcc, v[4:5], v[26:27]
	s_or_b64 s[24:25], vcc, s[24:25]
	s_andn2_b64 exec, exec, s[24:25]
	s_cbranch_execnz .LBB6_1095
; %bb.1096:                             ;   in Loop: Header=BB6_1037 Depth=1
	s_or_b64 exec, exec, s[24:25]
.LBB6_1097:                             ;   in Loop: Header=BB6_1037 Depth=1
	s_or_b64 exec, exec, s[22:23]
.LBB6_1098:                             ;   in Loop: Header=BB6_1037 Depth=1
	s_or_b64 exec, exec, s[20:21]
	global_load_dwordx2 v[8:9], v33, s[2:3] offset:40
	global_load_dwordx4 v[24:27], v33, s[2:3]
	v_readfirstlane_b32 s20, v4
	v_readfirstlane_b32 s21, v5
	s_mov_b64 s[22:23], exec
	s_waitcnt vmcnt(1)
	v_readfirstlane_b32 s24, v8
	v_readfirstlane_b32 s25, v9
	s_and_b64 s[24:25], s[20:21], s[24:25]
	s_mul_i32 s15, s25, 24
	s_mul_hi_u32 s26, s24, 24
	s_add_i32 s27, s26, s15
	s_mul_i32 s26, s24, 24
	s_waitcnt vmcnt(0)
	v_lshl_add_u64 v[34:35], v[24:25], 0, s[26:27]
	s_and_saveexec_b64 s[26:27], s[0:1]
	s_cbranch_execz .LBB6_1100
; %bb.1099:                             ;   in Loop: Header=BB6_1037 Depth=1
	v_mov_b64_e32 v[4:5], s[22:23]
	global_store_dwordx4 v[34:35], v[4:7], off offset:8
.LBB6_1100:                             ;   in Loop: Header=BB6_1037 Depth=1
	s_or_b64 exec, exec, s[26:27]
	s_nop 0
	v_or_b32_e32 v5, v2, v30
	v_cmp_gt_u64_e64 vcc, s[16:17], 56
	s_lshl_b32 s15, s18, 2
	s_lshl_b64 s[22:23], s[24:25], 12
	v_cndmask_b32_e32 v2, v5, v2, vcc
	s_add_i32 s15, s15, 28
	v_lshl_add_u64 v[26:27], v[26:27], 0, s[22:23]
	v_or_b32_e32 v4, 0, v3
	s_and_b32 s15, s15, 0x1e0
	v_and_b32_e32 v2, 0xffffff1f, v2
	v_cndmask_b32_e32 v9, v4, v3, vcc
	v_or_b32_e32 v8, s15, v2
	v_readfirstlane_b32 s22, v26
	v_readfirstlane_b32 s23, v27
	s_nop 4
	global_store_dwordx4 v28, v[8:11], s[22:23]
	global_store_dwordx4 v28, v[12:15], s[22:23] offset:16
	global_store_dwordx4 v28, v[16:19], s[22:23] offset:32
	;; [unrolled: 1-line block ×3, first 2 shown]
	s_and_saveexec_b64 s[22:23], s[0:1]
	s_cbranch_execz .LBB6_1108
; %bb.1101:                             ;   in Loop: Header=BB6_1037 Depth=1
	global_load_dwordx2 v[12:13], v33, s[2:3] offset:32 sc0 sc1
	global_load_dwordx2 v[2:3], v33, s[2:3] offset:40
	v_mov_b32_e32 v10, s20
	v_mov_b32_e32 v11, s21
	s_waitcnt vmcnt(0)
	v_readfirstlane_b32 s24, v2
	v_readfirstlane_b32 s25, v3
	s_and_b64 s[24:25], s[24:25], s[20:21]
	s_mul_i32 s15, s25, 24
	s_mul_hi_u32 s25, s24, 24
	s_mul_i32 s24, s24, 24
	s_add_i32 s25, s25, s15
	v_lshl_add_u64 v[8:9], v[24:25], 0, s[24:25]
	global_store_dwordx2 v[8:9], v[12:13], off
	buffer_wbl2 sc0 sc1
	s_waitcnt vmcnt(0)
	global_atomic_cmpswap_x2 v[4:5], v33, v[10:13], s[2:3] offset:32 sc0 sc1
	s_waitcnt vmcnt(0)
	v_cmp_ne_u64_e32 vcc, v[4:5], v[12:13]
	s_and_saveexec_b64 s[24:25], vcc
	s_cbranch_execz .LBB6_1104
; %bb.1102:                             ;   in Loop: Header=BB6_1037 Depth=1
	s_mov_b64 s[26:27], 0
.LBB6_1103:                             ;   Parent Loop BB6_1037 Depth=1
                                        ; =>  This Inner Loop Header: Depth=2
	s_sleep 1
	global_store_dwordx2 v[8:9], v[4:5], off
	v_mov_b32_e32 v2, s20
	v_mov_b32_e32 v3, s21
	buffer_wbl2 sc0 sc1
	s_waitcnt vmcnt(0)
	global_atomic_cmpswap_x2 v[2:3], v33, v[2:5], s[2:3] offset:32 sc0 sc1
	s_waitcnt vmcnt(0)
	v_cmp_eq_u64_e32 vcc, v[2:3], v[4:5]
	s_or_b64 s[26:27], vcc, s[26:27]
	v_mov_b64_e32 v[4:5], v[2:3]
	s_andn2_b64 exec, exec, s[26:27]
	s_cbranch_execnz .LBB6_1103
.LBB6_1104:                             ;   in Loop: Header=BB6_1037 Depth=1
	s_or_b64 exec, exec, s[24:25]
	global_load_dwordx2 v[2:3], v33, s[2:3] offset:16
	s_mov_b64 s[26:27], exec
	v_mbcnt_lo_u32_b32 v4, s26, 0
	v_mbcnt_hi_u32_b32 v4, s27, v4
	v_cmp_eq_u32_e32 vcc, 0, v4
	s_and_saveexec_b64 s[24:25], vcc
	s_cbranch_execz .LBB6_1106
; %bb.1105:                             ;   in Loop: Header=BB6_1037 Depth=1
	s_bcnt1_i32_b64 s15, s[26:27]
	v_mov_b32_e32 v32, s15
	buffer_wbl2 sc0 sc1
	s_waitcnt vmcnt(0)
	global_atomic_add_x2 v[2:3], v[32:33], off offset:8 sc1
.LBB6_1106:                             ;   in Loop: Header=BB6_1037 Depth=1
	s_or_b64 exec, exec, s[24:25]
	s_waitcnt vmcnt(0)
	global_load_dwordx2 v[4:5], v[2:3], off offset:16
	s_waitcnt vmcnt(0)
	v_cmp_eq_u64_e32 vcc, 0, v[4:5]
	s_cbranch_vccnz .LBB6_1108
; %bb.1107:                             ;   in Loop: Header=BB6_1037 Depth=1
	global_load_dword v32, v[2:3], off offset:24
	s_waitcnt vmcnt(0)
	v_and_b32_e32 v2, 0xffffff, v32
	s_nop 0
	v_readfirstlane_b32 m0, v2
	buffer_wbl2 sc0 sc1
	global_store_dwordx2 v[4:5], v[32:33], off sc0 sc1
	s_sendmsg sendmsg(MSG_INTERRUPT)
.LBB6_1108:                             ;   in Loop: Header=BB6_1037 Depth=1
	s_or_b64 exec, exec, s[22:23]
	v_mov_b32_e32 v29, v33
	v_lshl_add_u64 v[2:3], v[26:27], 0, v[28:29]
	s_branch .LBB6_1112
.LBB6_1109:                             ;   in Loop: Header=BB6_1112 Depth=2
	s_or_b64 exec, exec, s[22:23]
	v_readfirstlane_b32 s15, v4
	s_cmp_eq_u32 s15, 0
	s_cbranch_scc1 .LBB6_1111
; %bb.1110:                             ;   in Loop: Header=BB6_1112 Depth=2
	s_sleep 1
	s_cbranch_execnz .LBB6_1112
	s_branch .LBB6_1114
.LBB6_1111:                             ;   in Loop: Header=BB6_1037 Depth=1
	s_branch .LBB6_1114
.LBB6_1112:                             ;   Parent Loop BB6_1037 Depth=1
                                        ; =>  This Inner Loop Header: Depth=2
	v_mov_b32_e32 v4, 1
	s_and_saveexec_b64 s[22:23], s[0:1]
	s_cbranch_execz .LBB6_1109
; %bb.1113:                             ;   in Loop: Header=BB6_1112 Depth=2
	global_load_dword v4, v[34:35], off offset:20 sc0 sc1
	s_waitcnt vmcnt(0)
	buffer_inv sc0 sc1
	v_and_b32_e32 v4, 1, v4
	s_branch .LBB6_1109
.LBB6_1114:                             ;   in Loop: Header=BB6_1037 Depth=1
	global_load_dwordx4 v[2:5], v[2:3], off
	s_and_saveexec_b64 s[22:23], s[0:1]
	s_cbranch_execz .LBB6_1036
; %bb.1115:                             ;   in Loop: Header=BB6_1037 Depth=1
	global_load_dwordx2 v[4:5], v33, s[2:3] offset:40
	global_load_dwordx2 v[12:13], v33, s[2:3] offset:24 sc0 sc1
	global_load_dwordx2 v[14:15], v33, s[2:3]
	s_waitcnt vmcnt(2)
	v_lshl_add_u64 v[8:9], v[4:5], 0, 1
	v_lshl_add_u64 v[16:17], v[8:9], 0, s[20:21]
	v_cmp_eq_u64_e32 vcc, 0, v[16:17]
	s_waitcnt vmcnt(1)
	v_mov_b32_e32 v10, v12
	v_cndmask_b32_e32 v9, v17, v9, vcc
	v_cndmask_b32_e32 v8, v16, v8, vcc
	v_and_b32_e32 v5, v9, v5
	v_and_b32_e32 v4, v8, v4
	v_mul_lo_u32 v5, v5, 24
	v_mul_hi_u32 v11, v4, 24
	v_mul_lo_u32 v4, v4, 24
	v_add_u32_e32 v5, v11, v5
	s_waitcnt vmcnt(0)
	v_lshl_add_u64 v[4:5], v[14:15], 0, v[4:5]
	global_store_dwordx2 v[4:5], v[12:13], off
	v_mov_b32_e32 v11, v13
	buffer_wbl2 sc0 sc1
	s_waitcnt vmcnt(0)
	global_atomic_cmpswap_x2 v[10:11], v33, v[8:11], s[2:3] offset:24 sc0 sc1
	s_waitcnt vmcnt(0)
	v_cmp_ne_u64_e32 vcc, v[10:11], v[12:13]
	s_and_b64 exec, exec, vcc
	s_cbranch_execz .LBB6_1036
; %bb.1116:                             ;   in Loop: Header=BB6_1037 Depth=1
	s_mov_b64 s[0:1], 0
.LBB6_1117:                             ;   Parent Loop BB6_1037 Depth=1
                                        ; =>  This Inner Loop Header: Depth=2
	s_sleep 1
	global_store_dwordx2 v[4:5], v[10:11], off
	buffer_wbl2 sc0 sc1
	s_waitcnt vmcnt(0)
	global_atomic_cmpswap_x2 v[12:13], v33, v[8:11], s[2:3] offset:24 sc0 sc1
	s_waitcnt vmcnt(0)
	v_cmp_eq_u64_e32 vcc, v[12:13], v[10:11]
	s_or_b64 s[0:1], vcc, s[0:1]
	v_mov_b64_e32 v[10:11], v[12:13]
	s_andn2_b64 exec, exec, s[0:1]
	s_cbranch_execnz .LBB6_1117
	s_branch .LBB6_1036
.LBB6_1118:
	s_branch .LBB6_1146
.LBB6_1119:
                                        ; implicit-def: $vgpr2_vgpr3
	s_cbranch_execz .LBB6_1146
; %bb.1120:
	v_readfirstlane_b32 s0, v36
	s_waitcnt vmcnt(0)
	v_mov_b64_e32 v[2:3], 0
	v_cmp_eq_u32_e64 s[0:1], s0, v36
	s_and_saveexec_b64 s[10:11], s[0:1]
	s_cbranch_execz .LBB6_1126
; %bb.1121:
	v_mov_b32_e32 v4, 0
	global_load_dwordx2 v[8:9], v4, s[2:3] offset:24 sc0 sc1
	s_waitcnt vmcnt(0)
	buffer_inv sc0 sc1
	global_load_dwordx2 v[2:3], v4, s[2:3] offset:40
	global_load_dwordx2 v[6:7], v4, s[2:3]
	s_waitcnt vmcnt(1)
	v_and_b32_e32 v2, v2, v8
	v_and_b32_e32 v3, v3, v9
	v_mul_lo_u32 v3, v3, 24
	v_mul_hi_u32 v5, v2, 24
	v_add_u32_e32 v3, v5, v3
	v_mul_lo_u32 v2, v2, 24
	s_waitcnt vmcnt(0)
	v_lshl_add_u64 v[2:3], v[6:7], 0, v[2:3]
	global_load_dwordx2 v[6:7], v[2:3], off sc0 sc1
	s_waitcnt vmcnt(0)
	global_atomic_cmpswap_x2 v[2:3], v4, v[6:9], s[2:3] offset:24 sc0 sc1
	s_waitcnt vmcnt(0)
	buffer_inv sc0 sc1
	v_cmp_ne_u64_e32 vcc, v[2:3], v[8:9]
	s_and_saveexec_b64 s[16:17], vcc
	s_cbranch_execz .LBB6_1125
; %bb.1122:
	s_mov_b64 s[18:19], 0
.LBB6_1123:                             ; =>This Inner Loop Header: Depth=1
	s_sleep 1
	global_load_dwordx2 v[6:7], v4, s[2:3] offset:40
	global_load_dwordx2 v[10:11], v4, s[2:3]
	v_mov_b64_e32 v[8:9], v[2:3]
	s_waitcnt vmcnt(1)
	v_and_b32_e32 v2, v6, v8
	s_waitcnt vmcnt(0)
	v_mad_u64_u32 v[2:3], s[20:21], v2, 24, v[10:11]
	v_and_b32_e32 v5, v7, v9
	v_mov_b32_e32 v6, v3
	v_mad_u64_u32 v[6:7], s[20:21], v5, 24, v[6:7]
	v_mov_b32_e32 v3, v6
	global_load_dwordx2 v[6:7], v[2:3], off sc0 sc1
	s_waitcnt vmcnt(0)
	global_atomic_cmpswap_x2 v[2:3], v4, v[6:9], s[2:3] offset:24 sc0 sc1
	s_waitcnt vmcnt(0)
	buffer_inv sc0 sc1
	v_cmp_eq_u64_e32 vcc, v[2:3], v[8:9]
	s_or_b64 s[18:19], vcc, s[18:19]
	s_andn2_b64 exec, exec, s[18:19]
	s_cbranch_execnz .LBB6_1123
; %bb.1124:
	s_or_b64 exec, exec, s[18:19]
.LBB6_1125:
	s_or_b64 exec, exec, s[16:17]
.LBB6_1126:
	s_or_b64 exec, exec, s[10:11]
	v_mov_b32_e32 v29, 0
	global_load_dwordx2 v[8:9], v29, s[2:3] offset:40
	global_load_dwordx4 v[4:7], v29, s[2:3]
	v_readfirstlane_b32 s10, v2
	v_readfirstlane_b32 s11, v3
	s_mov_b64 s[16:17], exec
	s_waitcnt vmcnt(1)
	v_readfirstlane_b32 s18, v8
	v_readfirstlane_b32 s19, v9
	s_and_b64 s[18:19], s[10:11], s[18:19]
	s_mul_i32 s15, s19, 24
	s_mul_hi_u32 s20, s18, 24
	s_add_i32 s21, s20, s15
	s_mul_i32 s20, s18, 24
	s_waitcnt vmcnt(0)
	v_lshl_add_u64 v[8:9], v[4:5], 0, s[20:21]
	s_and_saveexec_b64 s[20:21], s[0:1]
	s_cbranch_execz .LBB6_1128
; %bb.1127:
	v_mov_b64_e32 v[10:11], s[16:17]
	v_mov_b32_e32 v12, 2
	v_mov_b32_e32 v13, 1
	global_store_dwordx4 v[8:9], v[10:13], off offset:8
.LBB6_1128:
	s_or_b64 exec, exec, s[20:21]
	s_lshl_b64 s[16:17], s[18:19], 12
	v_lshl_add_u64 v[6:7], v[6:7], 0, s[16:17]
	s_movk_i32 s15, 0xff1f
	s_mov_b32 s16, 0
	v_and_or_b32 v0, v0, s15, 32
	v_mov_b32_e32 v2, v29
	v_mov_b32_e32 v3, v29
	v_readfirstlane_b32 s20, v6
	v_readfirstlane_b32 s21, v7
	s_mov_b32 s17, s16
	s_mov_b32 s18, s16
	;; [unrolled: 1-line block ×3, first 2 shown]
	s_nop 1
	global_store_dwordx4 v28, v[0:3], s[20:21]
	s_nop 1
	v_mov_b64_e32 v[0:1], s[16:17]
	v_mov_b64_e32 v[2:3], s[18:19]
	global_store_dwordx4 v28, v[0:3], s[20:21] offset:16
	global_store_dwordx4 v28, v[0:3], s[20:21] offset:32
	;; [unrolled: 1-line block ×3, first 2 shown]
	s_and_saveexec_b64 s[16:17], s[0:1]
	s_cbranch_execz .LBB6_1136
; %bb.1129:
	v_mov_b32_e32 v10, 0
	global_load_dwordx2 v[14:15], v10, s[2:3] offset:32 sc0 sc1
	global_load_dwordx2 v[0:1], v10, s[2:3] offset:40
	v_mov_b32_e32 v12, s10
	v_mov_b32_e32 v13, s11
	s_waitcnt vmcnt(0)
	v_readfirstlane_b32 s18, v0
	v_readfirstlane_b32 s19, v1
	s_and_b64 s[18:19], s[18:19], s[10:11]
	s_mul_i32 s15, s19, 24
	s_mul_hi_u32 s19, s18, 24
	s_mul_i32 s18, s18, 24
	s_add_i32 s19, s19, s15
	v_lshl_add_u64 v[4:5], v[4:5], 0, s[18:19]
	global_store_dwordx2 v[4:5], v[14:15], off
	buffer_wbl2 sc0 sc1
	s_waitcnt vmcnt(0)
	global_atomic_cmpswap_x2 v[2:3], v10, v[12:15], s[2:3] offset:32 sc0 sc1
	s_waitcnt vmcnt(0)
	v_cmp_ne_u64_e32 vcc, v[2:3], v[14:15]
	s_and_saveexec_b64 s[18:19], vcc
	s_cbranch_execz .LBB6_1132
; %bb.1130:
	s_mov_b64 s[20:21], 0
.LBB6_1131:                             ; =>This Inner Loop Header: Depth=1
	s_sleep 1
	global_store_dwordx2 v[4:5], v[2:3], off
	v_mov_b32_e32 v0, s10
	v_mov_b32_e32 v1, s11
	buffer_wbl2 sc0 sc1
	s_waitcnt vmcnt(0)
	global_atomic_cmpswap_x2 v[0:1], v10, v[0:3], s[2:3] offset:32 sc0 sc1
	s_waitcnt vmcnt(0)
	v_cmp_eq_u64_e32 vcc, v[0:1], v[2:3]
	s_or_b64 s[20:21], vcc, s[20:21]
	v_mov_b64_e32 v[2:3], v[0:1]
	s_andn2_b64 exec, exec, s[20:21]
	s_cbranch_execnz .LBB6_1131
.LBB6_1132:
	s_or_b64 exec, exec, s[18:19]
	v_mov_b32_e32 v3, 0
	global_load_dwordx2 v[0:1], v3, s[2:3] offset:16
	s_mov_b64 s[18:19], exec
	v_mbcnt_lo_u32_b32 v2, s18, 0
	v_mbcnt_hi_u32_b32 v2, s19, v2
	v_cmp_eq_u32_e32 vcc, 0, v2
	s_and_saveexec_b64 s[20:21], vcc
	s_cbranch_execz .LBB6_1134
; %bb.1133:
	s_bcnt1_i32_b64 s15, s[18:19]
	v_mov_b32_e32 v2, s15
	buffer_wbl2 sc0 sc1
	s_waitcnt vmcnt(0)
	global_atomic_add_x2 v[0:1], v[2:3], off offset:8 sc1
.LBB6_1134:
	s_or_b64 exec, exec, s[20:21]
	s_waitcnt vmcnt(0)
	global_load_dwordx2 v[2:3], v[0:1], off offset:16
	s_waitcnt vmcnt(0)
	v_cmp_eq_u64_e32 vcc, 0, v[2:3]
	s_cbranch_vccnz .LBB6_1136
; %bb.1135:
	global_load_dword v0, v[0:1], off offset:24
	v_mov_b32_e32 v1, 0
	buffer_wbl2 sc0 sc1
	s_waitcnt vmcnt(0)
	global_store_dwordx2 v[2:3], v[0:1], off sc0 sc1
	v_and_b32_e32 v0, 0xffffff, v0
	s_nop 0
	v_readfirstlane_b32 m0, v0
	s_sendmsg sendmsg(MSG_INTERRUPT)
.LBB6_1136:
	s_or_b64 exec, exec, s[16:17]
	v_lshl_add_u64 v[0:1], v[6:7], 0, v[28:29]
	s_branch .LBB6_1140
.LBB6_1137:                             ;   in Loop: Header=BB6_1140 Depth=1
	s_or_b64 exec, exec, s[16:17]
	v_readfirstlane_b32 s15, v2
	s_cmp_eq_u32 s15, 0
	s_cbranch_scc1 .LBB6_1139
; %bb.1138:                             ;   in Loop: Header=BB6_1140 Depth=1
	s_sleep 1
	s_cbranch_execnz .LBB6_1140
	s_branch .LBB6_1142
.LBB6_1139:
	s_branch .LBB6_1142
.LBB6_1140:                             ; =>This Inner Loop Header: Depth=1
	v_mov_b32_e32 v2, 1
	s_and_saveexec_b64 s[16:17], s[0:1]
	s_cbranch_execz .LBB6_1137
; %bb.1141:                             ;   in Loop: Header=BB6_1140 Depth=1
	global_load_dword v2, v[8:9], off offset:20 sc0 sc1
	s_waitcnt vmcnt(0)
	buffer_inv sc0 sc1
	v_and_b32_e32 v2, 1, v2
	s_branch .LBB6_1137
.LBB6_1142:
	global_load_dwordx2 v[2:3], v[0:1], off
	s_and_saveexec_b64 s[16:17], s[0:1]
	s_cbranch_execz .LBB6_1145
; %bb.1143:
	v_mov_b32_e32 v8, 0
	global_load_dwordx2 v[0:1], v8, s[2:3] offset:40
	global_load_dwordx2 v[10:11], v8, s[2:3] offset:24 sc0 sc1
	global_load_dwordx2 v[12:13], v8, s[2:3]
	s_mov_b64 s[0:1], 0
	s_waitcnt vmcnt(2)
	v_lshl_add_u64 v[4:5], v[0:1], 0, 1
	v_lshl_add_u64 v[14:15], v[4:5], 0, s[10:11]
	v_cmp_eq_u64_e32 vcc, 0, v[14:15]
	s_waitcnt vmcnt(1)
	v_mov_b32_e32 v6, v10
	v_cndmask_b32_e32 v5, v15, v5, vcc
	v_cndmask_b32_e32 v4, v14, v4, vcc
	v_and_b32_e32 v1, v5, v1
	v_and_b32_e32 v0, v4, v0
	v_mul_lo_u32 v1, v1, 24
	v_mul_hi_u32 v7, v0, 24
	v_mul_lo_u32 v0, v0, 24
	v_add_u32_e32 v1, v7, v1
	s_waitcnt vmcnt(0)
	v_lshl_add_u64 v[0:1], v[12:13], 0, v[0:1]
	global_store_dwordx2 v[0:1], v[10:11], off
	v_mov_b32_e32 v7, v11
	buffer_wbl2 sc0 sc1
	s_waitcnt vmcnt(0)
	global_atomic_cmpswap_x2 v[6:7], v8, v[4:7], s[2:3] offset:24 sc0 sc1
	s_waitcnt vmcnt(0)
	v_cmp_ne_u64_e32 vcc, v[6:7], v[10:11]
	s_and_b64 exec, exec, vcc
	s_cbranch_execz .LBB6_1145
.LBB6_1144:                             ; =>This Inner Loop Header: Depth=1
	s_sleep 1
	global_store_dwordx2 v[0:1], v[6:7], off
	buffer_wbl2 sc0 sc1
	s_waitcnt vmcnt(0)
	global_atomic_cmpswap_x2 v[10:11], v8, v[4:7], s[2:3] offset:24 sc0 sc1
	s_waitcnt vmcnt(0)
	v_cmp_eq_u64_e32 vcc, v[10:11], v[6:7]
	s_or_b64 s[0:1], vcc, s[0:1]
	v_mov_b64_e32 v[6:7], v[10:11]
	s_andn2_b64 exec, exec, s[0:1]
	s_cbranch_execnz .LBB6_1144
.LBB6_1145:
	s_or_b64 exec, exec, s[16:17]
.LBB6_1146:
	v_readfirstlane_b32 s0, v36
	s_waitcnt vmcnt(0)
	v_mov_b64_e32 v[0:1], 0
	v_cmp_eq_u32_e64 s[0:1], s0, v36
	s_and_saveexec_b64 s[10:11], s[0:1]
	s_cbranch_execz .LBB6_1152
; %bb.1147:
	v_mov_b32_e32 v4, 0
	global_load_dwordx2 v[8:9], v4, s[2:3] offset:24 sc0 sc1
	s_waitcnt vmcnt(0)
	buffer_inv sc0 sc1
	global_load_dwordx2 v[0:1], v4, s[2:3] offset:40
	global_load_dwordx2 v[6:7], v4, s[2:3]
	s_waitcnt vmcnt(1)
	v_and_b32_e32 v0, v0, v8
	v_and_b32_e32 v1, v1, v9
	v_mul_lo_u32 v1, v1, 24
	v_mul_hi_u32 v5, v0, 24
	v_add_u32_e32 v1, v5, v1
	v_mul_lo_u32 v0, v0, 24
	s_waitcnt vmcnt(0)
	v_lshl_add_u64 v[0:1], v[6:7], 0, v[0:1]
	global_load_dwordx2 v[6:7], v[0:1], off sc0 sc1
	s_waitcnt vmcnt(0)
	global_atomic_cmpswap_x2 v[0:1], v4, v[6:9], s[2:3] offset:24 sc0 sc1
	s_waitcnt vmcnt(0)
	buffer_inv sc0 sc1
	v_cmp_ne_u64_e32 vcc, v[0:1], v[8:9]
	s_and_saveexec_b64 s[16:17], vcc
	s_cbranch_execz .LBB6_1151
; %bb.1148:
	s_mov_b64 s[18:19], 0
.LBB6_1149:                             ; =>This Inner Loop Header: Depth=1
	s_sleep 1
	global_load_dwordx2 v[6:7], v4, s[2:3] offset:40
	global_load_dwordx2 v[10:11], v4, s[2:3]
	v_mov_b64_e32 v[8:9], v[0:1]
	s_waitcnt vmcnt(1)
	v_and_b32_e32 v0, v6, v8
	s_waitcnt vmcnt(0)
	v_mad_u64_u32 v[0:1], s[20:21], v0, 24, v[10:11]
	v_and_b32_e32 v5, v7, v9
	v_mov_b32_e32 v6, v1
	v_mad_u64_u32 v[6:7], s[20:21], v5, 24, v[6:7]
	v_mov_b32_e32 v1, v6
	global_load_dwordx2 v[6:7], v[0:1], off sc0 sc1
	s_waitcnt vmcnt(0)
	global_atomic_cmpswap_x2 v[0:1], v4, v[6:9], s[2:3] offset:24 sc0 sc1
	s_waitcnt vmcnt(0)
	buffer_inv sc0 sc1
	v_cmp_eq_u64_e32 vcc, v[0:1], v[8:9]
	s_or_b64 s[18:19], vcc, s[18:19]
	s_andn2_b64 exec, exec, s[18:19]
	s_cbranch_execnz .LBB6_1149
; %bb.1150:
	s_or_b64 exec, exec, s[18:19]
.LBB6_1151:
	s_or_b64 exec, exec, s[16:17]
.LBB6_1152:
	s_or_b64 exec, exec, s[10:11]
	v_mov_b32_e32 v5, 0
	global_load_dwordx2 v[10:11], v5, s[2:3] offset:40
	global_load_dwordx4 v[6:9], v5, s[2:3]
	v_readfirstlane_b32 s10, v0
	v_readfirstlane_b32 s11, v1
	s_mov_b64 s[16:17], exec
	s_waitcnt vmcnt(1)
	v_readfirstlane_b32 s18, v10
	v_readfirstlane_b32 s19, v11
	s_and_b64 s[18:19], s[10:11], s[18:19]
	s_mul_i32 s15, s19, 24
	s_mul_hi_u32 s20, s18, 24
	s_add_i32 s21, s20, s15
	s_mul_i32 s20, s18, 24
	s_waitcnt vmcnt(0)
	v_lshl_add_u64 v[10:11], v[6:7], 0, s[20:21]
	s_and_saveexec_b64 s[20:21], s[0:1]
	s_cbranch_execz .LBB6_1154
; %bb.1153:
	v_mov_b64_e32 v[12:13], s[16:17]
	v_mov_b32_e32 v14, 2
	v_mov_b32_e32 v15, 1
	global_store_dwordx4 v[10:11], v[12:15], off offset:8
.LBB6_1154:
	s_or_b64 exec, exec, s[20:21]
	s_lshl_b64 s[16:17], s[18:19], 12
	v_lshl_add_u64 v[0:1], v[8:9], 0, s[16:17]
	s_movk_i32 s15, 0xff1d
	s_mov_b32 s16, 0
	v_and_or_b32 v2, v2, s15, 34
	v_mov_b32_e32 v4, 58
	v_readfirstlane_b32 s20, v0
	v_readfirstlane_b32 s21, v1
	s_mov_b32 s17, s16
	s_mov_b32 s18, s16
	;; [unrolled: 1-line block ×3, first 2 shown]
	s_nop 1
	global_store_dwordx4 v28, v[2:5], s[20:21]
	v_mov_b64_e32 v[0:1], s[16:17]
	s_nop 0
	v_mov_b64_e32 v[2:3], s[18:19]
	global_store_dwordx4 v28, v[0:3], s[20:21] offset:16
	global_store_dwordx4 v28, v[0:3], s[20:21] offset:32
	;; [unrolled: 1-line block ×3, first 2 shown]
	s_and_saveexec_b64 s[16:17], s[0:1]
	s_cbranch_execz .LBB6_1162
; %bb.1155:
	v_mov_b32_e32 v8, 0
	global_load_dwordx2 v[14:15], v8, s[2:3] offset:32 sc0 sc1
	global_load_dwordx2 v[0:1], v8, s[2:3] offset:40
	v_mov_b32_e32 v12, s10
	v_mov_b32_e32 v13, s11
	s_waitcnt vmcnt(0)
	v_readfirstlane_b32 s18, v0
	v_readfirstlane_b32 s19, v1
	s_and_b64 s[18:19], s[18:19], s[10:11]
	s_mul_i32 s15, s19, 24
	s_mul_hi_u32 s19, s18, 24
	s_mul_i32 s18, s18, 24
	s_add_i32 s19, s19, s15
	v_lshl_add_u64 v[4:5], v[6:7], 0, s[18:19]
	global_store_dwordx2 v[4:5], v[14:15], off
	buffer_wbl2 sc0 sc1
	s_waitcnt vmcnt(0)
	global_atomic_cmpswap_x2 v[2:3], v8, v[12:15], s[2:3] offset:32 sc0 sc1
	s_waitcnt vmcnt(0)
	v_cmp_ne_u64_e32 vcc, v[2:3], v[14:15]
	s_and_saveexec_b64 s[18:19], vcc
	s_cbranch_execz .LBB6_1158
; %bb.1156:
	s_mov_b64 s[20:21], 0
.LBB6_1157:                             ; =>This Inner Loop Header: Depth=1
	s_sleep 1
	global_store_dwordx2 v[4:5], v[2:3], off
	v_mov_b32_e32 v0, s10
	v_mov_b32_e32 v1, s11
	buffer_wbl2 sc0 sc1
	s_waitcnt vmcnt(0)
	global_atomic_cmpswap_x2 v[0:1], v8, v[0:3], s[2:3] offset:32 sc0 sc1
	s_waitcnt vmcnt(0)
	v_cmp_eq_u64_e32 vcc, v[0:1], v[2:3]
	s_or_b64 s[20:21], vcc, s[20:21]
	v_mov_b64_e32 v[2:3], v[0:1]
	s_andn2_b64 exec, exec, s[20:21]
	s_cbranch_execnz .LBB6_1157
.LBB6_1158:
	s_or_b64 exec, exec, s[18:19]
	v_mov_b32_e32 v3, 0
	global_load_dwordx2 v[0:1], v3, s[2:3] offset:16
	s_mov_b64 s[18:19], exec
	v_mbcnt_lo_u32_b32 v2, s18, 0
	v_mbcnt_hi_u32_b32 v2, s19, v2
	v_cmp_eq_u32_e32 vcc, 0, v2
	s_and_saveexec_b64 s[20:21], vcc
	s_cbranch_execz .LBB6_1160
; %bb.1159:
	s_bcnt1_i32_b64 s15, s[18:19]
	v_mov_b32_e32 v2, s15
	buffer_wbl2 sc0 sc1
	s_waitcnt vmcnt(0)
	global_atomic_add_x2 v[0:1], v[2:3], off offset:8 sc1
.LBB6_1160:
	s_or_b64 exec, exec, s[20:21]
	s_waitcnt vmcnt(0)
	global_load_dwordx2 v[2:3], v[0:1], off offset:16
	s_waitcnt vmcnt(0)
	v_cmp_eq_u64_e32 vcc, 0, v[2:3]
	s_cbranch_vccnz .LBB6_1162
; %bb.1161:
	global_load_dword v0, v[0:1], off offset:24
	v_mov_b32_e32 v1, 0
	buffer_wbl2 sc0 sc1
	s_waitcnt vmcnt(0)
	global_store_dwordx2 v[2:3], v[0:1], off sc0 sc1
	v_and_b32_e32 v0, 0xffffff, v0
	s_nop 0
	v_readfirstlane_b32 m0, v0
	s_sendmsg sendmsg(MSG_INTERRUPT)
.LBB6_1162:
	s_or_b64 exec, exec, s[16:17]
	s_branch .LBB6_1166
.LBB6_1163:                             ;   in Loop: Header=BB6_1166 Depth=1
	s_or_b64 exec, exec, s[16:17]
	v_readfirstlane_b32 s15, v0
	s_cmp_eq_u32 s15, 0
	s_cbranch_scc1 .LBB6_1165
; %bb.1164:                             ;   in Loop: Header=BB6_1166 Depth=1
	s_sleep 1
	s_cbranch_execnz .LBB6_1166
	s_branch .LBB6_1168
.LBB6_1165:
	s_branch .LBB6_1168
.LBB6_1166:                             ; =>This Inner Loop Header: Depth=1
	v_mov_b32_e32 v0, 1
	s_and_saveexec_b64 s[16:17], s[0:1]
	s_cbranch_execz .LBB6_1163
; %bb.1167:                             ;   in Loop: Header=BB6_1166 Depth=1
	global_load_dword v0, v[10:11], off offset:20 sc0 sc1
	s_waitcnt vmcnt(0)
	buffer_inv sc0 sc1
	v_and_b32_e32 v0, 1, v0
	s_branch .LBB6_1163
.LBB6_1168:
	s_and_saveexec_b64 s[16:17], s[0:1]
	s_cbranch_execz .LBB6_1171
; %bb.1169:
	v_mov_b32_e32 v6, 0
	global_load_dwordx2 v[4:5], v6, s[2:3] offset:40
	global_load_dwordx2 v[8:9], v6, s[2:3] offset:24 sc0 sc1
	global_load_dwordx2 v[10:11], v6, s[2:3]
	s_mov_b64 s[0:1], 0
	s_waitcnt vmcnt(2)
	v_lshl_add_u64 v[0:1], v[4:5], 0, 1
	v_lshl_add_u64 v[12:13], v[0:1], 0, s[10:11]
	v_cmp_eq_u64_e32 vcc, 0, v[12:13]
	s_waitcnt vmcnt(1)
	v_mov_b32_e32 v2, v8
	v_cndmask_b32_e32 v1, v13, v1, vcc
	v_cndmask_b32_e32 v0, v12, v0, vcc
	v_and_b32_e32 v3, v1, v5
	v_and_b32_e32 v4, v0, v4
	v_mul_lo_u32 v3, v3, 24
	v_mul_hi_u32 v5, v4, 24
	v_mul_lo_u32 v4, v4, 24
	v_add_u32_e32 v5, v5, v3
	s_waitcnt vmcnt(0)
	v_lshl_add_u64 v[4:5], v[10:11], 0, v[4:5]
	global_store_dwordx2 v[4:5], v[8:9], off
	v_mov_b32_e32 v3, v9
	buffer_wbl2 sc0 sc1
	s_waitcnt vmcnt(0)
	global_atomic_cmpswap_x2 v[2:3], v6, v[0:3], s[2:3] offset:24 sc0 sc1
	s_waitcnt vmcnt(0)
	v_cmp_ne_u64_e32 vcc, v[2:3], v[8:9]
	s_and_b64 exec, exec, vcc
	s_cbranch_execz .LBB6_1171
.LBB6_1170:                             ; =>This Inner Loop Header: Depth=1
	s_sleep 1
	global_store_dwordx2 v[4:5], v[2:3], off
	buffer_wbl2 sc0 sc1
	s_waitcnt vmcnt(0)
	global_atomic_cmpswap_x2 v[8:9], v6, v[0:3], s[2:3] offset:24 sc0 sc1
	s_waitcnt vmcnt(0)
	v_cmp_eq_u64_e32 vcc, v[8:9], v[2:3]
	s_or_b64 s[0:1], vcc, s[0:1]
	v_mov_b64_e32 v[2:3], v[8:9]
	s_andn2_b64 exec, exec, s[0:1]
	s_cbranch_execnz .LBB6_1170
.LBB6_1171:
	s_or_b64 exec, exec, s[16:17]
	v_readfirstlane_b32 s0, v36
	v_mov_b64_e32 v[4:5], 0
	s_nop 0
	v_cmp_eq_u32_e64 s[0:1], s0, v36
	s_and_saveexec_b64 s[10:11], s[0:1]
	s_cbranch_execz .LBB6_1177
; %bb.1172:
	v_mov_b32_e32 v0, 0
	global_load_dwordx2 v[6:7], v0, s[2:3] offset:24 sc0 sc1
	s_waitcnt vmcnt(0)
	buffer_inv sc0 sc1
	global_load_dwordx2 v[2:3], v0, s[2:3] offset:40
	global_load_dwordx2 v[4:5], v0, s[2:3]
	s_waitcnt vmcnt(1)
	v_and_b32_e32 v1, v2, v6
	v_and_b32_e32 v2, v3, v7
	v_mul_lo_u32 v2, v2, 24
	v_mul_hi_u32 v3, v1, 24
	v_add_u32_e32 v3, v3, v2
	v_mul_lo_u32 v2, v1, 24
	s_waitcnt vmcnt(0)
	v_lshl_add_u64 v[2:3], v[4:5], 0, v[2:3]
	global_load_dwordx2 v[4:5], v[2:3], off sc0 sc1
	s_waitcnt vmcnt(0)
	global_atomic_cmpswap_x2 v[4:5], v0, v[4:7], s[2:3] offset:24 sc0 sc1
	s_waitcnt vmcnt(0)
	buffer_inv sc0 sc1
	v_cmp_ne_u64_e32 vcc, v[4:5], v[6:7]
	s_and_saveexec_b64 s[16:17], vcc
	s_cbranch_execz .LBB6_1176
; %bb.1173:
	s_mov_b64 s[18:19], 0
.LBB6_1174:                             ; =>This Inner Loop Header: Depth=1
	s_sleep 1
	global_load_dwordx2 v[2:3], v0, s[2:3] offset:40
	global_load_dwordx2 v[8:9], v0, s[2:3]
	v_mov_b64_e32 v[6:7], v[4:5]
	s_waitcnt vmcnt(1)
	v_and_b32_e32 v2, v2, v6
	v_and_b32_e32 v1, v3, v7
	s_waitcnt vmcnt(0)
	v_mad_u64_u32 v[2:3], s[20:21], v2, 24, v[8:9]
	v_mov_b32_e32 v4, v3
	v_mad_u64_u32 v[4:5], s[20:21], v1, 24, v[4:5]
	v_mov_b32_e32 v3, v4
	global_load_dwordx2 v[4:5], v[2:3], off sc0 sc1
	s_waitcnt vmcnt(0)
	global_atomic_cmpswap_x2 v[4:5], v0, v[4:7], s[2:3] offset:24 sc0 sc1
	s_waitcnt vmcnt(0)
	buffer_inv sc0 sc1
	v_cmp_eq_u64_e32 vcc, v[4:5], v[6:7]
	s_or_b64 s[18:19], vcc, s[18:19]
	s_andn2_b64 exec, exec, s[18:19]
	s_cbranch_execnz .LBB6_1174
; %bb.1175:
	s_or_b64 exec, exec, s[18:19]
.LBB6_1176:
	s_or_b64 exec, exec, s[16:17]
.LBB6_1177:
	s_or_b64 exec, exec, s[10:11]
	v_mov_b32_e32 v29, 0
	global_load_dwordx2 v[6:7], v29, s[2:3] offset:40
	global_load_dwordx4 v[0:3], v29, s[2:3]
	v_readfirstlane_b32 s10, v4
	v_readfirstlane_b32 s11, v5
	s_mov_b64 s[16:17], exec
	s_waitcnt vmcnt(1)
	v_readfirstlane_b32 s18, v6
	v_readfirstlane_b32 s19, v7
	s_and_b64 s[18:19], s[10:11], s[18:19]
	s_mul_i32 s15, s19, 24
	s_mul_hi_u32 s20, s18, 24
	s_add_i32 s21, s20, s15
	s_mul_i32 s20, s18, 24
	s_waitcnt vmcnt(0)
	v_lshl_add_u64 v[4:5], v[0:1], 0, s[20:21]
	s_and_saveexec_b64 s[20:21], s[0:1]
	s_cbranch_execz .LBB6_1179
; %bb.1178:
	v_mov_b64_e32 v[6:7], s[16:17]
	v_mov_b32_e32 v8, 2
	v_mov_b32_e32 v9, 1
	global_store_dwordx4 v[4:5], v[6:9], off offset:8
.LBB6_1179:
	s_or_b64 exec, exec, s[20:21]
	s_lshl_b64 s[16:17], s[18:19], 12
	v_lshl_add_u64 v[6:7], v[2:3], 0, s[16:17]
	s_mov_b32 s16, 0
	v_mov_b32_e32 v8, 33
	v_mov_b32_e32 v9, v29
	;; [unrolled: 1-line block ×4, first 2 shown]
	v_readfirstlane_b32 s20, v6
	v_readfirstlane_b32 s21, v7
	s_mov_b32 s17, s16
	s_mov_b32 s18, s16
	;; [unrolled: 1-line block ×3, first 2 shown]
	s_nop 1
	global_store_dwordx4 v28, v[8:11], s[20:21]
	s_nop 1
	v_mov_b64_e32 v[8:9], s[16:17]
	v_mov_b64_e32 v[10:11], s[18:19]
	global_store_dwordx4 v28, v[8:11], s[20:21] offset:16
	global_store_dwordx4 v28, v[8:11], s[20:21] offset:32
	global_store_dwordx4 v28, v[8:11], s[20:21] offset:48
	s_and_saveexec_b64 s[16:17], s[0:1]
	s_cbranch_execz .LBB6_1187
; %bb.1180:
	v_mov_b32_e32 v10, 0
	global_load_dwordx2 v[14:15], v10, s[2:3] offset:32 sc0 sc1
	global_load_dwordx2 v[2:3], v10, s[2:3] offset:40
	v_mov_b32_e32 v12, s10
	v_mov_b32_e32 v13, s11
	s_waitcnt vmcnt(0)
	v_readfirstlane_b32 s18, v2
	v_readfirstlane_b32 s19, v3
	s_and_b64 s[18:19], s[18:19], s[10:11]
	s_mul_i32 s15, s19, 24
	s_mul_hi_u32 s19, s18, 24
	s_mul_i32 s18, s18, 24
	s_add_i32 s19, s19, s15
	v_lshl_add_u64 v[8:9], v[0:1], 0, s[18:19]
	global_store_dwordx2 v[8:9], v[14:15], off
	buffer_wbl2 sc0 sc1
	s_waitcnt vmcnt(0)
	global_atomic_cmpswap_x2 v[2:3], v10, v[12:15], s[2:3] offset:32 sc0 sc1
	s_waitcnt vmcnt(0)
	v_cmp_ne_u64_e32 vcc, v[2:3], v[14:15]
	s_and_saveexec_b64 s[18:19], vcc
	s_cbranch_execz .LBB6_1183
; %bb.1181:
	s_mov_b64 s[20:21], 0
.LBB6_1182:                             ; =>This Inner Loop Header: Depth=1
	s_sleep 1
	global_store_dwordx2 v[8:9], v[2:3], off
	v_mov_b32_e32 v0, s10
	v_mov_b32_e32 v1, s11
	buffer_wbl2 sc0 sc1
	s_waitcnt vmcnt(0)
	global_atomic_cmpswap_x2 v[0:1], v10, v[0:3], s[2:3] offset:32 sc0 sc1
	s_waitcnt vmcnt(0)
	v_cmp_eq_u64_e32 vcc, v[0:1], v[2:3]
	s_or_b64 s[20:21], vcc, s[20:21]
	v_mov_b64_e32 v[2:3], v[0:1]
	s_andn2_b64 exec, exec, s[20:21]
	s_cbranch_execnz .LBB6_1182
.LBB6_1183:
	s_or_b64 exec, exec, s[18:19]
	v_mov_b32_e32 v3, 0
	global_load_dwordx2 v[0:1], v3, s[2:3] offset:16
	s_mov_b64 s[18:19], exec
	v_mbcnt_lo_u32_b32 v2, s18, 0
	v_mbcnt_hi_u32_b32 v2, s19, v2
	v_cmp_eq_u32_e32 vcc, 0, v2
	s_and_saveexec_b64 s[20:21], vcc
	s_cbranch_execz .LBB6_1185
; %bb.1184:
	s_bcnt1_i32_b64 s15, s[18:19]
	v_mov_b32_e32 v2, s15
	buffer_wbl2 sc0 sc1
	s_waitcnt vmcnt(0)
	global_atomic_add_x2 v[0:1], v[2:3], off offset:8 sc1
.LBB6_1185:
	s_or_b64 exec, exec, s[20:21]
	s_waitcnt vmcnt(0)
	global_load_dwordx2 v[2:3], v[0:1], off offset:16
	s_waitcnt vmcnt(0)
	v_cmp_eq_u64_e32 vcc, 0, v[2:3]
	s_cbranch_vccnz .LBB6_1187
; %bb.1186:
	global_load_dword v0, v[0:1], off offset:24
	v_mov_b32_e32 v1, 0
	buffer_wbl2 sc0 sc1
	s_waitcnt vmcnt(0)
	global_store_dwordx2 v[2:3], v[0:1], off sc0 sc1
	v_and_b32_e32 v0, 0xffffff, v0
	s_nop 0
	v_readfirstlane_b32 m0, v0
	s_sendmsg sendmsg(MSG_INTERRUPT)
.LBB6_1187:
	s_or_b64 exec, exec, s[16:17]
	v_lshl_add_u64 v[0:1], v[6:7], 0, v[28:29]
	s_branch .LBB6_1191
.LBB6_1188:                             ;   in Loop: Header=BB6_1191 Depth=1
	s_or_b64 exec, exec, s[16:17]
	v_readfirstlane_b32 s15, v2
	s_cmp_eq_u32 s15, 0
	s_cbranch_scc1 .LBB6_1190
; %bb.1189:                             ;   in Loop: Header=BB6_1191 Depth=1
	s_sleep 1
	s_cbranch_execnz .LBB6_1191
	s_branch .LBB6_1193
.LBB6_1190:
	s_branch .LBB6_1193
.LBB6_1191:                             ; =>This Inner Loop Header: Depth=1
	v_mov_b32_e32 v2, 1
	s_and_saveexec_b64 s[16:17], s[0:1]
	s_cbranch_execz .LBB6_1188
; %bb.1192:                             ;   in Loop: Header=BB6_1191 Depth=1
	global_load_dword v2, v[4:5], off offset:20 sc0 sc1
	s_waitcnt vmcnt(0)
	buffer_inv sc0 sc1
	v_and_b32_e32 v2, 1, v2
	s_branch .LBB6_1188
.LBB6_1193:
	global_load_dwordx2 v[0:1], v[0:1], off
	s_and_saveexec_b64 s[16:17], s[0:1]
	s_cbranch_execz .LBB6_1196
; %bb.1194:
	v_mov_b32_e32 v8, 0
	global_load_dwordx2 v[6:7], v8, s[2:3] offset:40
	global_load_dwordx2 v[10:11], v8, s[2:3] offset:24 sc0 sc1
	global_load_dwordx2 v[12:13], v8, s[2:3]
	s_mov_b64 s[0:1], 0
	s_waitcnt vmcnt(2)
	v_lshl_add_u64 v[2:3], v[6:7], 0, 1
	v_lshl_add_u64 v[14:15], v[2:3], 0, s[10:11]
	v_cmp_eq_u64_e32 vcc, 0, v[14:15]
	s_waitcnt vmcnt(1)
	v_mov_b32_e32 v4, v10
	v_cndmask_b32_e32 v3, v15, v3, vcc
	v_cndmask_b32_e32 v2, v14, v2, vcc
	v_and_b32_e32 v5, v3, v7
	v_and_b32_e32 v6, v2, v6
	v_mul_lo_u32 v5, v5, 24
	v_mul_hi_u32 v7, v6, 24
	v_mul_lo_u32 v6, v6, 24
	v_add_u32_e32 v7, v7, v5
	s_waitcnt vmcnt(0)
	v_lshl_add_u64 v[6:7], v[12:13], 0, v[6:7]
	global_store_dwordx2 v[6:7], v[10:11], off
	v_mov_b32_e32 v5, v11
	buffer_wbl2 sc0 sc1
	s_waitcnt vmcnt(0)
	global_atomic_cmpswap_x2 v[4:5], v8, v[2:5], s[2:3] offset:24 sc0 sc1
	s_waitcnt vmcnt(0)
	v_cmp_ne_u64_e32 vcc, v[4:5], v[10:11]
	s_and_b64 exec, exec, vcc
	s_cbranch_execz .LBB6_1196
.LBB6_1195:                             ; =>This Inner Loop Header: Depth=1
	s_sleep 1
	global_store_dwordx2 v[6:7], v[4:5], off
	buffer_wbl2 sc0 sc1
	s_waitcnt vmcnt(0)
	global_atomic_cmpswap_x2 v[10:11], v8, v[2:5], s[2:3] offset:24 sc0 sc1
	s_waitcnt vmcnt(0)
	v_cmp_eq_u64_e32 vcc, v[10:11], v[4:5]
	s_or_b64 s[0:1], vcc, s[0:1]
	v_mov_b64_e32 v[4:5], v[10:11]
	s_andn2_b64 exec, exec, s[0:1]
	s_cbranch_execnz .LBB6_1195
.LBB6_1196:
	s_or_b64 exec, exec, s[16:17]
	s_and_b64 vcc, exec, s[6:7]
	s_cbranch_vccz .LBB6_1281
; %bb.1197:
	s_waitcnt vmcnt(0)
	v_and_b32_e32 v30, 2, v0
	v_mov_b32_e32 v33, 0
	v_and_b32_e32 v2, -3, v0
	v_mov_b32_e32 v3, v1
	s_mov_b64 s[10:11], 3
	v_mov_b32_e32 v6, 2
	v_mov_b32_e32 v7, 1
	s_getpc_b64 s[6:7]
	s_add_u32 s6, s6, .str.6@rel32@lo+4
	s_addc_u32 s7, s7, .str.6@rel32@hi+12
	s_branch .LBB6_1199
.LBB6_1198:                             ;   in Loop: Header=BB6_1199 Depth=1
	s_or_b64 exec, exec, s[20:21]
	s_sub_u32 s10, s10, s16
	s_subb_u32 s11, s11, s17
	s_add_u32 s6, s6, s16
	s_addc_u32 s7, s7, s17
	s_cmp_lg_u64 s[10:11], 0
	s_cbranch_scc0 .LBB6_1280
.LBB6_1199:                             ; =>This Loop Header: Depth=1
                                        ;     Child Loop BB6_1202 Depth 2
                                        ;     Child Loop BB6_1209 Depth 2
	;; [unrolled: 1-line block ×11, first 2 shown]
	v_cmp_lt_u64_e64 s[0:1], s[10:11], 56
	s_and_b64 s[0:1], s[0:1], exec
	v_cmp_gt_u64_e64 s[0:1], s[10:11], 7
	s_cselect_b32 s17, s11, 0
	s_cselect_b32 s16, s10, 56
	s_and_b64 vcc, exec, s[0:1]
	s_cbranch_vccnz .LBB6_1204
; %bb.1200:                             ;   in Loop: Header=BB6_1199 Depth=1
	s_mov_b64 s[0:1], 0
	s_cmp_eq_u64 s[10:11], 0
	v_mov_b64_e32 v[10:11], 0
	s_cbranch_scc1 .LBB6_1203
; %bb.1201:                             ;   in Loop: Header=BB6_1199 Depth=1
	s_lshl_b64 s[18:19], s[16:17], 3
	s_mov_b64 s[20:21], 0
	v_mov_b64_e32 v[10:11], 0
	s_mov_b64 s[22:23], s[6:7]
.LBB6_1202:                             ;   Parent Loop BB6_1199 Depth=1
                                        ; =>  This Inner Loop Header: Depth=2
	global_load_ubyte v4, v33, s[22:23]
	s_waitcnt vmcnt(0)
	v_and_b32_e32 v32, 0xffff, v4
	v_lshlrev_b64 v[4:5], s20, v[32:33]
	s_add_u32 s20, s20, 8
	s_addc_u32 s21, s21, 0
	s_add_u32 s22, s22, 1
	s_addc_u32 s23, s23, 0
	v_or_b32_e32 v10, v4, v10
	s_cmp_lg_u32 s18, s20
	v_or_b32_e32 v11, v5, v11
	s_cbranch_scc1 .LBB6_1202
.LBB6_1203:                             ;   in Loop: Header=BB6_1199 Depth=1
	s_mov_b32 s15, 0
	s_andn2_b64 vcc, exec, s[0:1]
	s_mov_b64 s[0:1], s[6:7]
	s_cbranch_vccz .LBB6_1205
	s_branch .LBB6_1206
.LBB6_1204:                             ;   in Loop: Header=BB6_1199 Depth=1
                                        ; implicit-def: $vgpr10_vgpr11
                                        ; implicit-def: $sgpr15
	s_mov_b64 s[0:1], s[6:7]
.LBB6_1205:                             ;   in Loop: Header=BB6_1199 Depth=1
	global_load_dwordx2 v[10:11], v33, s[6:7]
	s_add_i32 s15, s16, -8
	s_add_u32 s0, s6, 8
	s_addc_u32 s1, s7, 0
.LBB6_1206:                             ;   in Loop: Header=BB6_1199 Depth=1
	s_cmp_gt_u32 s15, 7
	s_cbranch_scc1 .LBB6_1210
; %bb.1207:                             ;   in Loop: Header=BB6_1199 Depth=1
	s_cmp_eq_u32 s15, 0
	s_cbranch_scc1 .LBB6_1211
; %bb.1208:                             ;   in Loop: Header=BB6_1199 Depth=1
	s_mov_b64 s[18:19], 0
	v_mov_b64_e32 v[12:13], 0
	s_mov_b64 s[20:21], 0
.LBB6_1209:                             ;   Parent Loop BB6_1199 Depth=1
                                        ; =>  This Inner Loop Header: Depth=2
	s_add_u32 s22, s0, s20
	s_addc_u32 s23, s1, s21
	global_load_ubyte v4, v33, s[22:23]
	s_add_u32 s20, s20, 1
	s_addc_u32 s21, s21, 0
	s_waitcnt vmcnt(0)
	v_and_b32_e32 v32, 0xffff, v4
	v_lshlrev_b64 v[4:5], s18, v[32:33]
	s_add_u32 s18, s18, 8
	s_addc_u32 s19, s19, 0
	v_or_b32_e32 v12, v4, v12
	s_cmp_lg_u32 s15, s20
	v_or_b32_e32 v13, v5, v13
	s_cbranch_scc1 .LBB6_1209
	s_branch .LBB6_1212
.LBB6_1210:                             ;   in Loop: Header=BB6_1199 Depth=1
                                        ; implicit-def: $vgpr12_vgpr13
                                        ; implicit-def: $sgpr22
	s_branch .LBB6_1213
.LBB6_1211:                             ;   in Loop: Header=BB6_1199 Depth=1
	v_mov_b64_e32 v[12:13], 0
.LBB6_1212:                             ;   in Loop: Header=BB6_1199 Depth=1
	s_mov_b32 s22, 0
	s_cbranch_execnz .LBB6_1214
.LBB6_1213:                             ;   in Loop: Header=BB6_1199 Depth=1
	global_load_dwordx2 v[12:13], v33, s[0:1]
	s_add_i32 s22, s15, -8
	s_add_u32 s0, s0, 8
	s_addc_u32 s1, s1, 0
.LBB6_1214:                             ;   in Loop: Header=BB6_1199 Depth=1
	s_cmp_gt_u32 s22, 7
	s_cbranch_scc1 .LBB6_1218
; %bb.1215:                             ;   in Loop: Header=BB6_1199 Depth=1
	s_cmp_eq_u32 s22, 0
	s_cbranch_scc1 .LBB6_1219
; %bb.1216:                             ;   in Loop: Header=BB6_1199 Depth=1
	s_mov_b64 s[18:19], 0
	v_mov_b64_e32 v[14:15], 0
	s_mov_b64 s[20:21], 0
.LBB6_1217:                             ;   Parent Loop BB6_1199 Depth=1
                                        ; =>  This Inner Loop Header: Depth=2
	s_add_u32 s24, s0, s20
	s_addc_u32 s25, s1, s21
	global_load_ubyte v4, v33, s[24:25]
	s_add_u32 s20, s20, 1
	s_addc_u32 s21, s21, 0
	s_waitcnt vmcnt(0)
	v_and_b32_e32 v32, 0xffff, v4
	v_lshlrev_b64 v[4:5], s18, v[32:33]
	s_add_u32 s18, s18, 8
	s_addc_u32 s19, s19, 0
	v_or_b32_e32 v14, v4, v14
	s_cmp_lg_u32 s22, s20
	v_or_b32_e32 v15, v5, v15
	s_cbranch_scc1 .LBB6_1217
	s_branch .LBB6_1220
.LBB6_1218:                             ;   in Loop: Header=BB6_1199 Depth=1
                                        ; implicit-def: $sgpr15
	s_branch .LBB6_1221
.LBB6_1219:                             ;   in Loop: Header=BB6_1199 Depth=1
	v_mov_b64_e32 v[14:15], 0
.LBB6_1220:                             ;   in Loop: Header=BB6_1199 Depth=1
	s_mov_b32 s15, 0
	s_cbranch_execnz .LBB6_1222
.LBB6_1221:                             ;   in Loop: Header=BB6_1199 Depth=1
	global_load_dwordx2 v[14:15], v33, s[0:1]
	s_add_i32 s15, s22, -8
	s_add_u32 s0, s0, 8
	s_addc_u32 s1, s1, 0
.LBB6_1222:                             ;   in Loop: Header=BB6_1199 Depth=1
	s_cmp_gt_u32 s15, 7
	s_cbranch_scc1 .LBB6_1226
; %bb.1223:                             ;   in Loop: Header=BB6_1199 Depth=1
	s_cmp_eq_u32 s15, 0
	s_cbranch_scc1 .LBB6_1227
; %bb.1224:                             ;   in Loop: Header=BB6_1199 Depth=1
	s_mov_b64 s[18:19], 0
	v_mov_b64_e32 v[16:17], 0
	s_mov_b64 s[20:21], 0
.LBB6_1225:                             ;   Parent Loop BB6_1199 Depth=1
                                        ; =>  This Inner Loop Header: Depth=2
	s_add_u32 s22, s0, s20
	s_addc_u32 s23, s1, s21
	global_load_ubyte v4, v33, s[22:23]
	s_add_u32 s20, s20, 1
	s_addc_u32 s21, s21, 0
	s_waitcnt vmcnt(0)
	v_and_b32_e32 v32, 0xffff, v4
	v_lshlrev_b64 v[4:5], s18, v[32:33]
	s_add_u32 s18, s18, 8
	s_addc_u32 s19, s19, 0
	v_or_b32_e32 v16, v4, v16
	s_cmp_lg_u32 s15, s20
	v_or_b32_e32 v17, v5, v17
	s_cbranch_scc1 .LBB6_1225
	s_branch .LBB6_1228
.LBB6_1226:                             ;   in Loop: Header=BB6_1199 Depth=1
                                        ; implicit-def: $vgpr16_vgpr17
                                        ; implicit-def: $sgpr22
	s_branch .LBB6_1229
.LBB6_1227:                             ;   in Loop: Header=BB6_1199 Depth=1
	v_mov_b64_e32 v[16:17], 0
.LBB6_1228:                             ;   in Loop: Header=BB6_1199 Depth=1
	s_mov_b32 s22, 0
	s_cbranch_execnz .LBB6_1230
.LBB6_1229:                             ;   in Loop: Header=BB6_1199 Depth=1
	global_load_dwordx2 v[16:17], v33, s[0:1]
	s_add_i32 s22, s15, -8
	s_add_u32 s0, s0, 8
	s_addc_u32 s1, s1, 0
.LBB6_1230:                             ;   in Loop: Header=BB6_1199 Depth=1
	s_cmp_gt_u32 s22, 7
	s_cbranch_scc1 .LBB6_1234
; %bb.1231:                             ;   in Loop: Header=BB6_1199 Depth=1
	s_cmp_eq_u32 s22, 0
	s_cbranch_scc1 .LBB6_1235
; %bb.1232:                             ;   in Loop: Header=BB6_1199 Depth=1
	s_mov_b64 s[18:19], 0
	v_mov_b64_e32 v[18:19], 0
	s_mov_b64 s[20:21], 0
.LBB6_1233:                             ;   Parent Loop BB6_1199 Depth=1
                                        ; =>  This Inner Loop Header: Depth=2
	s_add_u32 s24, s0, s20
	s_addc_u32 s25, s1, s21
	global_load_ubyte v4, v33, s[24:25]
	s_add_u32 s20, s20, 1
	s_addc_u32 s21, s21, 0
	s_waitcnt vmcnt(0)
	v_and_b32_e32 v32, 0xffff, v4
	v_lshlrev_b64 v[4:5], s18, v[32:33]
	s_add_u32 s18, s18, 8
	s_addc_u32 s19, s19, 0
	v_or_b32_e32 v18, v4, v18
	s_cmp_lg_u32 s22, s20
	v_or_b32_e32 v19, v5, v19
	s_cbranch_scc1 .LBB6_1233
	s_branch .LBB6_1236
.LBB6_1234:                             ;   in Loop: Header=BB6_1199 Depth=1
                                        ; implicit-def: $sgpr15
	s_branch .LBB6_1237
.LBB6_1235:                             ;   in Loop: Header=BB6_1199 Depth=1
	v_mov_b64_e32 v[18:19], 0
.LBB6_1236:                             ;   in Loop: Header=BB6_1199 Depth=1
	s_mov_b32 s15, 0
	s_cbranch_execnz .LBB6_1238
.LBB6_1237:                             ;   in Loop: Header=BB6_1199 Depth=1
	global_load_dwordx2 v[18:19], v33, s[0:1]
	s_add_i32 s15, s22, -8
	s_add_u32 s0, s0, 8
	s_addc_u32 s1, s1, 0
.LBB6_1238:                             ;   in Loop: Header=BB6_1199 Depth=1
	s_cmp_gt_u32 s15, 7
	s_cbranch_scc1 .LBB6_1242
; %bb.1239:                             ;   in Loop: Header=BB6_1199 Depth=1
	s_cmp_eq_u32 s15, 0
	s_cbranch_scc1 .LBB6_1243
; %bb.1240:                             ;   in Loop: Header=BB6_1199 Depth=1
	s_mov_b64 s[18:19], 0
	v_mov_b64_e32 v[20:21], 0
	s_mov_b64 s[20:21], 0
.LBB6_1241:                             ;   Parent Loop BB6_1199 Depth=1
                                        ; =>  This Inner Loop Header: Depth=2
	s_add_u32 s22, s0, s20
	s_addc_u32 s23, s1, s21
	global_load_ubyte v4, v33, s[22:23]
	s_add_u32 s20, s20, 1
	s_addc_u32 s21, s21, 0
	s_waitcnt vmcnt(0)
	v_and_b32_e32 v32, 0xffff, v4
	v_lshlrev_b64 v[4:5], s18, v[32:33]
	s_add_u32 s18, s18, 8
	s_addc_u32 s19, s19, 0
	v_or_b32_e32 v20, v4, v20
	s_cmp_lg_u32 s15, s20
	v_or_b32_e32 v21, v5, v21
	s_cbranch_scc1 .LBB6_1241
	s_branch .LBB6_1244
.LBB6_1242:                             ;   in Loop: Header=BB6_1199 Depth=1
                                        ; implicit-def: $vgpr20_vgpr21
                                        ; implicit-def: $sgpr22
	s_branch .LBB6_1245
.LBB6_1243:                             ;   in Loop: Header=BB6_1199 Depth=1
	v_mov_b64_e32 v[20:21], 0
.LBB6_1244:                             ;   in Loop: Header=BB6_1199 Depth=1
	s_mov_b32 s22, 0
	s_cbranch_execnz .LBB6_1246
.LBB6_1245:                             ;   in Loop: Header=BB6_1199 Depth=1
	global_load_dwordx2 v[20:21], v33, s[0:1]
	s_add_i32 s22, s15, -8
	s_add_u32 s0, s0, 8
	s_addc_u32 s1, s1, 0
.LBB6_1246:                             ;   in Loop: Header=BB6_1199 Depth=1
	s_cmp_gt_u32 s22, 7
	s_cbranch_scc1 .LBB6_1250
; %bb.1247:                             ;   in Loop: Header=BB6_1199 Depth=1
	s_cmp_eq_u32 s22, 0
	s_cbranch_scc1 .LBB6_1251
; %bb.1248:                             ;   in Loop: Header=BB6_1199 Depth=1
	s_mov_b64 s[18:19], 0
	v_mov_b64_e32 v[22:23], 0
	s_mov_b64 s[20:21], s[0:1]
.LBB6_1249:                             ;   Parent Loop BB6_1199 Depth=1
                                        ; =>  This Inner Loop Header: Depth=2
	global_load_ubyte v4, v33, s[20:21]
	s_add_i32 s22, s22, -1
	s_waitcnt vmcnt(0)
	v_and_b32_e32 v32, 0xffff, v4
	v_lshlrev_b64 v[4:5], s18, v[32:33]
	s_add_u32 s18, s18, 8
	s_addc_u32 s19, s19, 0
	s_add_u32 s20, s20, 1
	s_addc_u32 s21, s21, 0
	v_or_b32_e32 v22, v4, v22
	s_cmp_lg_u32 s22, 0
	v_or_b32_e32 v23, v5, v23
	s_cbranch_scc1 .LBB6_1249
	s_branch .LBB6_1252
.LBB6_1250:                             ;   in Loop: Header=BB6_1199 Depth=1
	s_branch .LBB6_1253
.LBB6_1251:                             ;   in Loop: Header=BB6_1199 Depth=1
	v_mov_b64_e32 v[22:23], 0
.LBB6_1252:                             ;   in Loop: Header=BB6_1199 Depth=1
	s_cbranch_execnz .LBB6_1254
.LBB6_1253:                             ;   in Loop: Header=BB6_1199 Depth=1
	global_load_dwordx2 v[22:23], v33, s[0:1]
.LBB6_1254:                             ;   in Loop: Header=BB6_1199 Depth=1
	v_readfirstlane_b32 s0, v36
	s_waitcnt vmcnt(0)
	v_mov_b64_e32 v[4:5], 0
	v_cmp_eq_u32_e64 s[0:1], s0, v36
	s_and_saveexec_b64 s[18:19], s[0:1]
	s_cbranch_execz .LBB6_1260
; %bb.1255:                             ;   in Loop: Header=BB6_1199 Depth=1
	global_load_dwordx2 v[26:27], v33, s[2:3] offset:24 sc0 sc1
	s_waitcnt vmcnt(0)
	buffer_inv sc0 sc1
	global_load_dwordx2 v[4:5], v33, s[2:3] offset:40
	global_load_dwordx2 v[8:9], v33, s[2:3]
	s_waitcnt vmcnt(1)
	v_and_b32_e32 v4, v4, v26
	v_and_b32_e32 v5, v5, v27
	v_mul_lo_u32 v5, v5, 24
	v_mul_hi_u32 v24, v4, 24
	v_add_u32_e32 v5, v24, v5
	v_mul_lo_u32 v4, v4, 24
	s_waitcnt vmcnt(0)
	v_lshl_add_u64 v[4:5], v[8:9], 0, v[4:5]
	global_load_dwordx2 v[24:25], v[4:5], off sc0 sc1
	s_waitcnt vmcnt(0)
	global_atomic_cmpswap_x2 v[4:5], v33, v[24:27], s[2:3] offset:24 sc0 sc1
	s_waitcnt vmcnt(0)
	buffer_inv sc0 sc1
	v_cmp_ne_u64_e32 vcc, v[4:5], v[26:27]
	s_and_saveexec_b64 s[20:21], vcc
	s_cbranch_execz .LBB6_1259
; %bb.1256:                             ;   in Loop: Header=BB6_1199 Depth=1
	s_mov_b64 s[22:23], 0
.LBB6_1257:                             ;   Parent Loop BB6_1199 Depth=1
                                        ; =>  This Inner Loop Header: Depth=2
	s_sleep 1
	global_load_dwordx2 v[8:9], v33, s[2:3] offset:40
	global_load_dwordx2 v[24:25], v33, s[2:3]
	v_mov_b64_e32 v[26:27], v[4:5]
	s_waitcnt vmcnt(1)
	v_and_b32_e32 v4, v8, v26
	s_waitcnt vmcnt(0)
	v_mad_u64_u32 v[4:5], s[24:25], v4, 24, v[24:25]
	v_and_b32_e32 v9, v9, v27
	v_mov_b32_e32 v8, v5
	v_mad_u64_u32 v[8:9], s[24:25], v9, 24, v[8:9]
	v_mov_b32_e32 v5, v8
	global_load_dwordx2 v[24:25], v[4:5], off sc0 sc1
	s_waitcnt vmcnt(0)
	global_atomic_cmpswap_x2 v[4:5], v33, v[24:27], s[2:3] offset:24 sc0 sc1
	s_waitcnt vmcnt(0)
	buffer_inv sc0 sc1
	v_cmp_eq_u64_e32 vcc, v[4:5], v[26:27]
	s_or_b64 s[22:23], vcc, s[22:23]
	s_andn2_b64 exec, exec, s[22:23]
	s_cbranch_execnz .LBB6_1257
; %bb.1258:                             ;   in Loop: Header=BB6_1199 Depth=1
	s_or_b64 exec, exec, s[22:23]
.LBB6_1259:                             ;   in Loop: Header=BB6_1199 Depth=1
	s_or_b64 exec, exec, s[20:21]
.LBB6_1260:                             ;   in Loop: Header=BB6_1199 Depth=1
	s_or_b64 exec, exec, s[18:19]
	global_load_dwordx2 v[8:9], v33, s[2:3] offset:40
	global_load_dwordx4 v[24:27], v33, s[2:3]
	v_readfirstlane_b32 s18, v4
	v_readfirstlane_b32 s19, v5
	s_mov_b64 s[20:21], exec
	s_waitcnt vmcnt(1)
	v_readfirstlane_b32 s22, v8
	v_readfirstlane_b32 s23, v9
	s_and_b64 s[22:23], s[18:19], s[22:23]
	s_mul_i32 s15, s23, 24
	s_mul_hi_u32 s24, s22, 24
	s_add_i32 s25, s24, s15
	s_mul_i32 s24, s22, 24
	s_waitcnt vmcnt(0)
	v_lshl_add_u64 v[34:35], v[24:25], 0, s[24:25]
	s_and_saveexec_b64 s[24:25], s[0:1]
	s_cbranch_execz .LBB6_1262
; %bb.1261:                             ;   in Loop: Header=BB6_1199 Depth=1
	v_mov_b64_e32 v[4:5], s[20:21]
	global_store_dwordx4 v[34:35], v[4:7], off offset:8
.LBB6_1262:                             ;   in Loop: Header=BB6_1199 Depth=1
	s_or_b64 exec, exec, s[24:25]
	s_nop 0
	v_or_b32_e32 v5, v2, v30
	v_cmp_gt_u64_e64 vcc, s[10:11], 56
	s_lshl_b32 s15, s16, 2
	s_lshl_b64 s[20:21], s[22:23], 12
	v_cndmask_b32_e32 v2, v5, v2, vcc
	s_add_i32 s15, s15, 28
	v_lshl_add_u64 v[26:27], v[26:27], 0, s[20:21]
	v_or_b32_e32 v4, 0, v3
	s_and_b32 s15, s15, 0x1e0
	v_and_b32_e32 v2, 0xffffff1f, v2
	v_cndmask_b32_e32 v9, v4, v3, vcc
	v_or_b32_e32 v8, s15, v2
	v_readfirstlane_b32 s20, v26
	v_readfirstlane_b32 s21, v27
	s_nop 4
	global_store_dwordx4 v28, v[8:11], s[20:21]
	global_store_dwordx4 v28, v[12:15], s[20:21] offset:16
	global_store_dwordx4 v28, v[16:19], s[20:21] offset:32
	global_store_dwordx4 v28, v[20:23], s[20:21] offset:48
	s_and_saveexec_b64 s[20:21], s[0:1]
	s_cbranch_execz .LBB6_1270
; %bb.1263:                             ;   in Loop: Header=BB6_1199 Depth=1
	global_load_dwordx2 v[12:13], v33, s[2:3] offset:32 sc0 sc1
	global_load_dwordx2 v[2:3], v33, s[2:3] offset:40
	v_mov_b32_e32 v10, s18
	v_mov_b32_e32 v11, s19
	s_waitcnt vmcnt(0)
	v_readfirstlane_b32 s22, v2
	v_readfirstlane_b32 s23, v3
	s_and_b64 s[22:23], s[22:23], s[18:19]
	s_mul_i32 s15, s23, 24
	s_mul_hi_u32 s23, s22, 24
	s_mul_i32 s22, s22, 24
	s_add_i32 s23, s23, s15
	v_lshl_add_u64 v[8:9], v[24:25], 0, s[22:23]
	global_store_dwordx2 v[8:9], v[12:13], off
	buffer_wbl2 sc0 sc1
	s_waitcnt vmcnt(0)
	global_atomic_cmpswap_x2 v[4:5], v33, v[10:13], s[2:3] offset:32 sc0 sc1
	s_waitcnt vmcnt(0)
	v_cmp_ne_u64_e32 vcc, v[4:5], v[12:13]
	s_and_saveexec_b64 s[22:23], vcc
	s_cbranch_execz .LBB6_1266
; %bb.1264:                             ;   in Loop: Header=BB6_1199 Depth=1
	s_mov_b64 s[24:25], 0
.LBB6_1265:                             ;   Parent Loop BB6_1199 Depth=1
                                        ; =>  This Inner Loop Header: Depth=2
	s_sleep 1
	global_store_dwordx2 v[8:9], v[4:5], off
	v_mov_b32_e32 v2, s18
	v_mov_b32_e32 v3, s19
	buffer_wbl2 sc0 sc1
	s_waitcnt vmcnt(0)
	global_atomic_cmpswap_x2 v[2:3], v33, v[2:5], s[2:3] offset:32 sc0 sc1
	s_waitcnt vmcnt(0)
	v_cmp_eq_u64_e32 vcc, v[2:3], v[4:5]
	s_or_b64 s[24:25], vcc, s[24:25]
	v_mov_b64_e32 v[4:5], v[2:3]
	s_andn2_b64 exec, exec, s[24:25]
	s_cbranch_execnz .LBB6_1265
.LBB6_1266:                             ;   in Loop: Header=BB6_1199 Depth=1
	s_or_b64 exec, exec, s[22:23]
	global_load_dwordx2 v[2:3], v33, s[2:3] offset:16
	s_mov_b64 s[24:25], exec
	v_mbcnt_lo_u32_b32 v4, s24, 0
	v_mbcnt_hi_u32_b32 v4, s25, v4
	v_cmp_eq_u32_e32 vcc, 0, v4
	s_and_saveexec_b64 s[22:23], vcc
	s_cbranch_execz .LBB6_1268
; %bb.1267:                             ;   in Loop: Header=BB6_1199 Depth=1
	s_bcnt1_i32_b64 s15, s[24:25]
	v_mov_b32_e32 v32, s15
	buffer_wbl2 sc0 sc1
	s_waitcnt vmcnt(0)
	global_atomic_add_x2 v[2:3], v[32:33], off offset:8 sc1
.LBB6_1268:                             ;   in Loop: Header=BB6_1199 Depth=1
	s_or_b64 exec, exec, s[22:23]
	s_waitcnt vmcnt(0)
	global_load_dwordx2 v[4:5], v[2:3], off offset:16
	s_waitcnt vmcnt(0)
	v_cmp_eq_u64_e32 vcc, 0, v[4:5]
	s_cbranch_vccnz .LBB6_1270
; %bb.1269:                             ;   in Loop: Header=BB6_1199 Depth=1
	global_load_dword v32, v[2:3], off offset:24
	s_waitcnt vmcnt(0)
	v_and_b32_e32 v2, 0xffffff, v32
	s_nop 0
	v_readfirstlane_b32 m0, v2
	buffer_wbl2 sc0 sc1
	global_store_dwordx2 v[4:5], v[32:33], off sc0 sc1
	s_sendmsg sendmsg(MSG_INTERRUPT)
.LBB6_1270:                             ;   in Loop: Header=BB6_1199 Depth=1
	s_or_b64 exec, exec, s[20:21]
	v_mov_b32_e32 v29, v33
	v_lshl_add_u64 v[2:3], v[26:27], 0, v[28:29]
	s_branch .LBB6_1274
.LBB6_1271:                             ;   in Loop: Header=BB6_1274 Depth=2
	s_or_b64 exec, exec, s[20:21]
	v_readfirstlane_b32 s15, v4
	s_cmp_eq_u32 s15, 0
	s_cbranch_scc1 .LBB6_1273
; %bb.1272:                             ;   in Loop: Header=BB6_1274 Depth=2
	s_sleep 1
	s_cbranch_execnz .LBB6_1274
	s_branch .LBB6_1276
.LBB6_1273:                             ;   in Loop: Header=BB6_1199 Depth=1
	s_branch .LBB6_1276
.LBB6_1274:                             ;   Parent Loop BB6_1199 Depth=1
                                        ; =>  This Inner Loop Header: Depth=2
	v_mov_b32_e32 v4, 1
	s_and_saveexec_b64 s[20:21], s[0:1]
	s_cbranch_execz .LBB6_1271
; %bb.1275:                             ;   in Loop: Header=BB6_1274 Depth=2
	global_load_dword v4, v[34:35], off offset:20 sc0 sc1
	s_waitcnt vmcnt(0)
	buffer_inv sc0 sc1
	v_and_b32_e32 v4, 1, v4
	s_branch .LBB6_1271
.LBB6_1276:                             ;   in Loop: Header=BB6_1199 Depth=1
	global_load_dwordx4 v[2:5], v[2:3], off
	s_and_saveexec_b64 s[20:21], s[0:1]
	s_cbranch_execz .LBB6_1198
; %bb.1277:                             ;   in Loop: Header=BB6_1199 Depth=1
	global_load_dwordx2 v[4:5], v33, s[2:3] offset:40
	global_load_dwordx2 v[12:13], v33, s[2:3] offset:24 sc0 sc1
	global_load_dwordx2 v[14:15], v33, s[2:3]
	s_waitcnt vmcnt(2)
	v_lshl_add_u64 v[8:9], v[4:5], 0, 1
	v_lshl_add_u64 v[16:17], v[8:9], 0, s[18:19]
	v_cmp_eq_u64_e32 vcc, 0, v[16:17]
	s_waitcnt vmcnt(1)
	v_mov_b32_e32 v10, v12
	v_cndmask_b32_e32 v9, v17, v9, vcc
	v_cndmask_b32_e32 v8, v16, v8, vcc
	v_and_b32_e32 v5, v9, v5
	v_and_b32_e32 v4, v8, v4
	v_mul_lo_u32 v5, v5, 24
	v_mul_hi_u32 v11, v4, 24
	v_mul_lo_u32 v4, v4, 24
	v_add_u32_e32 v5, v11, v5
	s_waitcnt vmcnt(0)
	v_lshl_add_u64 v[4:5], v[14:15], 0, v[4:5]
	global_store_dwordx2 v[4:5], v[12:13], off
	v_mov_b32_e32 v11, v13
	buffer_wbl2 sc0 sc1
	s_waitcnt vmcnt(0)
	global_atomic_cmpswap_x2 v[10:11], v33, v[8:11], s[2:3] offset:24 sc0 sc1
	s_waitcnt vmcnt(0)
	v_cmp_ne_u64_e32 vcc, v[10:11], v[12:13]
	s_and_b64 exec, exec, vcc
	s_cbranch_execz .LBB6_1198
; %bb.1278:                             ;   in Loop: Header=BB6_1199 Depth=1
	s_mov_b64 s[0:1], 0
.LBB6_1279:                             ;   Parent Loop BB6_1199 Depth=1
                                        ; =>  This Inner Loop Header: Depth=2
	s_sleep 1
	global_store_dwordx2 v[4:5], v[10:11], off
	buffer_wbl2 sc0 sc1
	s_waitcnt vmcnt(0)
	global_atomic_cmpswap_x2 v[12:13], v33, v[8:11], s[2:3] offset:24 sc0 sc1
	s_waitcnt vmcnt(0)
	v_cmp_eq_u64_e32 vcc, v[12:13], v[10:11]
	s_or_b64 s[0:1], vcc, s[0:1]
	v_mov_b64_e32 v[10:11], v[12:13]
	s_andn2_b64 exec, exec, s[0:1]
	s_cbranch_execnz .LBB6_1279
	s_branch .LBB6_1198
.LBB6_1280:
	s_branch .LBB6_1308
.LBB6_1281:
                                        ; implicit-def: $vgpr2_vgpr3
	s_cbranch_execz .LBB6_1308
; %bb.1282:
	v_readfirstlane_b32 s0, v36
	s_waitcnt vmcnt(0)
	v_mov_b64_e32 v[2:3], 0
	v_cmp_eq_u32_e64 s[0:1], s0, v36
	s_and_saveexec_b64 s[6:7], s[0:1]
	s_cbranch_execz .LBB6_1288
; %bb.1283:
	v_mov_b32_e32 v4, 0
	global_load_dwordx2 v[8:9], v4, s[2:3] offset:24 sc0 sc1
	s_waitcnt vmcnt(0)
	buffer_inv sc0 sc1
	global_load_dwordx2 v[2:3], v4, s[2:3] offset:40
	global_load_dwordx2 v[6:7], v4, s[2:3]
	s_waitcnt vmcnt(1)
	v_and_b32_e32 v2, v2, v8
	v_and_b32_e32 v3, v3, v9
	v_mul_lo_u32 v3, v3, 24
	v_mul_hi_u32 v5, v2, 24
	v_add_u32_e32 v3, v5, v3
	v_mul_lo_u32 v2, v2, 24
	s_waitcnt vmcnt(0)
	v_lshl_add_u64 v[2:3], v[6:7], 0, v[2:3]
	global_load_dwordx2 v[6:7], v[2:3], off sc0 sc1
	s_waitcnt vmcnt(0)
	global_atomic_cmpswap_x2 v[2:3], v4, v[6:9], s[2:3] offset:24 sc0 sc1
	s_waitcnt vmcnt(0)
	buffer_inv sc0 sc1
	v_cmp_ne_u64_e32 vcc, v[2:3], v[8:9]
	s_and_saveexec_b64 s[10:11], vcc
	s_cbranch_execz .LBB6_1287
; %bb.1284:
	s_mov_b64 s[16:17], 0
.LBB6_1285:                             ; =>This Inner Loop Header: Depth=1
	s_sleep 1
	global_load_dwordx2 v[6:7], v4, s[2:3] offset:40
	global_load_dwordx2 v[10:11], v4, s[2:3]
	v_mov_b64_e32 v[8:9], v[2:3]
	s_waitcnt vmcnt(1)
	v_and_b32_e32 v2, v6, v8
	s_waitcnt vmcnt(0)
	v_mad_u64_u32 v[2:3], s[18:19], v2, 24, v[10:11]
	v_and_b32_e32 v5, v7, v9
	v_mov_b32_e32 v6, v3
	v_mad_u64_u32 v[6:7], s[18:19], v5, 24, v[6:7]
	v_mov_b32_e32 v3, v6
	global_load_dwordx2 v[6:7], v[2:3], off sc0 sc1
	s_waitcnt vmcnt(0)
	global_atomic_cmpswap_x2 v[2:3], v4, v[6:9], s[2:3] offset:24 sc0 sc1
	s_waitcnt vmcnt(0)
	buffer_inv sc0 sc1
	v_cmp_eq_u64_e32 vcc, v[2:3], v[8:9]
	s_or_b64 s[16:17], vcc, s[16:17]
	s_andn2_b64 exec, exec, s[16:17]
	s_cbranch_execnz .LBB6_1285
; %bb.1286:
	s_or_b64 exec, exec, s[16:17]
.LBB6_1287:
	s_or_b64 exec, exec, s[10:11]
.LBB6_1288:
	s_or_b64 exec, exec, s[6:7]
	v_mov_b32_e32 v29, 0
	global_load_dwordx2 v[8:9], v29, s[2:3] offset:40
	global_load_dwordx4 v[4:7], v29, s[2:3]
	v_readfirstlane_b32 s6, v2
	v_readfirstlane_b32 s7, v3
	s_mov_b64 s[10:11], exec
	s_waitcnt vmcnt(1)
	v_readfirstlane_b32 s16, v8
	v_readfirstlane_b32 s17, v9
	s_and_b64 s[16:17], s[6:7], s[16:17]
	s_mul_i32 s15, s17, 24
	s_mul_hi_u32 s18, s16, 24
	s_add_i32 s19, s18, s15
	s_mul_i32 s18, s16, 24
	s_waitcnt vmcnt(0)
	v_lshl_add_u64 v[8:9], v[4:5], 0, s[18:19]
	s_and_saveexec_b64 s[18:19], s[0:1]
	s_cbranch_execz .LBB6_1290
; %bb.1289:
	v_mov_b64_e32 v[10:11], s[10:11]
	v_mov_b32_e32 v12, 2
	v_mov_b32_e32 v13, 1
	global_store_dwordx4 v[8:9], v[10:13], off offset:8
.LBB6_1290:
	s_or_b64 exec, exec, s[18:19]
	s_lshl_b64 s[10:11], s[16:17], 12
	v_lshl_add_u64 v[6:7], v[6:7], 0, s[10:11]
	s_movk_i32 s10, 0xff1f
	s_mov_b32 s16, 0
	v_and_or_b32 v0, v0, s10, 32
	v_mov_b32_e32 v2, v29
	v_mov_b32_e32 v3, v29
	v_readfirstlane_b32 s10, v6
	v_readfirstlane_b32 s11, v7
	s_mov_b32 s17, s16
	s_mov_b32 s18, s16
	;; [unrolled: 1-line block ×3, first 2 shown]
	s_nop 1
	global_store_dwordx4 v28, v[0:3], s[10:11]
	s_nop 1
	v_mov_b64_e32 v[0:1], s[16:17]
	v_mov_b64_e32 v[2:3], s[18:19]
	global_store_dwordx4 v28, v[0:3], s[10:11] offset:16
	global_store_dwordx4 v28, v[0:3], s[10:11] offset:32
	;; [unrolled: 1-line block ×3, first 2 shown]
	s_and_saveexec_b64 s[10:11], s[0:1]
	s_cbranch_execz .LBB6_1298
; %bb.1291:
	v_mov_b32_e32 v10, 0
	global_load_dwordx2 v[14:15], v10, s[2:3] offset:32 sc0 sc1
	global_load_dwordx2 v[0:1], v10, s[2:3] offset:40
	v_mov_b32_e32 v12, s6
	v_mov_b32_e32 v13, s7
	s_waitcnt vmcnt(0)
	v_readfirstlane_b32 s16, v0
	v_readfirstlane_b32 s17, v1
	s_and_b64 s[16:17], s[16:17], s[6:7]
	s_mul_i32 s15, s17, 24
	s_mul_hi_u32 s17, s16, 24
	s_mul_i32 s16, s16, 24
	s_add_i32 s17, s17, s15
	v_lshl_add_u64 v[4:5], v[4:5], 0, s[16:17]
	global_store_dwordx2 v[4:5], v[14:15], off
	buffer_wbl2 sc0 sc1
	s_waitcnt vmcnt(0)
	global_atomic_cmpswap_x2 v[2:3], v10, v[12:15], s[2:3] offset:32 sc0 sc1
	s_waitcnt vmcnt(0)
	v_cmp_ne_u64_e32 vcc, v[2:3], v[14:15]
	s_and_saveexec_b64 s[16:17], vcc
	s_cbranch_execz .LBB6_1294
; %bb.1292:
	s_mov_b64 s[18:19], 0
.LBB6_1293:                             ; =>This Inner Loop Header: Depth=1
	s_sleep 1
	global_store_dwordx2 v[4:5], v[2:3], off
	v_mov_b32_e32 v0, s6
	v_mov_b32_e32 v1, s7
	buffer_wbl2 sc0 sc1
	s_waitcnt vmcnt(0)
	global_atomic_cmpswap_x2 v[0:1], v10, v[0:3], s[2:3] offset:32 sc0 sc1
	s_waitcnt vmcnt(0)
	v_cmp_eq_u64_e32 vcc, v[0:1], v[2:3]
	s_or_b64 s[18:19], vcc, s[18:19]
	v_mov_b64_e32 v[2:3], v[0:1]
	s_andn2_b64 exec, exec, s[18:19]
	s_cbranch_execnz .LBB6_1293
.LBB6_1294:
	s_or_b64 exec, exec, s[16:17]
	v_mov_b32_e32 v3, 0
	global_load_dwordx2 v[0:1], v3, s[2:3] offset:16
	s_mov_b64 s[16:17], exec
	v_mbcnt_lo_u32_b32 v2, s16, 0
	v_mbcnt_hi_u32_b32 v2, s17, v2
	v_cmp_eq_u32_e32 vcc, 0, v2
	s_and_saveexec_b64 s[18:19], vcc
	s_cbranch_execz .LBB6_1296
; %bb.1295:
	s_bcnt1_i32_b64 s15, s[16:17]
	v_mov_b32_e32 v2, s15
	buffer_wbl2 sc0 sc1
	s_waitcnt vmcnt(0)
	global_atomic_add_x2 v[0:1], v[2:3], off offset:8 sc1
.LBB6_1296:
	s_or_b64 exec, exec, s[18:19]
	s_waitcnt vmcnt(0)
	global_load_dwordx2 v[2:3], v[0:1], off offset:16
	s_waitcnt vmcnt(0)
	v_cmp_eq_u64_e32 vcc, 0, v[2:3]
	s_cbranch_vccnz .LBB6_1298
; %bb.1297:
	global_load_dword v0, v[0:1], off offset:24
	v_mov_b32_e32 v1, 0
	buffer_wbl2 sc0 sc1
	s_waitcnt vmcnt(0)
	global_store_dwordx2 v[2:3], v[0:1], off sc0 sc1
	v_and_b32_e32 v0, 0xffffff, v0
	s_nop 0
	v_readfirstlane_b32 m0, v0
	s_sendmsg sendmsg(MSG_INTERRUPT)
.LBB6_1298:
	s_or_b64 exec, exec, s[10:11]
	v_lshl_add_u64 v[0:1], v[6:7], 0, v[28:29]
	s_branch .LBB6_1302
.LBB6_1299:                             ;   in Loop: Header=BB6_1302 Depth=1
	s_or_b64 exec, exec, s[10:11]
	v_readfirstlane_b32 s10, v2
	s_cmp_eq_u32 s10, 0
	s_cbranch_scc1 .LBB6_1301
; %bb.1300:                             ;   in Loop: Header=BB6_1302 Depth=1
	s_sleep 1
	s_cbranch_execnz .LBB6_1302
	s_branch .LBB6_1304
.LBB6_1301:
	s_branch .LBB6_1304
.LBB6_1302:                             ; =>This Inner Loop Header: Depth=1
	v_mov_b32_e32 v2, 1
	s_and_saveexec_b64 s[10:11], s[0:1]
	s_cbranch_execz .LBB6_1299
; %bb.1303:                             ;   in Loop: Header=BB6_1302 Depth=1
	global_load_dword v2, v[8:9], off offset:20 sc0 sc1
	s_waitcnt vmcnt(0)
	buffer_inv sc0 sc1
	v_and_b32_e32 v2, 1, v2
	s_branch .LBB6_1299
.LBB6_1304:
	global_load_dwordx2 v[2:3], v[0:1], off
	s_and_saveexec_b64 s[10:11], s[0:1]
	s_cbranch_execz .LBB6_1307
; %bb.1305:
	v_mov_b32_e32 v8, 0
	global_load_dwordx2 v[0:1], v8, s[2:3] offset:40
	global_load_dwordx2 v[10:11], v8, s[2:3] offset:24 sc0 sc1
	global_load_dwordx2 v[12:13], v8, s[2:3]
	s_mov_b64 s[0:1], 0
	s_waitcnt vmcnt(2)
	v_lshl_add_u64 v[4:5], v[0:1], 0, 1
	v_lshl_add_u64 v[14:15], v[4:5], 0, s[6:7]
	v_cmp_eq_u64_e32 vcc, 0, v[14:15]
	s_waitcnt vmcnt(1)
	v_mov_b32_e32 v6, v10
	v_cndmask_b32_e32 v5, v15, v5, vcc
	v_cndmask_b32_e32 v4, v14, v4, vcc
	v_and_b32_e32 v1, v5, v1
	v_and_b32_e32 v0, v4, v0
	v_mul_lo_u32 v1, v1, 24
	v_mul_hi_u32 v7, v0, 24
	v_mul_lo_u32 v0, v0, 24
	v_add_u32_e32 v1, v7, v1
	s_waitcnt vmcnt(0)
	v_lshl_add_u64 v[0:1], v[12:13], 0, v[0:1]
	global_store_dwordx2 v[0:1], v[10:11], off
	v_mov_b32_e32 v7, v11
	buffer_wbl2 sc0 sc1
	s_waitcnt vmcnt(0)
	global_atomic_cmpswap_x2 v[6:7], v8, v[4:7], s[2:3] offset:24 sc0 sc1
	s_waitcnt vmcnt(0)
	v_cmp_ne_u64_e32 vcc, v[6:7], v[10:11]
	s_and_b64 exec, exec, vcc
	s_cbranch_execz .LBB6_1307
.LBB6_1306:                             ; =>This Inner Loop Header: Depth=1
	s_sleep 1
	global_store_dwordx2 v[0:1], v[6:7], off
	buffer_wbl2 sc0 sc1
	s_waitcnt vmcnt(0)
	global_atomic_cmpswap_x2 v[10:11], v8, v[4:7], s[2:3] offset:24 sc0 sc1
	s_waitcnt vmcnt(0)
	v_cmp_eq_u64_e32 vcc, v[10:11], v[6:7]
	s_or_b64 s[0:1], vcc, s[0:1]
	v_mov_b64_e32 v[6:7], v[10:11]
	s_andn2_b64 exec, exec, s[0:1]
	s_cbranch_execnz .LBB6_1306
.LBB6_1307:
	s_or_b64 exec, exec, s[10:11]
.LBB6_1308:
	v_readfirstlane_b32 s0, v36
	s_waitcnt vmcnt(0)
	v_mov_b64_e32 v[0:1], 0
	v_cmp_eq_u32_e64 s[0:1], s0, v36
	s_and_saveexec_b64 s[6:7], s[0:1]
	s_cbranch_execz .LBB6_1314
; %bb.1309:
	v_mov_b32_e32 v4, 0
	global_load_dwordx2 v[8:9], v4, s[2:3] offset:24 sc0 sc1
	s_waitcnt vmcnt(0)
	buffer_inv sc0 sc1
	global_load_dwordx2 v[0:1], v4, s[2:3] offset:40
	global_load_dwordx2 v[6:7], v4, s[2:3]
	s_waitcnt vmcnt(1)
	v_and_b32_e32 v0, v0, v8
	v_and_b32_e32 v1, v1, v9
	v_mul_lo_u32 v1, v1, 24
	v_mul_hi_u32 v5, v0, 24
	v_add_u32_e32 v1, v5, v1
	v_mul_lo_u32 v0, v0, 24
	s_waitcnt vmcnt(0)
	v_lshl_add_u64 v[0:1], v[6:7], 0, v[0:1]
	global_load_dwordx2 v[6:7], v[0:1], off sc0 sc1
	s_waitcnt vmcnt(0)
	global_atomic_cmpswap_x2 v[0:1], v4, v[6:9], s[2:3] offset:24 sc0 sc1
	s_waitcnt vmcnt(0)
	buffer_inv sc0 sc1
	v_cmp_ne_u64_e32 vcc, v[0:1], v[8:9]
	s_and_saveexec_b64 s[10:11], vcc
	s_cbranch_execz .LBB6_1313
; %bb.1310:
	s_mov_b64 s[16:17], 0
.LBB6_1311:                             ; =>This Inner Loop Header: Depth=1
	s_sleep 1
	global_load_dwordx2 v[6:7], v4, s[2:3] offset:40
	global_load_dwordx2 v[10:11], v4, s[2:3]
	v_mov_b64_e32 v[8:9], v[0:1]
	s_waitcnt vmcnt(1)
	v_and_b32_e32 v0, v6, v8
	s_waitcnt vmcnt(0)
	v_mad_u64_u32 v[0:1], s[18:19], v0, 24, v[10:11]
	v_and_b32_e32 v5, v7, v9
	v_mov_b32_e32 v6, v1
	v_mad_u64_u32 v[6:7], s[18:19], v5, 24, v[6:7]
	v_mov_b32_e32 v1, v6
	global_load_dwordx2 v[6:7], v[0:1], off sc0 sc1
	s_waitcnt vmcnt(0)
	global_atomic_cmpswap_x2 v[0:1], v4, v[6:9], s[2:3] offset:24 sc0 sc1
	s_waitcnt vmcnt(0)
	buffer_inv sc0 sc1
	v_cmp_eq_u64_e32 vcc, v[0:1], v[8:9]
	s_or_b64 s[16:17], vcc, s[16:17]
	s_andn2_b64 exec, exec, s[16:17]
	s_cbranch_execnz .LBB6_1311
; %bb.1312:
	s_or_b64 exec, exec, s[16:17]
.LBB6_1313:
	s_or_b64 exec, exec, s[10:11]
.LBB6_1314:
	s_or_b64 exec, exec, s[6:7]
	v_mov_b32_e32 v5, 0
	global_load_dwordx2 v[10:11], v5, s[2:3] offset:40
	global_load_dwordx4 v[6:9], v5, s[2:3]
	v_readfirstlane_b32 s6, v0
	v_readfirstlane_b32 s7, v1
	s_mov_b64 s[10:11], exec
	s_waitcnt vmcnt(1)
	v_readfirstlane_b32 s16, v10
	v_readfirstlane_b32 s17, v11
	s_and_b64 s[16:17], s[6:7], s[16:17]
	s_mul_i32 s15, s17, 24
	s_mul_hi_u32 s18, s16, 24
	s_add_i32 s19, s18, s15
	s_mul_i32 s18, s16, 24
	s_waitcnt vmcnt(0)
	v_lshl_add_u64 v[10:11], v[6:7], 0, s[18:19]
	s_and_saveexec_b64 s[18:19], s[0:1]
	s_cbranch_execz .LBB6_1316
; %bb.1315:
	v_mov_b64_e32 v[12:13], s[10:11]
	v_mov_b32_e32 v14, 2
	v_mov_b32_e32 v15, 1
	global_store_dwordx4 v[10:11], v[12:15], off offset:8
.LBB6_1316:
	s_or_b64 exec, exec, s[18:19]
	s_lshl_b64 s[10:11], s[16:17], 12
	v_lshl_add_u64 v[0:1], v[8:9], 0, s[10:11]
	s_movk_i32 s10, 0xff1d
	s_mov_b32 s16, 0
	v_and_or_b32 v2, v2, s10, 34
	v_mov_b32_e32 v4, 10
	v_readfirstlane_b32 s10, v0
	v_readfirstlane_b32 s11, v1
	s_mov_b32 s17, s16
	s_mov_b32 s18, s16
	;; [unrolled: 1-line block ×3, first 2 shown]
	s_nop 1
	global_store_dwordx4 v28, v[2:5], s[10:11]
	v_mov_b64_e32 v[0:1], s[16:17]
	s_nop 0
	v_mov_b64_e32 v[2:3], s[18:19]
	global_store_dwordx4 v28, v[0:3], s[10:11] offset:16
	global_store_dwordx4 v28, v[0:3], s[10:11] offset:32
	global_store_dwordx4 v28, v[0:3], s[10:11] offset:48
	s_and_saveexec_b64 s[10:11], s[0:1]
	s_cbranch_execz .LBB6_1324
; %bb.1317:
	v_mov_b32_e32 v8, 0
	global_load_dwordx2 v[14:15], v8, s[2:3] offset:32 sc0 sc1
	global_load_dwordx2 v[0:1], v8, s[2:3] offset:40
	v_mov_b32_e32 v12, s6
	v_mov_b32_e32 v13, s7
	s_waitcnt vmcnt(0)
	v_readfirstlane_b32 s16, v0
	v_readfirstlane_b32 s17, v1
	s_and_b64 s[16:17], s[16:17], s[6:7]
	s_mul_i32 s15, s17, 24
	s_mul_hi_u32 s17, s16, 24
	s_mul_i32 s16, s16, 24
	s_add_i32 s17, s17, s15
	v_lshl_add_u64 v[4:5], v[6:7], 0, s[16:17]
	global_store_dwordx2 v[4:5], v[14:15], off
	buffer_wbl2 sc0 sc1
	s_waitcnt vmcnt(0)
	global_atomic_cmpswap_x2 v[2:3], v8, v[12:15], s[2:3] offset:32 sc0 sc1
	s_waitcnt vmcnt(0)
	v_cmp_ne_u64_e32 vcc, v[2:3], v[14:15]
	s_and_saveexec_b64 s[16:17], vcc
	s_cbranch_execz .LBB6_1320
; %bb.1318:
	s_mov_b64 s[18:19], 0
.LBB6_1319:                             ; =>This Inner Loop Header: Depth=1
	s_sleep 1
	global_store_dwordx2 v[4:5], v[2:3], off
	v_mov_b32_e32 v0, s6
	v_mov_b32_e32 v1, s7
	buffer_wbl2 sc0 sc1
	s_waitcnt vmcnt(0)
	global_atomic_cmpswap_x2 v[0:1], v8, v[0:3], s[2:3] offset:32 sc0 sc1
	s_waitcnt vmcnt(0)
	v_cmp_eq_u64_e32 vcc, v[0:1], v[2:3]
	s_or_b64 s[18:19], vcc, s[18:19]
	v_mov_b64_e32 v[2:3], v[0:1]
	s_andn2_b64 exec, exec, s[18:19]
	s_cbranch_execnz .LBB6_1319
.LBB6_1320:
	s_or_b64 exec, exec, s[16:17]
	v_mov_b32_e32 v3, 0
	global_load_dwordx2 v[0:1], v3, s[2:3] offset:16
	s_mov_b64 s[16:17], exec
	v_mbcnt_lo_u32_b32 v2, s16, 0
	v_mbcnt_hi_u32_b32 v2, s17, v2
	v_cmp_eq_u32_e32 vcc, 0, v2
	s_and_saveexec_b64 s[18:19], vcc
	s_cbranch_execz .LBB6_1322
; %bb.1321:
	s_bcnt1_i32_b64 s15, s[16:17]
	v_mov_b32_e32 v2, s15
	buffer_wbl2 sc0 sc1
	s_waitcnt vmcnt(0)
	global_atomic_add_x2 v[0:1], v[2:3], off offset:8 sc1
.LBB6_1322:
	s_or_b64 exec, exec, s[18:19]
	s_waitcnt vmcnt(0)
	global_load_dwordx2 v[2:3], v[0:1], off offset:16
	s_waitcnt vmcnt(0)
	v_cmp_eq_u64_e32 vcc, 0, v[2:3]
	s_cbranch_vccnz .LBB6_1324
; %bb.1323:
	global_load_dword v0, v[0:1], off offset:24
	v_mov_b32_e32 v1, 0
	buffer_wbl2 sc0 sc1
	s_waitcnt vmcnt(0)
	global_store_dwordx2 v[2:3], v[0:1], off sc0 sc1
	v_and_b32_e32 v0, 0xffffff, v0
	s_nop 0
	v_readfirstlane_b32 m0, v0
	s_sendmsg sendmsg(MSG_INTERRUPT)
.LBB6_1324:
	s_or_b64 exec, exec, s[10:11]
	s_branch .LBB6_1328
.LBB6_1325:                             ;   in Loop: Header=BB6_1328 Depth=1
	s_or_b64 exec, exec, s[10:11]
	v_readfirstlane_b32 s10, v0
	s_cmp_eq_u32 s10, 0
	s_cbranch_scc1 .LBB6_1327
; %bb.1326:                             ;   in Loop: Header=BB6_1328 Depth=1
	s_sleep 1
	s_cbranch_execnz .LBB6_1328
	s_branch .LBB6_1330
.LBB6_1327:
	s_branch .LBB6_1330
.LBB6_1328:                             ; =>This Inner Loop Header: Depth=1
	v_mov_b32_e32 v0, 1
	s_and_saveexec_b64 s[10:11], s[0:1]
	s_cbranch_execz .LBB6_1325
; %bb.1329:                             ;   in Loop: Header=BB6_1328 Depth=1
	global_load_dword v0, v[10:11], off offset:20 sc0 sc1
	s_waitcnt vmcnt(0)
	buffer_inv sc0 sc1
	v_and_b32_e32 v0, 1, v0
	s_branch .LBB6_1325
.LBB6_1330:
	s_and_saveexec_b64 s[10:11], s[0:1]
	s_cbranch_execz .LBB6_1333
; %bb.1331:
	v_mov_b32_e32 v6, 0
	global_load_dwordx2 v[4:5], v6, s[2:3] offset:40
	global_load_dwordx2 v[8:9], v6, s[2:3] offset:24 sc0 sc1
	global_load_dwordx2 v[10:11], v6, s[2:3]
	s_mov_b64 s[0:1], 0
	s_waitcnt vmcnt(2)
	v_lshl_add_u64 v[0:1], v[4:5], 0, 1
	v_lshl_add_u64 v[12:13], v[0:1], 0, s[6:7]
	v_cmp_eq_u64_e32 vcc, 0, v[12:13]
	s_waitcnt vmcnt(1)
	v_mov_b32_e32 v2, v8
	v_cndmask_b32_e32 v1, v13, v1, vcc
	v_cndmask_b32_e32 v0, v12, v0, vcc
	v_and_b32_e32 v3, v1, v5
	v_and_b32_e32 v4, v0, v4
	v_mul_lo_u32 v3, v3, 24
	v_mul_hi_u32 v5, v4, 24
	v_mul_lo_u32 v4, v4, 24
	v_add_u32_e32 v5, v5, v3
	s_waitcnt vmcnt(0)
	v_lshl_add_u64 v[4:5], v[10:11], 0, v[4:5]
	global_store_dwordx2 v[4:5], v[8:9], off
	v_mov_b32_e32 v3, v9
	buffer_wbl2 sc0 sc1
	s_waitcnt vmcnt(0)
	global_atomic_cmpswap_x2 v[2:3], v6, v[0:3], s[2:3] offset:24 sc0 sc1
	s_waitcnt vmcnt(0)
	v_cmp_ne_u64_e32 vcc, v[2:3], v[8:9]
	s_and_b64 exec, exec, vcc
	s_cbranch_execz .LBB6_1333
.LBB6_1332:                             ; =>This Inner Loop Header: Depth=1
	s_sleep 1
	global_store_dwordx2 v[4:5], v[2:3], off
	buffer_wbl2 sc0 sc1
	s_waitcnt vmcnt(0)
	global_atomic_cmpswap_x2 v[8:9], v6, v[0:3], s[2:3] offset:24 sc0 sc1
	s_waitcnt vmcnt(0)
	v_cmp_eq_u64_e32 vcc, v[8:9], v[2:3]
	s_or_b64 s[0:1], vcc, s[0:1]
	v_mov_b64_e32 v[2:3], v[8:9]
	s_andn2_b64 exec, exec, s[0:1]
	s_cbranch_execnz .LBB6_1332
.LBB6_1333:
	s_or_b64 exec, exec, s[10:11]
	v_readfirstlane_b32 s0, v36
	v_mov_b64_e32 v[4:5], 0
	s_nop 0
	v_cmp_eq_u32_e64 s[0:1], s0, v36
	s_and_saveexec_b64 s[6:7], s[0:1]
	s_cbranch_execz .LBB6_1339
; %bb.1334:
	v_mov_b32_e32 v0, 0
	global_load_dwordx2 v[6:7], v0, s[2:3] offset:24 sc0 sc1
	s_waitcnt vmcnt(0)
	buffer_inv sc0 sc1
	global_load_dwordx2 v[2:3], v0, s[2:3] offset:40
	global_load_dwordx2 v[4:5], v0, s[2:3]
	s_waitcnt vmcnt(1)
	v_and_b32_e32 v1, v2, v6
	v_and_b32_e32 v2, v3, v7
	v_mul_lo_u32 v2, v2, 24
	v_mul_hi_u32 v3, v1, 24
	v_add_u32_e32 v3, v3, v2
	v_mul_lo_u32 v2, v1, 24
	s_waitcnt vmcnt(0)
	v_lshl_add_u64 v[2:3], v[4:5], 0, v[2:3]
	global_load_dwordx2 v[4:5], v[2:3], off sc0 sc1
	s_waitcnt vmcnt(0)
	global_atomic_cmpswap_x2 v[4:5], v0, v[4:7], s[2:3] offset:24 sc0 sc1
	s_waitcnt vmcnt(0)
	buffer_inv sc0 sc1
	v_cmp_ne_u64_e32 vcc, v[4:5], v[6:7]
	s_and_saveexec_b64 s[10:11], vcc
	s_cbranch_execz .LBB6_1338
; %bb.1335:
	s_mov_b64 s[16:17], 0
.LBB6_1336:                             ; =>This Inner Loop Header: Depth=1
	s_sleep 1
	global_load_dwordx2 v[2:3], v0, s[2:3] offset:40
	global_load_dwordx2 v[8:9], v0, s[2:3]
	v_mov_b64_e32 v[6:7], v[4:5]
	s_waitcnt vmcnt(1)
	v_and_b32_e32 v2, v2, v6
	v_and_b32_e32 v1, v3, v7
	s_waitcnt vmcnt(0)
	v_mad_u64_u32 v[2:3], s[18:19], v2, 24, v[8:9]
	v_mov_b32_e32 v4, v3
	v_mad_u64_u32 v[4:5], s[18:19], v1, 24, v[4:5]
	v_mov_b32_e32 v3, v4
	global_load_dwordx2 v[4:5], v[2:3], off sc0 sc1
	s_waitcnt vmcnt(0)
	global_atomic_cmpswap_x2 v[4:5], v0, v[4:7], s[2:3] offset:24 sc0 sc1
	s_waitcnt vmcnt(0)
	buffer_inv sc0 sc1
	v_cmp_eq_u64_e32 vcc, v[4:5], v[6:7]
	s_or_b64 s[16:17], vcc, s[16:17]
	s_andn2_b64 exec, exec, s[16:17]
	s_cbranch_execnz .LBB6_1336
; %bb.1337:
	s_or_b64 exec, exec, s[16:17]
.LBB6_1338:
	s_or_b64 exec, exec, s[10:11]
.LBB6_1339:
	s_or_b64 exec, exec, s[6:7]
	v_mov_b32_e32 v29, 0
	global_load_dwordx2 v[6:7], v29, s[2:3] offset:40
	global_load_dwordx4 v[0:3], v29, s[2:3]
	v_readfirstlane_b32 s6, v4
	v_readfirstlane_b32 s7, v5
	s_mov_b64 s[10:11], exec
	s_waitcnt vmcnt(1)
	v_readfirstlane_b32 s16, v6
	v_readfirstlane_b32 s17, v7
	s_and_b64 s[16:17], s[6:7], s[16:17]
	s_mul_i32 s15, s17, 24
	s_mul_hi_u32 s18, s16, 24
	s_add_i32 s19, s18, s15
	s_mul_i32 s18, s16, 24
	s_waitcnt vmcnt(0)
	v_lshl_add_u64 v[4:5], v[0:1], 0, s[18:19]
	s_and_saveexec_b64 s[18:19], s[0:1]
	s_cbranch_execz .LBB6_1341
; %bb.1340:
	v_mov_b64_e32 v[6:7], s[10:11]
	v_mov_b32_e32 v8, 2
	v_mov_b32_e32 v9, 1
	global_store_dwordx4 v[4:5], v[6:9], off offset:8
.LBB6_1341:
	s_or_b64 exec, exec, s[18:19]
	s_lshl_b64 s[10:11], s[16:17], 12
	v_lshl_add_u64 v[6:7], v[2:3], 0, s[10:11]
	s_mov_b32 s16, 0
	v_mov_b32_e32 v8, 33
	v_mov_b32_e32 v9, v29
	;; [unrolled: 1-line block ×4, first 2 shown]
	v_readfirstlane_b32 s10, v6
	v_readfirstlane_b32 s11, v7
	s_mov_b32 s17, s16
	s_mov_b32 s18, s16
	;; [unrolled: 1-line block ×3, first 2 shown]
	s_nop 1
	global_store_dwordx4 v28, v[8:11], s[10:11]
	s_nop 1
	v_mov_b64_e32 v[8:9], s[16:17]
	v_mov_b64_e32 v[10:11], s[18:19]
	global_store_dwordx4 v28, v[8:11], s[10:11] offset:16
	global_store_dwordx4 v28, v[8:11], s[10:11] offset:32
	global_store_dwordx4 v28, v[8:11], s[10:11] offset:48
	s_and_saveexec_b64 s[10:11], s[0:1]
	s_cbranch_execz .LBB6_1349
; %bb.1342:
	v_mov_b32_e32 v10, 0
	global_load_dwordx2 v[14:15], v10, s[2:3] offset:32 sc0 sc1
	global_load_dwordx2 v[2:3], v10, s[2:3] offset:40
	v_mov_b32_e32 v12, s6
	v_mov_b32_e32 v13, s7
	s_waitcnt vmcnt(0)
	v_readfirstlane_b32 s16, v2
	v_readfirstlane_b32 s17, v3
	s_and_b64 s[16:17], s[16:17], s[6:7]
	s_mul_i32 s15, s17, 24
	s_mul_hi_u32 s17, s16, 24
	s_mul_i32 s16, s16, 24
	s_add_i32 s17, s17, s15
	v_lshl_add_u64 v[8:9], v[0:1], 0, s[16:17]
	global_store_dwordx2 v[8:9], v[14:15], off
	buffer_wbl2 sc0 sc1
	s_waitcnt vmcnt(0)
	global_atomic_cmpswap_x2 v[2:3], v10, v[12:15], s[2:3] offset:32 sc0 sc1
	s_waitcnt vmcnt(0)
	v_cmp_ne_u64_e32 vcc, v[2:3], v[14:15]
	s_and_saveexec_b64 s[16:17], vcc
	s_cbranch_execz .LBB6_1345
; %bb.1343:
	s_mov_b64 s[18:19], 0
.LBB6_1344:                             ; =>This Inner Loop Header: Depth=1
	s_sleep 1
	global_store_dwordx2 v[8:9], v[2:3], off
	v_mov_b32_e32 v0, s6
	v_mov_b32_e32 v1, s7
	buffer_wbl2 sc0 sc1
	s_waitcnt vmcnt(0)
	global_atomic_cmpswap_x2 v[0:1], v10, v[0:3], s[2:3] offset:32 sc0 sc1
	s_waitcnt vmcnt(0)
	v_cmp_eq_u64_e32 vcc, v[0:1], v[2:3]
	s_or_b64 s[18:19], vcc, s[18:19]
	v_mov_b64_e32 v[2:3], v[0:1]
	s_andn2_b64 exec, exec, s[18:19]
	s_cbranch_execnz .LBB6_1344
.LBB6_1345:
	s_or_b64 exec, exec, s[16:17]
	v_mov_b32_e32 v3, 0
	global_load_dwordx2 v[0:1], v3, s[2:3] offset:16
	s_mov_b64 s[16:17], exec
	v_mbcnt_lo_u32_b32 v2, s16, 0
	v_mbcnt_hi_u32_b32 v2, s17, v2
	v_cmp_eq_u32_e32 vcc, 0, v2
	s_and_saveexec_b64 s[18:19], vcc
	s_cbranch_execz .LBB6_1347
; %bb.1346:
	s_bcnt1_i32_b64 s15, s[16:17]
	v_mov_b32_e32 v2, s15
	buffer_wbl2 sc0 sc1
	s_waitcnt vmcnt(0)
	global_atomic_add_x2 v[0:1], v[2:3], off offset:8 sc1
.LBB6_1347:
	s_or_b64 exec, exec, s[18:19]
	s_waitcnt vmcnt(0)
	global_load_dwordx2 v[2:3], v[0:1], off offset:16
	s_waitcnt vmcnt(0)
	v_cmp_eq_u64_e32 vcc, 0, v[2:3]
	s_cbranch_vccnz .LBB6_1349
; %bb.1348:
	global_load_dword v0, v[0:1], off offset:24
	v_mov_b32_e32 v1, 0
	buffer_wbl2 sc0 sc1
	s_waitcnt vmcnt(0)
	global_store_dwordx2 v[2:3], v[0:1], off sc0 sc1
	v_and_b32_e32 v0, 0xffffff, v0
	s_nop 0
	v_readfirstlane_b32 m0, v0
	s_sendmsg sendmsg(MSG_INTERRUPT)
.LBB6_1349:
	s_or_b64 exec, exec, s[10:11]
	v_lshl_add_u64 v[0:1], v[6:7], 0, v[28:29]
	s_branch .LBB6_1353
.LBB6_1350:                             ;   in Loop: Header=BB6_1353 Depth=1
	s_or_b64 exec, exec, s[10:11]
	v_readfirstlane_b32 s10, v2
	s_cmp_eq_u32 s10, 0
	s_cbranch_scc1 .LBB6_1352
; %bb.1351:                             ;   in Loop: Header=BB6_1353 Depth=1
	s_sleep 1
	s_cbranch_execnz .LBB6_1353
	s_branch .LBB6_1355
.LBB6_1352:
	s_branch .LBB6_1355
.LBB6_1353:                             ; =>This Inner Loop Header: Depth=1
	v_mov_b32_e32 v2, 1
	s_and_saveexec_b64 s[10:11], s[0:1]
	s_cbranch_execz .LBB6_1350
; %bb.1354:                             ;   in Loop: Header=BB6_1353 Depth=1
	global_load_dword v2, v[4:5], off offset:20 sc0 sc1
	s_waitcnt vmcnt(0)
	buffer_inv sc0 sc1
	v_and_b32_e32 v2, 1, v2
	s_branch .LBB6_1350
.LBB6_1355:
	global_load_dwordx2 v[4:5], v[0:1], off
	s_and_saveexec_b64 s[10:11], s[0:1]
	s_cbranch_execz .LBB6_1358
; %bb.1356:
	v_mov_b32_e32 v8, 0
	global_load_dwordx2 v[6:7], v8, s[2:3] offset:40
	global_load_dwordx2 v[10:11], v8, s[2:3] offset:24 sc0 sc1
	global_load_dwordx2 v[12:13], v8, s[2:3]
	s_mov_b64 s[0:1], 0
	s_waitcnt vmcnt(2)
	v_lshl_add_u64 v[0:1], v[6:7], 0, 1
	v_lshl_add_u64 v[14:15], v[0:1], 0, s[6:7]
	v_cmp_eq_u64_e32 vcc, 0, v[14:15]
	s_waitcnt vmcnt(1)
	v_mov_b32_e32 v2, v10
	v_cndmask_b32_e32 v1, v15, v1, vcc
	v_cndmask_b32_e32 v0, v14, v0, vcc
	v_and_b32_e32 v3, v1, v7
	v_and_b32_e32 v6, v0, v6
	v_mul_lo_u32 v3, v3, 24
	v_mul_hi_u32 v7, v6, 24
	v_mul_lo_u32 v6, v6, 24
	v_add_u32_e32 v7, v7, v3
	s_waitcnt vmcnt(0)
	v_lshl_add_u64 v[6:7], v[12:13], 0, v[6:7]
	global_store_dwordx2 v[6:7], v[10:11], off
	v_mov_b32_e32 v3, v11
	buffer_wbl2 sc0 sc1
	s_waitcnt vmcnt(0)
	global_atomic_cmpswap_x2 v[2:3], v8, v[0:3], s[2:3] offset:24 sc0 sc1
	s_waitcnt vmcnt(0)
	v_cmp_ne_u64_e32 vcc, v[2:3], v[10:11]
	s_and_b64 exec, exec, vcc
	s_cbranch_execz .LBB6_1358
.LBB6_1357:                             ; =>This Inner Loop Header: Depth=1
	s_sleep 1
	global_store_dwordx2 v[6:7], v[2:3], off
	buffer_wbl2 sc0 sc1
	s_waitcnt vmcnt(0)
	global_atomic_cmpswap_x2 v[10:11], v8, v[0:3], s[2:3] offset:24 sc0 sc1
	s_waitcnt vmcnt(0)
	v_cmp_eq_u64_e32 vcc, v[10:11], v[2:3]
	s_or_b64 s[0:1], vcc, s[0:1]
	v_mov_b64_e32 v[2:3], v[10:11]
	s_andn2_b64 exec, exec, s[0:1]
	s_cbranch_execnz .LBB6_1357
.LBB6_1358:
	s_or_b64 exec, exec, s[10:11]
	s_and_b64 vcc, exec, s[4:5]
	s_cbranch_vccz .LBB6_1443
; %bb.1359:
	s_waitcnt vmcnt(0)
	v_and_b32_e32 v26, 2, v4
	v_mov_b32_e32 v31, 0
	v_and_b32_e32 v0, -3, v4
	v_mov_b32_e32 v1, v5
	s_mov_b64 s[6:7], 3
	v_mov_b32_e32 v8, 2
	v_mov_b32_e32 v9, 1
	s_getpc_b64 s[4:5]
	s_add_u32 s4, s4, .str.5@rel32@lo+4
	s_addc_u32 s5, s5, .str.5@rel32@hi+12
	s_branch .LBB6_1361
.LBB6_1360:                             ;   in Loop: Header=BB6_1361 Depth=1
	s_or_b64 exec, exec, s[18:19]
	s_sub_u32 s6, s6, s10
	s_subb_u32 s7, s7, s11
	s_add_u32 s4, s4, s10
	s_addc_u32 s5, s5, s11
	s_cmp_lg_u64 s[6:7], 0
	s_cbranch_scc0 .LBB6_1442
.LBB6_1361:                             ; =>This Loop Header: Depth=1
                                        ;     Child Loop BB6_1364 Depth 2
                                        ;     Child Loop BB6_1371 Depth 2
	;; [unrolled: 1-line block ×11, first 2 shown]
	v_cmp_lt_u64_e64 s[0:1], s[6:7], 56
	s_and_b64 s[0:1], s[0:1], exec
	v_cmp_gt_u64_e64 s[0:1], s[6:7], 7
	s_cselect_b32 s11, s7, 0
	s_cselect_b32 s10, s6, 56
	s_and_b64 vcc, exec, s[0:1]
	s_cbranch_vccnz .LBB6_1366
; %bb.1362:                             ;   in Loop: Header=BB6_1361 Depth=1
	s_mov_b64 s[0:1], 0
	s_cmp_eq_u64 s[6:7], 0
	s_waitcnt vmcnt(0)
	v_mov_b64_e32 v[2:3], 0
	s_cbranch_scc1 .LBB6_1365
; %bb.1363:                             ;   in Loop: Header=BB6_1361 Depth=1
	s_lshl_b64 s[16:17], s[10:11], 3
	s_mov_b64 s[18:19], 0
	v_mov_b64_e32 v[2:3], 0
	s_mov_b64 s[20:21], s[4:5]
.LBB6_1364:                             ;   Parent Loop BB6_1361 Depth=1
                                        ; =>  This Inner Loop Header: Depth=2
	global_load_ubyte v6, v31, s[20:21]
	s_waitcnt vmcnt(0)
	v_and_b32_e32 v30, 0xffff, v6
	v_lshlrev_b64 v[6:7], s18, v[30:31]
	s_add_u32 s18, s18, 8
	s_addc_u32 s19, s19, 0
	s_add_u32 s20, s20, 1
	s_addc_u32 s21, s21, 0
	v_or_b32_e32 v2, v6, v2
	s_cmp_lg_u32 s16, s18
	v_or_b32_e32 v3, v7, v3
	s_cbranch_scc1 .LBB6_1364
.LBB6_1365:                             ;   in Loop: Header=BB6_1361 Depth=1
	s_mov_b32 s15, 0
	s_andn2_b64 vcc, exec, s[0:1]
	s_mov_b64 s[0:1], s[4:5]
	s_cbranch_vccz .LBB6_1367
	s_branch .LBB6_1368
.LBB6_1366:                             ;   in Loop: Header=BB6_1361 Depth=1
                                        ; implicit-def: $vgpr2_vgpr3
                                        ; implicit-def: $sgpr15
	s_mov_b64 s[0:1], s[4:5]
.LBB6_1367:                             ;   in Loop: Header=BB6_1361 Depth=1
	global_load_dwordx2 v[2:3], v31, s[4:5]
	s_add_i32 s15, s10, -8
	s_add_u32 s0, s4, 8
	s_addc_u32 s1, s5, 0
.LBB6_1368:                             ;   in Loop: Header=BB6_1361 Depth=1
	s_cmp_gt_u32 s15, 7
	s_cbranch_scc1 .LBB6_1372
; %bb.1369:                             ;   in Loop: Header=BB6_1361 Depth=1
	s_cmp_eq_u32 s15, 0
	s_cbranch_scc1 .LBB6_1373
; %bb.1370:                             ;   in Loop: Header=BB6_1361 Depth=1
	s_mov_b64 s[16:17], 0
	v_mov_b64_e32 v[10:11], 0
	s_mov_b64 s[18:19], 0
.LBB6_1371:                             ;   Parent Loop BB6_1361 Depth=1
                                        ; =>  This Inner Loop Header: Depth=2
	s_add_u32 s20, s0, s18
	s_addc_u32 s21, s1, s19
	global_load_ubyte v6, v31, s[20:21]
	s_add_u32 s18, s18, 1
	s_addc_u32 s19, s19, 0
	s_waitcnt vmcnt(0)
	v_and_b32_e32 v30, 0xffff, v6
	v_lshlrev_b64 v[6:7], s16, v[30:31]
	s_add_u32 s16, s16, 8
	s_addc_u32 s17, s17, 0
	v_or_b32_e32 v10, v6, v10
	s_cmp_lg_u32 s15, s18
	v_or_b32_e32 v11, v7, v11
	s_cbranch_scc1 .LBB6_1371
	s_branch .LBB6_1374
.LBB6_1372:                             ;   in Loop: Header=BB6_1361 Depth=1
                                        ; implicit-def: $vgpr10_vgpr11
                                        ; implicit-def: $sgpr20
	s_branch .LBB6_1375
.LBB6_1373:                             ;   in Loop: Header=BB6_1361 Depth=1
	v_mov_b64_e32 v[10:11], 0
.LBB6_1374:                             ;   in Loop: Header=BB6_1361 Depth=1
	s_mov_b32 s20, 0
	s_cbranch_execnz .LBB6_1376
.LBB6_1375:                             ;   in Loop: Header=BB6_1361 Depth=1
	global_load_dwordx2 v[10:11], v31, s[0:1]
	s_add_i32 s20, s15, -8
	s_add_u32 s0, s0, 8
	s_addc_u32 s1, s1, 0
.LBB6_1376:                             ;   in Loop: Header=BB6_1361 Depth=1
	s_cmp_gt_u32 s20, 7
	s_cbranch_scc1 .LBB6_1380
; %bb.1377:                             ;   in Loop: Header=BB6_1361 Depth=1
	s_cmp_eq_u32 s20, 0
	s_cbranch_scc1 .LBB6_1381
; %bb.1378:                             ;   in Loop: Header=BB6_1361 Depth=1
	s_mov_b64 s[16:17], 0
	v_mov_b64_e32 v[12:13], 0
	s_mov_b64 s[18:19], 0
.LBB6_1379:                             ;   Parent Loop BB6_1361 Depth=1
                                        ; =>  This Inner Loop Header: Depth=2
	s_add_u32 s22, s0, s18
	s_addc_u32 s23, s1, s19
	global_load_ubyte v6, v31, s[22:23]
	s_add_u32 s18, s18, 1
	s_addc_u32 s19, s19, 0
	s_waitcnt vmcnt(0)
	v_and_b32_e32 v30, 0xffff, v6
	v_lshlrev_b64 v[6:7], s16, v[30:31]
	s_add_u32 s16, s16, 8
	s_addc_u32 s17, s17, 0
	v_or_b32_e32 v12, v6, v12
	s_cmp_lg_u32 s20, s18
	v_or_b32_e32 v13, v7, v13
	s_cbranch_scc1 .LBB6_1379
	s_branch .LBB6_1382
.LBB6_1380:                             ;   in Loop: Header=BB6_1361 Depth=1
                                        ; implicit-def: $sgpr15
	s_branch .LBB6_1383
.LBB6_1381:                             ;   in Loop: Header=BB6_1361 Depth=1
	v_mov_b64_e32 v[12:13], 0
.LBB6_1382:                             ;   in Loop: Header=BB6_1361 Depth=1
	s_mov_b32 s15, 0
	s_cbranch_execnz .LBB6_1384
.LBB6_1383:                             ;   in Loop: Header=BB6_1361 Depth=1
	global_load_dwordx2 v[12:13], v31, s[0:1]
	s_add_i32 s15, s20, -8
	s_add_u32 s0, s0, 8
	s_addc_u32 s1, s1, 0
.LBB6_1384:                             ;   in Loop: Header=BB6_1361 Depth=1
	s_cmp_gt_u32 s15, 7
	s_cbranch_scc1 .LBB6_1388
; %bb.1385:                             ;   in Loop: Header=BB6_1361 Depth=1
	s_cmp_eq_u32 s15, 0
	s_cbranch_scc1 .LBB6_1389
; %bb.1386:                             ;   in Loop: Header=BB6_1361 Depth=1
	s_mov_b64 s[16:17], 0
	v_mov_b64_e32 v[14:15], 0
	s_mov_b64 s[18:19], 0
.LBB6_1387:                             ;   Parent Loop BB6_1361 Depth=1
                                        ; =>  This Inner Loop Header: Depth=2
	s_add_u32 s20, s0, s18
	s_addc_u32 s21, s1, s19
	global_load_ubyte v6, v31, s[20:21]
	s_add_u32 s18, s18, 1
	s_addc_u32 s19, s19, 0
	s_waitcnt vmcnt(0)
	v_and_b32_e32 v30, 0xffff, v6
	v_lshlrev_b64 v[6:7], s16, v[30:31]
	s_add_u32 s16, s16, 8
	s_addc_u32 s17, s17, 0
	v_or_b32_e32 v14, v6, v14
	s_cmp_lg_u32 s15, s18
	v_or_b32_e32 v15, v7, v15
	s_cbranch_scc1 .LBB6_1387
	s_branch .LBB6_1390
.LBB6_1388:                             ;   in Loop: Header=BB6_1361 Depth=1
                                        ; implicit-def: $vgpr14_vgpr15
                                        ; implicit-def: $sgpr20
	s_branch .LBB6_1391
.LBB6_1389:                             ;   in Loop: Header=BB6_1361 Depth=1
	v_mov_b64_e32 v[14:15], 0
.LBB6_1390:                             ;   in Loop: Header=BB6_1361 Depth=1
	s_mov_b32 s20, 0
	s_cbranch_execnz .LBB6_1392
.LBB6_1391:                             ;   in Loop: Header=BB6_1361 Depth=1
	global_load_dwordx2 v[14:15], v31, s[0:1]
	s_add_i32 s20, s15, -8
	s_add_u32 s0, s0, 8
	s_addc_u32 s1, s1, 0
.LBB6_1392:                             ;   in Loop: Header=BB6_1361 Depth=1
	s_cmp_gt_u32 s20, 7
	s_cbranch_scc1 .LBB6_1396
; %bb.1393:                             ;   in Loop: Header=BB6_1361 Depth=1
	s_cmp_eq_u32 s20, 0
	s_cbranch_scc1 .LBB6_1397
; %bb.1394:                             ;   in Loop: Header=BB6_1361 Depth=1
	s_mov_b64 s[16:17], 0
	v_mov_b64_e32 v[16:17], 0
	s_mov_b64 s[18:19], 0
.LBB6_1395:                             ;   Parent Loop BB6_1361 Depth=1
                                        ; =>  This Inner Loop Header: Depth=2
	s_add_u32 s22, s0, s18
	s_addc_u32 s23, s1, s19
	global_load_ubyte v6, v31, s[22:23]
	s_add_u32 s18, s18, 1
	s_addc_u32 s19, s19, 0
	s_waitcnt vmcnt(0)
	v_and_b32_e32 v30, 0xffff, v6
	v_lshlrev_b64 v[6:7], s16, v[30:31]
	s_add_u32 s16, s16, 8
	s_addc_u32 s17, s17, 0
	v_or_b32_e32 v16, v6, v16
	s_cmp_lg_u32 s20, s18
	v_or_b32_e32 v17, v7, v17
	s_cbranch_scc1 .LBB6_1395
	s_branch .LBB6_1398
.LBB6_1396:                             ;   in Loop: Header=BB6_1361 Depth=1
                                        ; implicit-def: $sgpr15
	s_branch .LBB6_1399
.LBB6_1397:                             ;   in Loop: Header=BB6_1361 Depth=1
	v_mov_b64_e32 v[16:17], 0
.LBB6_1398:                             ;   in Loop: Header=BB6_1361 Depth=1
	s_mov_b32 s15, 0
	s_cbranch_execnz .LBB6_1400
.LBB6_1399:                             ;   in Loop: Header=BB6_1361 Depth=1
	global_load_dwordx2 v[16:17], v31, s[0:1]
	s_add_i32 s15, s20, -8
	s_add_u32 s0, s0, 8
	s_addc_u32 s1, s1, 0
.LBB6_1400:                             ;   in Loop: Header=BB6_1361 Depth=1
	s_cmp_gt_u32 s15, 7
	s_cbranch_scc1 .LBB6_1404
; %bb.1401:                             ;   in Loop: Header=BB6_1361 Depth=1
	s_cmp_eq_u32 s15, 0
	s_cbranch_scc1 .LBB6_1405
; %bb.1402:                             ;   in Loop: Header=BB6_1361 Depth=1
	s_mov_b64 s[16:17], 0
	v_mov_b64_e32 v[18:19], 0
	s_mov_b64 s[18:19], 0
.LBB6_1403:                             ;   Parent Loop BB6_1361 Depth=1
                                        ; =>  This Inner Loop Header: Depth=2
	s_add_u32 s20, s0, s18
	s_addc_u32 s21, s1, s19
	global_load_ubyte v6, v31, s[20:21]
	s_add_u32 s18, s18, 1
	s_addc_u32 s19, s19, 0
	s_waitcnt vmcnt(0)
	v_and_b32_e32 v30, 0xffff, v6
	v_lshlrev_b64 v[6:7], s16, v[30:31]
	s_add_u32 s16, s16, 8
	s_addc_u32 s17, s17, 0
	v_or_b32_e32 v18, v6, v18
	s_cmp_lg_u32 s15, s18
	v_or_b32_e32 v19, v7, v19
	s_cbranch_scc1 .LBB6_1403
	s_branch .LBB6_1406
.LBB6_1404:                             ;   in Loop: Header=BB6_1361 Depth=1
                                        ; implicit-def: $vgpr18_vgpr19
                                        ; implicit-def: $sgpr20
	s_branch .LBB6_1407
.LBB6_1405:                             ;   in Loop: Header=BB6_1361 Depth=1
	v_mov_b64_e32 v[18:19], 0
.LBB6_1406:                             ;   in Loop: Header=BB6_1361 Depth=1
	s_mov_b32 s20, 0
	s_cbranch_execnz .LBB6_1408
.LBB6_1407:                             ;   in Loop: Header=BB6_1361 Depth=1
	global_load_dwordx2 v[18:19], v31, s[0:1]
	s_add_i32 s20, s15, -8
	s_add_u32 s0, s0, 8
	s_addc_u32 s1, s1, 0
.LBB6_1408:                             ;   in Loop: Header=BB6_1361 Depth=1
	s_cmp_gt_u32 s20, 7
	s_cbranch_scc1 .LBB6_1412
; %bb.1409:                             ;   in Loop: Header=BB6_1361 Depth=1
	s_cmp_eq_u32 s20, 0
	s_cbranch_scc1 .LBB6_1413
; %bb.1410:                             ;   in Loop: Header=BB6_1361 Depth=1
	s_mov_b64 s[16:17], 0
	v_mov_b64_e32 v[20:21], 0
	s_mov_b64 s[18:19], s[0:1]
.LBB6_1411:                             ;   Parent Loop BB6_1361 Depth=1
                                        ; =>  This Inner Loop Header: Depth=2
	global_load_ubyte v6, v31, s[18:19]
	s_add_i32 s20, s20, -1
	s_waitcnt vmcnt(0)
	v_and_b32_e32 v30, 0xffff, v6
	v_lshlrev_b64 v[6:7], s16, v[30:31]
	s_add_u32 s16, s16, 8
	s_addc_u32 s17, s17, 0
	s_add_u32 s18, s18, 1
	s_addc_u32 s19, s19, 0
	v_or_b32_e32 v20, v6, v20
	s_cmp_lg_u32 s20, 0
	v_or_b32_e32 v21, v7, v21
	s_cbranch_scc1 .LBB6_1411
	s_branch .LBB6_1414
.LBB6_1412:                             ;   in Loop: Header=BB6_1361 Depth=1
	s_branch .LBB6_1415
.LBB6_1413:                             ;   in Loop: Header=BB6_1361 Depth=1
	v_mov_b64_e32 v[20:21], 0
.LBB6_1414:                             ;   in Loop: Header=BB6_1361 Depth=1
	s_cbranch_execnz .LBB6_1416
.LBB6_1415:                             ;   in Loop: Header=BB6_1361 Depth=1
	global_load_dwordx2 v[20:21], v31, s[0:1]
.LBB6_1416:                             ;   in Loop: Header=BB6_1361 Depth=1
	v_readfirstlane_b32 s0, v36
	v_mov_b64_e32 v[6:7], 0
	s_nop 0
	v_cmp_eq_u32_e64 s[0:1], s0, v36
	s_and_saveexec_b64 s[16:17], s[0:1]
	s_cbranch_execz .LBB6_1422
; %bb.1417:                             ;   in Loop: Header=BB6_1361 Depth=1
	global_load_dwordx2 v[24:25], v31, s[2:3] offset:24 sc0 sc1
	s_waitcnt vmcnt(0)
	buffer_inv sc0 sc1
	global_load_dwordx2 v[6:7], v31, s[2:3] offset:40
	global_load_dwordx2 v[22:23], v31, s[2:3]
	s_waitcnt vmcnt(1)
	v_and_b32_e32 v6, v6, v24
	v_and_b32_e32 v7, v7, v25
	v_mul_lo_u32 v7, v7, 24
	v_mul_hi_u32 v27, v6, 24
	v_add_u32_e32 v7, v27, v7
	v_mul_lo_u32 v6, v6, 24
	s_waitcnt vmcnt(0)
	v_lshl_add_u64 v[6:7], v[22:23], 0, v[6:7]
	global_load_dwordx2 v[22:23], v[6:7], off sc0 sc1
	s_waitcnt vmcnt(0)
	global_atomic_cmpswap_x2 v[6:7], v31, v[22:25], s[2:3] offset:24 sc0 sc1
	s_waitcnt vmcnt(0)
	buffer_inv sc0 sc1
	v_cmp_ne_u64_e32 vcc, v[6:7], v[24:25]
	s_and_saveexec_b64 s[18:19], vcc
	s_cbranch_execz .LBB6_1421
; %bb.1418:                             ;   in Loop: Header=BB6_1361 Depth=1
	s_mov_b64 s[20:21], 0
.LBB6_1419:                             ;   Parent Loop BB6_1361 Depth=1
                                        ; =>  This Inner Loop Header: Depth=2
	s_sleep 1
	global_load_dwordx2 v[22:23], v31, s[2:3] offset:40
	global_load_dwordx2 v[32:33], v31, s[2:3]
	v_mov_b64_e32 v[24:25], v[6:7]
	s_waitcnt vmcnt(1)
	v_and_b32_e32 v6, v22, v24
	s_waitcnt vmcnt(0)
	v_mad_u64_u32 v[6:7], s[22:23], v6, 24, v[32:33]
	v_and_b32_e32 v23, v23, v25
	v_mov_b32_e32 v22, v7
	v_mad_u64_u32 v[22:23], s[22:23], v23, 24, v[22:23]
	v_mov_b32_e32 v7, v22
	global_load_dwordx2 v[22:23], v[6:7], off sc0 sc1
	s_waitcnt vmcnt(0)
	global_atomic_cmpswap_x2 v[6:7], v31, v[22:25], s[2:3] offset:24 sc0 sc1
	s_waitcnt vmcnt(0)
	buffer_inv sc0 sc1
	v_cmp_eq_u64_e32 vcc, v[6:7], v[24:25]
	s_or_b64 s[20:21], vcc, s[20:21]
	s_andn2_b64 exec, exec, s[20:21]
	s_cbranch_execnz .LBB6_1419
; %bb.1420:                             ;   in Loop: Header=BB6_1361 Depth=1
	s_or_b64 exec, exec, s[20:21]
.LBB6_1421:                             ;   in Loop: Header=BB6_1361 Depth=1
	s_or_b64 exec, exec, s[18:19]
.LBB6_1422:                             ;   in Loop: Header=BB6_1361 Depth=1
	s_or_b64 exec, exec, s[16:17]
	global_load_dwordx2 v[32:33], v31, s[2:3] offset:40
	global_load_dwordx4 v[22:25], v31, s[2:3]
	v_readfirstlane_b32 s16, v6
	v_readfirstlane_b32 s17, v7
	s_mov_b64 s[18:19], exec
	s_waitcnt vmcnt(1)
	v_readfirstlane_b32 s20, v32
	v_readfirstlane_b32 s21, v33
	s_and_b64 s[20:21], s[16:17], s[20:21]
	s_mul_i32 s15, s21, 24
	s_mul_hi_u32 s22, s20, 24
	s_add_i32 s23, s22, s15
	s_mul_i32 s22, s20, 24
	s_waitcnt vmcnt(0)
	v_lshl_add_u64 v[32:33], v[22:23], 0, s[22:23]
	s_and_saveexec_b64 s[22:23], s[0:1]
	s_cbranch_execz .LBB6_1424
; %bb.1423:                             ;   in Loop: Header=BB6_1361 Depth=1
	v_mov_b64_e32 v[6:7], s[18:19]
	global_store_dwordx4 v[32:33], v[6:9], off offset:8
.LBB6_1424:                             ;   in Loop: Header=BB6_1361 Depth=1
	s_or_b64 exec, exec, s[22:23]
	s_lshl_b64 s[18:19], s[20:21], 12
	v_lshl_add_u64 v[6:7], v[24:25], 0, s[18:19]
	v_or_b32_e32 v25, v0, v26
	v_cmp_gt_u64_e64 vcc, s[6:7], 56
	s_lshl_b32 s15, s10, 2
	s_add_i32 s15, s15, 28
	v_cndmask_b32_e32 v0, v25, v0, vcc
	v_or_b32_e32 v24, 0, v1
	s_and_b32 s15, s15, 0x1e0
	v_and_b32_e32 v0, 0xffffff1f, v0
	v_cndmask_b32_e32 v1, v24, v1, vcc
	v_or_b32_e32 v0, s15, v0
	v_readfirstlane_b32 s18, v6
	v_readfirstlane_b32 s19, v7
	s_nop 4
	global_store_dwordx4 v28, v[0:3], s[18:19]
	global_store_dwordx4 v28, v[10:13], s[18:19] offset:16
	global_store_dwordx4 v28, v[14:17], s[18:19] offset:32
	;; [unrolled: 1-line block ×3, first 2 shown]
	s_and_saveexec_b64 s[18:19], s[0:1]
	s_cbranch_execz .LBB6_1432
; %bb.1425:                             ;   in Loop: Header=BB6_1361 Depth=1
	global_load_dwordx2 v[14:15], v31, s[2:3] offset:32 sc0 sc1
	global_load_dwordx2 v[0:1], v31, s[2:3] offset:40
	v_mov_b32_e32 v12, s16
	v_mov_b32_e32 v13, s17
	s_waitcnt vmcnt(0)
	v_readfirstlane_b32 s20, v0
	v_readfirstlane_b32 s21, v1
	s_and_b64 s[20:21], s[20:21], s[16:17]
	s_mul_i32 s15, s21, 24
	s_mul_hi_u32 s21, s20, 24
	s_mul_i32 s20, s20, 24
	s_add_i32 s21, s21, s15
	v_lshl_add_u64 v[10:11], v[22:23], 0, s[20:21]
	global_store_dwordx2 v[10:11], v[14:15], off
	buffer_wbl2 sc0 sc1
	s_waitcnt vmcnt(0)
	global_atomic_cmpswap_x2 v[2:3], v31, v[12:15], s[2:3] offset:32 sc0 sc1
	s_waitcnt vmcnt(0)
	v_cmp_ne_u64_e32 vcc, v[2:3], v[14:15]
	s_and_saveexec_b64 s[20:21], vcc
	s_cbranch_execz .LBB6_1428
; %bb.1426:                             ;   in Loop: Header=BB6_1361 Depth=1
	s_mov_b64 s[22:23], 0
.LBB6_1427:                             ;   Parent Loop BB6_1361 Depth=1
                                        ; =>  This Inner Loop Header: Depth=2
	s_sleep 1
	global_store_dwordx2 v[10:11], v[2:3], off
	v_mov_b32_e32 v0, s16
	v_mov_b32_e32 v1, s17
	buffer_wbl2 sc0 sc1
	s_waitcnt vmcnt(0)
	global_atomic_cmpswap_x2 v[0:1], v31, v[0:3], s[2:3] offset:32 sc0 sc1
	s_waitcnt vmcnt(0)
	v_cmp_eq_u64_e32 vcc, v[0:1], v[2:3]
	s_or_b64 s[22:23], vcc, s[22:23]
	v_mov_b64_e32 v[2:3], v[0:1]
	s_andn2_b64 exec, exec, s[22:23]
	s_cbranch_execnz .LBB6_1427
.LBB6_1428:                             ;   in Loop: Header=BB6_1361 Depth=1
	s_or_b64 exec, exec, s[20:21]
	global_load_dwordx2 v[0:1], v31, s[2:3] offset:16
	s_mov_b64 s[22:23], exec
	v_mbcnt_lo_u32_b32 v2, s22, 0
	v_mbcnt_hi_u32_b32 v2, s23, v2
	v_cmp_eq_u32_e32 vcc, 0, v2
	s_and_saveexec_b64 s[20:21], vcc
	s_cbranch_execz .LBB6_1430
; %bb.1429:                             ;   in Loop: Header=BB6_1361 Depth=1
	s_bcnt1_i32_b64 s15, s[22:23]
	v_mov_b32_e32 v30, s15
	buffer_wbl2 sc0 sc1
	s_waitcnt vmcnt(0)
	global_atomic_add_x2 v[0:1], v[30:31], off offset:8 sc1
.LBB6_1430:                             ;   in Loop: Header=BB6_1361 Depth=1
	s_or_b64 exec, exec, s[20:21]
	s_waitcnt vmcnt(0)
	global_load_dwordx2 v[2:3], v[0:1], off offset:16
	s_waitcnt vmcnt(0)
	v_cmp_eq_u64_e32 vcc, 0, v[2:3]
	s_cbranch_vccnz .LBB6_1432
; %bb.1431:                             ;   in Loop: Header=BB6_1361 Depth=1
	global_load_dword v30, v[0:1], off offset:24
	s_waitcnt vmcnt(0)
	v_and_b32_e32 v0, 0xffffff, v30
	s_nop 0
	v_readfirstlane_b32 m0, v0
	buffer_wbl2 sc0 sc1
	global_store_dwordx2 v[2:3], v[30:31], off sc0 sc1
	s_sendmsg sendmsg(MSG_INTERRUPT)
.LBB6_1432:                             ;   in Loop: Header=BB6_1361 Depth=1
	s_or_b64 exec, exec, s[18:19]
	v_mov_b32_e32 v29, v31
	v_lshl_add_u64 v[0:1], v[6:7], 0, v[28:29]
	s_branch .LBB6_1436
.LBB6_1433:                             ;   in Loop: Header=BB6_1436 Depth=2
	s_or_b64 exec, exec, s[18:19]
	v_readfirstlane_b32 s15, v2
	s_cmp_eq_u32 s15, 0
	s_cbranch_scc1 .LBB6_1435
; %bb.1434:                             ;   in Loop: Header=BB6_1436 Depth=2
	s_sleep 1
	s_cbranch_execnz .LBB6_1436
	s_branch .LBB6_1438
.LBB6_1435:                             ;   in Loop: Header=BB6_1361 Depth=1
	s_branch .LBB6_1438
.LBB6_1436:                             ;   Parent Loop BB6_1361 Depth=1
                                        ; =>  This Inner Loop Header: Depth=2
	v_mov_b32_e32 v2, 1
	s_and_saveexec_b64 s[18:19], s[0:1]
	s_cbranch_execz .LBB6_1433
; %bb.1437:                             ;   in Loop: Header=BB6_1436 Depth=2
	global_load_dword v2, v[32:33], off offset:20 sc0 sc1
	s_waitcnt vmcnt(0)
	buffer_inv sc0 sc1
	v_and_b32_e32 v2, 1, v2
	s_branch .LBB6_1433
.LBB6_1438:                             ;   in Loop: Header=BB6_1361 Depth=1
	global_load_dwordx4 v[0:3], v[0:1], off
	s_and_saveexec_b64 s[18:19], s[0:1]
	s_cbranch_execz .LBB6_1360
; %bb.1439:                             ;   in Loop: Header=BB6_1361 Depth=1
	global_load_dwordx2 v[2:3], v31, s[2:3] offset:40
	global_load_dwordx2 v[6:7], v31, s[2:3] offset:24 sc0 sc1
	global_load_dwordx2 v[14:15], v31, s[2:3]
	s_waitcnt vmcnt(2)
	v_lshl_add_u64 v[10:11], v[2:3], 0, 1
	v_lshl_add_u64 v[16:17], v[10:11], 0, s[16:17]
	v_cmp_eq_u64_e32 vcc, 0, v[16:17]
	s_waitcnt vmcnt(1)
	v_mov_b32_e32 v12, v6
	v_cndmask_b32_e32 v11, v17, v11, vcc
	v_cndmask_b32_e32 v10, v16, v10, vcc
	v_and_b32_e32 v3, v11, v3
	v_and_b32_e32 v2, v10, v2
	v_mul_lo_u32 v3, v3, 24
	v_mul_hi_u32 v13, v2, 24
	v_mul_lo_u32 v2, v2, 24
	v_add_u32_e32 v3, v13, v3
	s_waitcnt vmcnt(0)
	v_lshl_add_u64 v[2:3], v[14:15], 0, v[2:3]
	global_store_dwordx2 v[2:3], v[6:7], off
	v_mov_b32_e32 v13, v7
	buffer_wbl2 sc0 sc1
	s_waitcnt vmcnt(0)
	global_atomic_cmpswap_x2 v[12:13], v31, v[10:13], s[2:3] offset:24 sc0 sc1
	s_waitcnt vmcnt(0)
	v_cmp_ne_u64_e32 vcc, v[12:13], v[6:7]
	s_and_b64 exec, exec, vcc
	s_cbranch_execz .LBB6_1360
; %bb.1440:                             ;   in Loop: Header=BB6_1361 Depth=1
	s_mov_b64 s[0:1], 0
.LBB6_1441:                             ;   Parent Loop BB6_1361 Depth=1
                                        ; =>  This Inner Loop Header: Depth=2
	s_sleep 1
	global_store_dwordx2 v[2:3], v[12:13], off
	buffer_wbl2 sc0 sc1
	s_waitcnt vmcnt(0)
	global_atomic_cmpswap_x2 v[6:7], v31, v[10:13], s[2:3] offset:24 sc0 sc1
	s_waitcnt vmcnt(0)
	v_cmp_eq_u64_e32 vcc, v[6:7], v[12:13]
	s_or_b64 s[0:1], vcc, s[0:1]
	v_mov_b64_e32 v[12:13], v[6:7]
	s_andn2_b64 exec, exec, s[0:1]
	s_cbranch_execnz .LBB6_1441
	s_branch .LBB6_1360
.LBB6_1442:
	s_branch .LBB6_1470
.LBB6_1443:
                                        ; implicit-def: $vgpr0_vgpr1
	s_cbranch_execz .LBB6_1470
; %bb.1444:
	v_readfirstlane_b32 s0, v36
	v_mov_b64_e32 v[6:7], 0
	s_nop 0
	v_cmp_eq_u32_e64 s[0:1], s0, v36
	s_and_saveexec_b64 s[4:5], s[0:1]
	s_cbranch_execz .LBB6_1450
; %bb.1445:
	s_waitcnt vmcnt(0)
	v_mov_b32_e32 v0, 0
	global_load_dwordx2 v[8:9], v0, s[2:3] offset:24 sc0 sc1
	s_waitcnt vmcnt(0)
	buffer_inv sc0 sc1
	global_load_dwordx2 v[2:3], v0, s[2:3] offset:40
	global_load_dwordx2 v[6:7], v0, s[2:3]
	s_waitcnt vmcnt(1)
	v_and_b32_e32 v1, v2, v8
	v_and_b32_e32 v2, v3, v9
	v_mul_lo_u32 v2, v2, 24
	v_mul_hi_u32 v3, v1, 24
	v_add_u32_e32 v3, v3, v2
	v_mul_lo_u32 v2, v1, 24
	s_waitcnt vmcnt(0)
	v_lshl_add_u64 v[2:3], v[6:7], 0, v[2:3]
	global_load_dwordx2 v[6:7], v[2:3], off sc0 sc1
	s_waitcnt vmcnt(0)
	global_atomic_cmpswap_x2 v[6:7], v0, v[6:9], s[2:3] offset:24 sc0 sc1
	s_waitcnt vmcnt(0)
	buffer_inv sc0 sc1
	v_cmp_ne_u64_e32 vcc, v[6:7], v[8:9]
	s_and_saveexec_b64 s[6:7], vcc
	s_cbranch_execz .LBB6_1449
; %bb.1446:
	s_mov_b64 s[10:11], 0
.LBB6_1447:                             ; =>This Inner Loop Header: Depth=1
	s_sleep 1
	global_load_dwordx2 v[2:3], v0, s[2:3] offset:40
	global_load_dwordx2 v[10:11], v0, s[2:3]
	v_mov_b64_e32 v[8:9], v[6:7]
	s_waitcnt vmcnt(1)
	v_and_b32_e32 v2, v2, v8
	v_and_b32_e32 v1, v3, v9
	s_waitcnt vmcnt(0)
	v_mad_u64_u32 v[2:3], s[16:17], v2, 24, v[10:11]
	v_mov_b32_e32 v6, v3
	v_mad_u64_u32 v[6:7], s[16:17], v1, 24, v[6:7]
	v_mov_b32_e32 v3, v6
	global_load_dwordx2 v[6:7], v[2:3], off sc0 sc1
	s_waitcnt vmcnt(0)
	global_atomic_cmpswap_x2 v[6:7], v0, v[6:9], s[2:3] offset:24 sc0 sc1
	s_waitcnt vmcnt(0)
	buffer_inv sc0 sc1
	v_cmp_eq_u64_e32 vcc, v[6:7], v[8:9]
	s_or_b64 s[10:11], vcc, s[10:11]
	s_andn2_b64 exec, exec, s[10:11]
	s_cbranch_execnz .LBB6_1447
; %bb.1448:
	s_or_b64 exec, exec, s[10:11]
.LBB6_1449:
	s_or_b64 exec, exec, s[6:7]
.LBB6_1450:
	s_or_b64 exec, exec, s[4:5]
	v_mov_b32_e32 v29, 0
	global_load_dwordx2 v[8:9], v29, s[2:3] offset:40
	global_load_dwordx4 v[0:3], v29, s[2:3]
	v_readfirstlane_b32 s4, v6
	v_readfirstlane_b32 s5, v7
	s_mov_b64 s[6:7], exec
	s_waitcnt vmcnt(1)
	v_readfirstlane_b32 s10, v8
	v_readfirstlane_b32 s11, v9
	s_and_b64 s[10:11], s[4:5], s[10:11]
	s_mul_i32 s15, s11, 24
	s_mul_hi_u32 s16, s10, 24
	s_add_i32 s17, s16, s15
	s_mul_i32 s16, s10, 24
	s_waitcnt vmcnt(0)
	v_lshl_add_u64 v[8:9], v[0:1], 0, s[16:17]
	s_and_saveexec_b64 s[16:17], s[0:1]
	s_cbranch_execz .LBB6_1452
; %bb.1451:
	v_mov_b64_e32 v[10:11], s[6:7]
	v_mov_b32_e32 v12, 2
	v_mov_b32_e32 v13, 1
	global_store_dwordx4 v[8:9], v[10:13], off offset:8
.LBB6_1452:
	s_or_b64 exec, exec, s[16:17]
	s_lshl_b64 s[6:7], s[10:11], 12
	v_lshl_add_u64 v[10:11], v[2:3], 0, s[6:7]
	s_movk_i32 s6, 0xff1f
	s_mov_b32 s16, 0
	v_and_or_b32 v4, v4, s6, 32
	v_mov_b32_e32 v6, v29
	v_mov_b32_e32 v7, v29
	v_readfirstlane_b32 s6, v10
	v_readfirstlane_b32 s7, v11
	s_mov_b32 s17, s16
	s_mov_b32 s18, s16
	;; [unrolled: 1-line block ×3, first 2 shown]
	s_nop 1
	global_store_dwordx4 v28, v[4:7], s[6:7]
	v_mov_b64_e32 v[2:3], s[16:17]
	s_nop 0
	v_mov_b64_e32 v[4:5], s[18:19]
	global_store_dwordx4 v28, v[2:5], s[6:7] offset:16
	global_store_dwordx4 v28, v[2:5], s[6:7] offset:32
	;; [unrolled: 1-line block ×3, first 2 shown]
	s_and_saveexec_b64 s[6:7], s[0:1]
	s_cbranch_execz .LBB6_1460
; %bb.1453:
	v_mov_b32_e32 v6, 0
	global_load_dwordx2 v[14:15], v6, s[2:3] offset:32 sc0 sc1
	global_load_dwordx2 v[2:3], v6, s[2:3] offset:40
	v_mov_b32_e32 v12, s4
	v_mov_b32_e32 v13, s5
	s_waitcnt vmcnt(0)
	v_readfirstlane_b32 s10, v2
	v_readfirstlane_b32 s11, v3
	s_and_b64 s[10:11], s[10:11], s[4:5]
	s_mul_i32 s11, s11, 24
	s_mul_hi_u32 s15, s10, 24
	s_mul_i32 s10, s10, 24
	s_add_i32 s11, s15, s11
	v_lshl_add_u64 v[4:5], v[0:1], 0, s[10:11]
	global_store_dwordx2 v[4:5], v[14:15], off
	buffer_wbl2 sc0 sc1
	s_waitcnt vmcnt(0)
	global_atomic_cmpswap_x2 v[2:3], v6, v[12:15], s[2:3] offset:32 sc0 sc1
	s_waitcnt vmcnt(0)
	v_cmp_ne_u64_e32 vcc, v[2:3], v[14:15]
	s_and_saveexec_b64 s[10:11], vcc
	s_cbranch_execz .LBB6_1456
; %bb.1454:
	s_mov_b64 s[16:17], 0
.LBB6_1455:                             ; =>This Inner Loop Header: Depth=1
	s_sleep 1
	global_store_dwordx2 v[4:5], v[2:3], off
	v_mov_b32_e32 v0, s4
	v_mov_b32_e32 v1, s5
	buffer_wbl2 sc0 sc1
	s_waitcnt vmcnt(0)
	global_atomic_cmpswap_x2 v[0:1], v6, v[0:3], s[2:3] offset:32 sc0 sc1
	s_waitcnt vmcnt(0)
	v_cmp_eq_u64_e32 vcc, v[0:1], v[2:3]
	s_or_b64 s[16:17], vcc, s[16:17]
	v_mov_b64_e32 v[2:3], v[0:1]
	s_andn2_b64 exec, exec, s[16:17]
	s_cbranch_execnz .LBB6_1455
.LBB6_1456:
	s_or_b64 exec, exec, s[10:11]
	v_mov_b32_e32 v3, 0
	global_load_dwordx2 v[0:1], v3, s[2:3] offset:16
	s_mov_b64 s[10:11], exec
	v_mbcnt_lo_u32_b32 v2, s10, 0
	v_mbcnt_hi_u32_b32 v2, s11, v2
	v_cmp_eq_u32_e32 vcc, 0, v2
	s_and_saveexec_b64 s[16:17], vcc
	s_cbranch_execz .LBB6_1458
; %bb.1457:
	s_bcnt1_i32_b64 s10, s[10:11]
	v_mov_b32_e32 v2, s10
	buffer_wbl2 sc0 sc1
	s_waitcnt vmcnt(0)
	global_atomic_add_x2 v[0:1], v[2:3], off offset:8 sc1
.LBB6_1458:
	s_or_b64 exec, exec, s[16:17]
	s_waitcnt vmcnt(0)
	global_load_dwordx2 v[2:3], v[0:1], off offset:16
	s_waitcnt vmcnt(0)
	v_cmp_eq_u64_e32 vcc, 0, v[2:3]
	s_cbranch_vccnz .LBB6_1460
; %bb.1459:
	global_load_dword v0, v[0:1], off offset:24
	v_mov_b32_e32 v1, 0
	buffer_wbl2 sc0 sc1
	s_waitcnt vmcnt(0)
	global_store_dwordx2 v[2:3], v[0:1], off sc0 sc1
	v_and_b32_e32 v0, 0xffffff, v0
	s_nop 0
	v_readfirstlane_b32 m0, v0
	s_sendmsg sendmsg(MSG_INTERRUPT)
.LBB6_1460:
	s_or_b64 exec, exec, s[6:7]
	v_lshl_add_u64 v[0:1], v[10:11], 0, v[28:29]
	s_branch .LBB6_1464
.LBB6_1461:                             ;   in Loop: Header=BB6_1464 Depth=1
	s_or_b64 exec, exec, s[6:7]
	v_readfirstlane_b32 s6, v2
	s_cmp_eq_u32 s6, 0
	s_cbranch_scc1 .LBB6_1463
; %bb.1462:                             ;   in Loop: Header=BB6_1464 Depth=1
	s_sleep 1
	s_cbranch_execnz .LBB6_1464
	s_branch .LBB6_1466
.LBB6_1463:
	s_branch .LBB6_1466
.LBB6_1464:                             ; =>This Inner Loop Header: Depth=1
	v_mov_b32_e32 v2, 1
	s_and_saveexec_b64 s[6:7], s[0:1]
	s_cbranch_execz .LBB6_1461
; %bb.1465:                             ;   in Loop: Header=BB6_1464 Depth=1
	global_load_dword v2, v[8:9], off offset:20 sc0 sc1
	s_waitcnt vmcnt(0)
	buffer_inv sc0 sc1
	v_and_b32_e32 v2, 1, v2
	s_branch .LBB6_1461
.LBB6_1466:
	global_load_dwordx2 v[0:1], v[0:1], off
	s_and_saveexec_b64 s[6:7], s[0:1]
	s_cbranch_execz .LBB6_1469
; %bb.1467:
	v_mov_b32_e32 v8, 0
	global_load_dwordx2 v[6:7], v8, s[2:3] offset:40
	global_load_dwordx2 v[10:11], v8, s[2:3] offset:24 sc0 sc1
	global_load_dwordx2 v[12:13], v8, s[2:3]
	s_mov_b64 s[0:1], 0
	s_waitcnt vmcnt(2)
	v_lshl_add_u64 v[2:3], v[6:7], 0, 1
	v_lshl_add_u64 v[14:15], v[2:3], 0, s[4:5]
	v_cmp_eq_u64_e32 vcc, 0, v[14:15]
	s_waitcnt vmcnt(1)
	v_mov_b32_e32 v4, v10
	v_cndmask_b32_e32 v3, v15, v3, vcc
	v_cndmask_b32_e32 v2, v14, v2, vcc
	v_and_b32_e32 v5, v3, v7
	v_and_b32_e32 v6, v2, v6
	v_mul_lo_u32 v5, v5, 24
	v_mul_hi_u32 v7, v6, 24
	v_mul_lo_u32 v6, v6, 24
	v_add_u32_e32 v7, v7, v5
	s_waitcnt vmcnt(0)
	v_lshl_add_u64 v[6:7], v[12:13], 0, v[6:7]
	global_store_dwordx2 v[6:7], v[10:11], off
	v_mov_b32_e32 v5, v11
	buffer_wbl2 sc0 sc1
	s_waitcnt vmcnt(0)
	global_atomic_cmpswap_x2 v[4:5], v8, v[2:5], s[2:3] offset:24 sc0 sc1
	s_waitcnt vmcnt(0)
	v_cmp_ne_u64_e32 vcc, v[4:5], v[10:11]
	s_and_b64 exec, exec, vcc
	s_cbranch_execz .LBB6_1469
.LBB6_1468:                             ; =>This Inner Loop Header: Depth=1
	s_sleep 1
	global_store_dwordx2 v[6:7], v[4:5], off
	buffer_wbl2 sc0 sc1
	s_waitcnt vmcnt(0)
	global_atomic_cmpswap_x2 v[10:11], v8, v[2:5], s[2:3] offset:24 sc0 sc1
	s_waitcnt vmcnt(0)
	v_cmp_eq_u64_e32 vcc, v[10:11], v[4:5]
	s_or_b64 s[0:1], vcc, s[0:1]
	v_mov_b64_e32 v[4:5], v[10:11]
	s_andn2_b64 exec, exec, s[0:1]
	s_cbranch_execnz .LBB6_1468
.LBB6_1469:
	s_or_b64 exec, exec, s[6:7]
.LBB6_1470:
	s_getpc_b64 s[4:5]
	s_add_u32 s4, s4, .str.2@rel32@lo+4
	s_addc_u32 s5, s5, .str.2@rel32@hi+12
	s_cmp_lg_u64 s[4:5], 0
	s_cbranch_scc0 .LBB6_1555
; %bb.1471:
	s_waitcnt vmcnt(0)
	v_and_b32_e32 v6, -3, v0
	v_mov_b32_e32 v7, v1
	s_mov_b64 s[6:7], 13
	v_mov_b32_e32 v27, 0
	v_mov_b32_e32 v4, 2
	;; [unrolled: 1-line block ×3, first 2 shown]
	s_branch .LBB6_1473
.LBB6_1472:                             ;   in Loop: Header=BB6_1473 Depth=1
	s_or_b64 exec, exec, s[18:19]
	s_sub_u32 s6, s6, s10
	s_subb_u32 s7, s7, s11
	s_add_u32 s4, s4, s10
	s_addc_u32 s5, s5, s11
	s_cmp_lg_u64 s[6:7], 0
	s_cbranch_scc0 .LBB6_1554
.LBB6_1473:                             ; =>This Loop Header: Depth=1
                                        ;     Child Loop BB6_1476 Depth 2
                                        ;     Child Loop BB6_1483 Depth 2
                                        ;     Child Loop BB6_1491 Depth 2
                                        ;     Child Loop BB6_1499 Depth 2
                                        ;     Child Loop BB6_1507 Depth 2
                                        ;     Child Loop BB6_1515 Depth 2
                                        ;     Child Loop BB6_1523 Depth 2
                                        ;     Child Loop BB6_1531 Depth 2
                                        ;     Child Loop BB6_1539 Depth 2
                                        ;     Child Loop BB6_1548 Depth 2
                                        ;     Child Loop BB6_1553 Depth 2
	v_cmp_lt_u64_e64 s[0:1], s[6:7], 56
	s_and_b64 s[0:1], s[0:1], exec
	v_cmp_gt_u64_e64 s[0:1], s[6:7], 7
	s_cselect_b32 s11, s7, 0
	s_cselect_b32 s10, s6, 56
	s_and_b64 vcc, exec, s[0:1]
	s_cbranch_vccnz .LBB6_1478
; %bb.1474:                             ;   in Loop: Header=BB6_1473 Depth=1
	s_mov_b64 s[0:1], 0
	s_cmp_eq_u64 s[6:7], 0
	s_waitcnt vmcnt(0)
	v_mov_b64_e32 v[8:9], 0
	s_cbranch_scc1 .LBB6_1477
; %bb.1475:                             ;   in Loop: Header=BB6_1473 Depth=1
	s_lshl_b64 s[16:17], s[10:11], 3
	s_mov_b64 s[18:19], 0
	v_mov_b64_e32 v[8:9], 0
	s_mov_b64 s[20:21], s[4:5]
.LBB6_1476:                             ;   Parent Loop BB6_1473 Depth=1
                                        ; =>  This Inner Loop Header: Depth=2
	global_load_ubyte v2, v27, s[20:21]
	s_waitcnt vmcnt(0)
	v_and_b32_e32 v26, 0xffff, v2
	v_lshlrev_b64 v[2:3], s18, v[26:27]
	s_add_u32 s18, s18, 8
	s_addc_u32 s19, s19, 0
	s_add_u32 s20, s20, 1
	s_addc_u32 s21, s21, 0
	v_or_b32_e32 v8, v2, v8
	s_cmp_lg_u32 s16, s18
	v_or_b32_e32 v9, v3, v9
	s_cbranch_scc1 .LBB6_1476
.LBB6_1477:                             ;   in Loop: Header=BB6_1473 Depth=1
	s_mov_b32 s15, 0
	s_andn2_b64 vcc, exec, s[0:1]
	s_mov_b64 s[0:1], s[4:5]
	s_cbranch_vccz .LBB6_1479
	s_branch .LBB6_1480
.LBB6_1478:                             ;   in Loop: Header=BB6_1473 Depth=1
                                        ; implicit-def: $sgpr15
	s_mov_b64 s[0:1], s[4:5]
.LBB6_1479:                             ;   in Loop: Header=BB6_1473 Depth=1
	global_load_dwordx2 v[8:9], v27, s[4:5]
	s_add_i32 s15, s10, -8
	s_add_u32 s0, s4, 8
	s_addc_u32 s1, s5, 0
.LBB6_1480:                             ;   in Loop: Header=BB6_1473 Depth=1
	s_cmp_gt_u32 s15, 7
	s_cbranch_scc1 .LBB6_1484
; %bb.1481:                             ;   in Loop: Header=BB6_1473 Depth=1
	s_cmp_eq_u32 s15, 0
	s_cbranch_scc1 .LBB6_1485
; %bb.1482:                             ;   in Loop: Header=BB6_1473 Depth=1
	s_mov_b64 s[16:17], 0
	v_mov_b64_e32 v[10:11], 0
	s_mov_b64 s[18:19], 0
.LBB6_1483:                             ;   Parent Loop BB6_1473 Depth=1
                                        ; =>  This Inner Loop Header: Depth=2
	s_add_u32 s20, s0, s18
	s_addc_u32 s21, s1, s19
	global_load_ubyte v2, v27, s[20:21]
	s_add_u32 s18, s18, 1
	s_addc_u32 s19, s19, 0
	s_waitcnt vmcnt(0)
	v_and_b32_e32 v26, 0xffff, v2
	v_lshlrev_b64 v[2:3], s16, v[26:27]
	s_add_u32 s16, s16, 8
	s_addc_u32 s17, s17, 0
	v_or_b32_e32 v10, v2, v10
	s_cmp_lg_u32 s15, s18
	v_or_b32_e32 v11, v3, v11
	s_cbranch_scc1 .LBB6_1483
	s_branch .LBB6_1486
.LBB6_1484:                             ;   in Loop: Header=BB6_1473 Depth=1
                                        ; implicit-def: $vgpr10_vgpr11
                                        ; implicit-def: $sgpr20
	s_branch .LBB6_1487
.LBB6_1485:                             ;   in Loop: Header=BB6_1473 Depth=1
	v_mov_b64_e32 v[10:11], 0
.LBB6_1486:                             ;   in Loop: Header=BB6_1473 Depth=1
	s_mov_b32 s20, 0
	s_cbranch_execnz .LBB6_1488
.LBB6_1487:                             ;   in Loop: Header=BB6_1473 Depth=1
	global_load_dwordx2 v[10:11], v27, s[0:1]
	s_add_i32 s20, s15, -8
	s_add_u32 s0, s0, 8
	s_addc_u32 s1, s1, 0
.LBB6_1488:                             ;   in Loop: Header=BB6_1473 Depth=1
	s_cmp_gt_u32 s20, 7
	s_cbranch_scc1 .LBB6_1492
; %bb.1489:                             ;   in Loop: Header=BB6_1473 Depth=1
	s_cmp_eq_u32 s20, 0
	s_cbranch_scc1 .LBB6_1493
; %bb.1490:                             ;   in Loop: Header=BB6_1473 Depth=1
	s_mov_b64 s[16:17], 0
	v_mov_b64_e32 v[12:13], 0
	s_mov_b64 s[18:19], 0
.LBB6_1491:                             ;   Parent Loop BB6_1473 Depth=1
                                        ; =>  This Inner Loop Header: Depth=2
	s_add_u32 s22, s0, s18
	s_addc_u32 s23, s1, s19
	global_load_ubyte v2, v27, s[22:23]
	s_add_u32 s18, s18, 1
	s_addc_u32 s19, s19, 0
	s_waitcnt vmcnt(0)
	v_and_b32_e32 v26, 0xffff, v2
	v_lshlrev_b64 v[2:3], s16, v[26:27]
	s_add_u32 s16, s16, 8
	s_addc_u32 s17, s17, 0
	v_or_b32_e32 v12, v2, v12
	s_cmp_lg_u32 s20, s18
	v_or_b32_e32 v13, v3, v13
	s_cbranch_scc1 .LBB6_1491
	s_branch .LBB6_1494
.LBB6_1492:                             ;   in Loop: Header=BB6_1473 Depth=1
                                        ; implicit-def: $sgpr15
	s_branch .LBB6_1495
.LBB6_1493:                             ;   in Loop: Header=BB6_1473 Depth=1
	v_mov_b64_e32 v[12:13], 0
.LBB6_1494:                             ;   in Loop: Header=BB6_1473 Depth=1
	s_mov_b32 s15, 0
	s_cbranch_execnz .LBB6_1496
.LBB6_1495:                             ;   in Loop: Header=BB6_1473 Depth=1
	global_load_dwordx2 v[12:13], v27, s[0:1]
	s_add_i32 s15, s20, -8
	s_add_u32 s0, s0, 8
	s_addc_u32 s1, s1, 0
.LBB6_1496:                             ;   in Loop: Header=BB6_1473 Depth=1
	s_cmp_gt_u32 s15, 7
	s_cbranch_scc1 .LBB6_1500
; %bb.1497:                             ;   in Loop: Header=BB6_1473 Depth=1
	s_cmp_eq_u32 s15, 0
	s_cbranch_scc1 .LBB6_1501
; %bb.1498:                             ;   in Loop: Header=BB6_1473 Depth=1
	s_mov_b64 s[16:17], 0
	v_mov_b64_e32 v[14:15], 0
	s_mov_b64 s[18:19], 0
.LBB6_1499:                             ;   Parent Loop BB6_1473 Depth=1
                                        ; =>  This Inner Loop Header: Depth=2
	s_add_u32 s20, s0, s18
	s_addc_u32 s21, s1, s19
	global_load_ubyte v2, v27, s[20:21]
	s_add_u32 s18, s18, 1
	s_addc_u32 s19, s19, 0
	s_waitcnt vmcnt(0)
	v_and_b32_e32 v26, 0xffff, v2
	v_lshlrev_b64 v[2:3], s16, v[26:27]
	s_add_u32 s16, s16, 8
	s_addc_u32 s17, s17, 0
	v_or_b32_e32 v14, v2, v14
	s_cmp_lg_u32 s15, s18
	v_or_b32_e32 v15, v3, v15
	s_cbranch_scc1 .LBB6_1499
	s_branch .LBB6_1502
.LBB6_1500:                             ;   in Loop: Header=BB6_1473 Depth=1
                                        ; implicit-def: $vgpr14_vgpr15
                                        ; implicit-def: $sgpr20
	s_branch .LBB6_1503
.LBB6_1501:                             ;   in Loop: Header=BB6_1473 Depth=1
	v_mov_b64_e32 v[14:15], 0
.LBB6_1502:                             ;   in Loop: Header=BB6_1473 Depth=1
	s_mov_b32 s20, 0
	s_cbranch_execnz .LBB6_1504
.LBB6_1503:                             ;   in Loop: Header=BB6_1473 Depth=1
	global_load_dwordx2 v[14:15], v27, s[0:1]
	s_add_i32 s20, s15, -8
	s_add_u32 s0, s0, 8
	s_addc_u32 s1, s1, 0
.LBB6_1504:                             ;   in Loop: Header=BB6_1473 Depth=1
	s_cmp_gt_u32 s20, 7
	s_cbranch_scc1 .LBB6_1508
; %bb.1505:                             ;   in Loop: Header=BB6_1473 Depth=1
	s_cmp_eq_u32 s20, 0
	s_cbranch_scc1 .LBB6_1509
; %bb.1506:                             ;   in Loop: Header=BB6_1473 Depth=1
	s_mov_b64 s[16:17], 0
	v_mov_b64_e32 v[16:17], 0
	s_mov_b64 s[18:19], 0
.LBB6_1507:                             ;   Parent Loop BB6_1473 Depth=1
                                        ; =>  This Inner Loop Header: Depth=2
	s_add_u32 s22, s0, s18
	s_addc_u32 s23, s1, s19
	global_load_ubyte v2, v27, s[22:23]
	s_add_u32 s18, s18, 1
	s_addc_u32 s19, s19, 0
	s_waitcnt vmcnt(0)
	v_and_b32_e32 v26, 0xffff, v2
	v_lshlrev_b64 v[2:3], s16, v[26:27]
	s_add_u32 s16, s16, 8
	s_addc_u32 s17, s17, 0
	v_or_b32_e32 v16, v2, v16
	s_cmp_lg_u32 s20, s18
	v_or_b32_e32 v17, v3, v17
	s_cbranch_scc1 .LBB6_1507
	s_branch .LBB6_1510
.LBB6_1508:                             ;   in Loop: Header=BB6_1473 Depth=1
                                        ; implicit-def: $sgpr15
	s_branch .LBB6_1511
.LBB6_1509:                             ;   in Loop: Header=BB6_1473 Depth=1
	v_mov_b64_e32 v[16:17], 0
.LBB6_1510:                             ;   in Loop: Header=BB6_1473 Depth=1
	s_mov_b32 s15, 0
	s_cbranch_execnz .LBB6_1512
.LBB6_1511:                             ;   in Loop: Header=BB6_1473 Depth=1
	global_load_dwordx2 v[16:17], v27, s[0:1]
	s_add_i32 s15, s20, -8
	s_add_u32 s0, s0, 8
	s_addc_u32 s1, s1, 0
.LBB6_1512:                             ;   in Loop: Header=BB6_1473 Depth=1
	s_cmp_gt_u32 s15, 7
	s_cbranch_scc1 .LBB6_1516
; %bb.1513:                             ;   in Loop: Header=BB6_1473 Depth=1
	s_cmp_eq_u32 s15, 0
	s_cbranch_scc1 .LBB6_1517
; %bb.1514:                             ;   in Loop: Header=BB6_1473 Depth=1
	s_mov_b64 s[16:17], 0
	v_mov_b64_e32 v[18:19], 0
	s_mov_b64 s[18:19], 0
.LBB6_1515:                             ;   Parent Loop BB6_1473 Depth=1
                                        ; =>  This Inner Loop Header: Depth=2
	s_add_u32 s20, s0, s18
	s_addc_u32 s21, s1, s19
	global_load_ubyte v2, v27, s[20:21]
	s_add_u32 s18, s18, 1
	s_addc_u32 s19, s19, 0
	s_waitcnt vmcnt(0)
	v_and_b32_e32 v26, 0xffff, v2
	v_lshlrev_b64 v[2:3], s16, v[26:27]
	s_add_u32 s16, s16, 8
	s_addc_u32 s17, s17, 0
	v_or_b32_e32 v18, v2, v18
	s_cmp_lg_u32 s15, s18
	v_or_b32_e32 v19, v3, v19
	s_cbranch_scc1 .LBB6_1515
	s_branch .LBB6_1518
.LBB6_1516:                             ;   in Loop: Header=BB6_1473 Depth=1
                                        ; implicit-def: $vgpr18_vgpr19
                                        ; implicit-def: $sgpr20
	s_branch .LBB6_1519
.LBB6_1517:                             ;   in Loop: Header=BB6_1473 Depth=1
	v_mov_b64_e32 v[18:19], 0
.LBB6_1518:                             ;   in Loop: Header=BB6_1473 Depth=1
	s_mov_b32 s20, 0
	s_cbranch_execnz .LBB6_1520
.LBB6_1519:                             ;   in Loop: Header=BB6_1473 Depth=1
	global_load_dwordx2 v[18:19], v27, s[0:1]
	s_add_i32 s20, s15, -8
	s_add_u32 s0, s0, 8
	s_addc_u32 s1, s1, 0
.LBB6_1520:                             ;   in Loop: Header=BB6_1473 Depth=1
	s_cmp_gt_u32 s20, 7
	s_cbranch_scc1 .LBB6_1524
; %bb.1521:                             ;   in Loop: Header=BB6_1473 Depth=1
	s_cmp_eq_u32 s20, 0
	s_cbranch_scc1 .LBB6_1525
; %bb.1522:                             ;   in Loop: Header=BB6_1473 Depth=1
	s_mov_b64 s[16:17], 0
	v_mov_b64_e32 v[20:21], 0
	s_mov_b64 s[18:19], s[0:1]
.LBB6_1523:                             ;   Parent Loop BB6_1473 Depth=1
                                        ; =>  This Inner Loop Header: Depth=2
	global_load_ubyte v2, v27, s[18:19]
	s_add_i32 s20, s20, -1
	s_waitcnt vmcnt(0)
	v_and_b32_e32 v26, 0xffff, v2
	v_lshlrev_b64 v[2:3], s16, v[26:27]
	s_add_u32 s16, s16, 8
	s_addc_u32 s17, s17, 0
	s_add_u32 s18, s18, 1
	s_addc_u32 s19, s19, 0
	v_or_b32_e32 v20, v2, v20
	s_cmp_lg_u32 s20, 0
	v_or_b32_e32 v21, v3, v21
	s_cbranch_scc1 .LBB6_1523
	s_branch .LBB6_1526
.LBB6_1524:                             ;   in Loop: Header=BB6_1473 Depth=1
	s_branch .LBB6_1527
.LBB6_1525:                             ;   in Loop: Header=BB6_1473 Depth=1
	v_mov_b64_e32 v[20:21], 0
.LBB6_1526:                             ;   in Loop: Header=BB6_1473 Depth=1
	s_cbranch_execnz .LBB6_1528
.LBB6_1527:                             ;   in Loop: Header=BB6_1473 Depth=1
	global_load_dwordx2 v[20:21], v27, s[0:1]
.LBB6_1528:                             ;   in Loop: Header=BB6_1473 Depth=1
	v_readfirstlane_b32 s0, v36
	v_mov_b64_e32 v[2:3], 0
	s_nop 0
	v_cmp_eq_u32_e64 s[0:1], s0, v36
	s_and_saveexec_b64 s[16:17], s[0:1]
	s_cbranch_execz .LBB6_1534
; %bb.1529:                             ;   in Loop: Header=BB6_1473 Depth=1
	global_load_dwordx2 v[24:25], v27, s[2:3] offset:24 sc0 sc1
	s_waitcnt vmcnt(0)
	buffer_inv sc0 sc1
	global_load_dwordx2 v[2:3], v27, s[2:3] offset:40
	global_load_dwordx2 v[22:23], v27, s[2:3]
	s_waitcnt vmcnt(1)
	v_and_b32_e32 v2, v2, v24
	v_and_b32_e32 v3, v3, v25
	v_mul_lo_u32 v3, v3, 24
	v_mul_hi_u32 v26, v2, 24
	v_add_u32_e32 v3, v26, v3
	v_mul_lo_u32 v2, v2, 24
	s_waitcnt vmcnt(0)
	v_lshl_add_u64 v[2:3], v[22:23], 0, v[2:3]
	global_load_dwordx2 v[22:23], v[2:3], off sc0 sc1
	s_waitcnt vmcnt(0)
	global_atomic_cmpswap_x2 v[2:3], v27, v[22:25], s[2:3] offset:24 sc0 sc1
	s_waitcnt vmcnt(0)
	buffer_inv sc0 sc1
	v_cmp_ne_u64_e32 vcc, v[2:3], v[24:25]
	s_and_saveexec_b64 s[18:19], vcc
	s_cbranch_execz .LBB6_1533
; %bb.1530:                             ;   in Loop: Header=BB6_1473 Depth=1
	s_mov_b64 s[20:21], 0
.LBB6_1531:                             ;   Parent Loop BB6_1473 Depth=1
                                        ; =>  This Inner Loop Header: Depth=2
	s_sleep 1
	global_load_dwordx2 v[22:23], v27, s[2:3] offset:40
	global_load_dwordx2 v[30:31], v27, s[2:3]
	v_mov_b64_e32 v[24:25], v[2:3]
	s_waitcnt vmcnt(1)
	v_and_b32_e32 v2, v22, v24
	s_waitcnt vmcnt(0)
	v_mad_u64_u32 v[2:3], s[22:23], v2, 24, v[30:31]
	v_and_b32_e32 v23, v23, v25
	v_mov_b32_e32 v22, v3
	v_mad_u64_u32 v[22:23], s[22:23], v23, 24, v[22:23]
	v_mov_b32_e32 v3, v22
	global_load_dwordx2 v[22:23], v[2:3], off sc0 sc1
	s_waitcnt vmcnt(0)
	global_atomic_cmpswap_x2 v[2:3], v27, v[22:25], s[2:3] offset:24 sc0 sc1
	s_waitcnt vmcnt(0)
	buffer_inv sc0 sc1
	v_cmp_eq_u64_e32 vcc, v[2:3], v[24:25]
	s_or_b64 s[20:21], vcc, s[20:21]
	s_andn2_b64 exec, exec, s[20:21]
	s_cbranch_execnz .LBB6_1531
; %bb.1532:                             ;   in Loop: Header=BB6_1473 Depth=1
	s_or_b64 exec, exec, s[20:21]
.LBB6_1533:                             ;   in Loop: Header=BB6_1473 Depth=1
	s_or_b64 exec, exec, s[18:19]
.LBB6_1534:                             ;   in Loop: Header=BB6_1473 Depth=1
	s_or_b64 exec, exec, s[16:17]
	global_load_dwordx2 v[30:31], v27, s[2:3] offset:40
	global_load_dwordx4 v[22:25], v27, s[2:3]
	v_readfirstlane_b32 s16, v2
	v_readfirstlane_b32 s17, v3
	s_mov_b64 s[18:19], exec
	s_waitcnt vmcnt(1)
	v_readfirstlane_b32 s20, v30
	v_readfirstlane_b32 s21, v31
	s_and_b64 s[20:21], s[16:17], s[20:21]
	s_mul_i32 s15, s21, 24
	s_mul_hi_u32 s22, s20, 24
	s_add_i32 s23, s22, s15
	s_mul_i32 s22, s20, 24
	s_waitcnt vmcnt(0)
	v_lshl_add_u64 v[30:31], v[22:23], 0, s[22:23]
	s_and_saveexec_b64 s[22:23], s[0:1]
	s_cbranch_execz .LBB6_1536
; %bb.1535:                             ;   in Loop: Header=BB6_1473 Depth=1
	v_mov_b64_e32 v[2:3], s[18:19]
	global_store_dwordx4 v[30:31], v[2:5], off offset:8
.LBB6_1536:                             ;   in Loop: Header=BB6_1473 Depth=1
	s_or_b64 exec, exec, s[22:23]
	s_lshl_b64 s[18:19], s[20:21], 12
	v_lshl_add_u64 v[2:3], v[24:25], 0, s[18:19]
	v_or_b32_e32 v24, 2, v6
	v_cmp_gt_u64_e64 vcc, s[6:7], 56
	s_lshl_b32 s15, s10, 2
	s_add_i32 s15, s15, 28
	v_cndmask_b32_e32 v6, v24, v6, vcc
	s_and_b32 s15, s15, 0x1e0
	v_and_b32_e32 v6, 0xffffff1f, v6
	v_or_b32_e32 v6, s15, v6
	v_readfirstlane_b32 s18, v2
	v_readfirstlane_b32 s19, v3
	s_nop 4
	global_store_dwordx4 v28, v[6:9], s[18:19]
	global_store_dwordx4 v28, v[10:13], s[18:19] offset:16
	global_store_dwordx4 v28, v[14:17], s[18:19] offset:32
	;; [unrolled: 1-line block ×3, first 2 shown]
	s_and_saveexec_b64 s[18:19], s[0:1]
	s_cbranch_execz .LBB6_1544
; %bb.1537:                             ;   in Loop: Header=BB6_1473 Depth=1
	global_load_dwordx2 v[14:15], v27, s[2:3] offset:32 sc0 sc1
	global_load_dwordx2 v[6:7], v27, s[2:3] offset:40
	v_mov_b32_e32 v12, s16
	v_mov_b32_e32 v13, s17
	s_waitcnt vmcnt(0)
	v_readfirstlane_b32 s20, v6
	v_readfirstlane_b32 s21, v7
	s_and_b64 s[20:21], s[20:21], s[16:17]
	s_mul_i32 s15, s21, 24
	s_mul_hi_u32 s21, s20, 24
	s_mul_i32 s20, s20, 24
	s_add_i32 s21, s21, s15
	v_lshl_add_u64 v[10:11], v[22:23], 0, s[20:21]
	global_store_dwordx2 v[10:11], v[14:15], off
	buffer_wbl2 sc0 sc1
	s_waitcnt vmcnt(0)
	global_atomic_cmpswap_x2 v[8:9], v27, v[12:15], s[2:3] offset:32 sc0 sc1
	s_waitcnt vmcnt(0)
	v_cmp_ne_u64_e32 vcc, v[8:9], v[14:15]
	s_and_saveexec_b64 s[20:21], vcc
	s_cbranch_execz .LBB6_1540
; %bb.1538:                             ;   in Loop: Header=BB6_1473 Depth=1
	s_mov_b64 s[22:23], 0
.LBB6_1539:                             ;   Parent Loop BB6_1473 Depth=1
                                        ; =>  This Inner Loop Header: Depth=2
	s_sleep 1
	global_store_dwordx2 v[10:11], v[8:9], off
	v_mov_b32_e32 v6, s16
	v_mov_b32_e32 v7, s17
	buffer_wbl2 sc0 sc1
	s_waitcnt vmcnt(0)
	global_atomic_cmpswap_x2 v[6:7], v27, v[6:9], s[2:3] offset:32 sc0 sc1
	s_waitcnt vmcnt(0)
	v_cmp_eq_u64_e32 vcc, v[6:7], v[8:9]
	s_or_b64 s[22:23], vcc, s[22:23]
	v_mov_b64_e32 v[8:9], v[6:7]
	s_andn2_b64 exec, exec, s[22:23]
	s_cbranch_execnz .LBB6_1539
.LBB6_1540:                             ;   in Loop: Header=BB6_1473 Depth=1
	s_or_b64 exec, exec, s[20:21]
	global_load_dwordx2 v[6:7], v27, s[2:3] offset:16
	s_mov_b64 s[22:23], exec
	v_mbcnt_lo_u32_b32 v8, s22, 0
	v_mbcnt_hi_u32_b32 v8, s23, v8
	v_cmp_eq_u32_e32 vcc, 0, v8
	s_and_saveexec_b64 s[20:21], vcc
	s_cbranch_execz .LBB6_1542
; %bb.1541:                             ;   in Loop: Header=BB6_1473 Depth=1
	s_bcnt1_i32_b64 s15, s[22:23]
	v_mov_b32_e32 v26, s15
	buffer_wbl2 sc0 sc1
	s_waitcnt vmcnt(0)
	global_atomic_add_x2 v[6:7], v[26:27], off offset:8 sc1
.LBB6_1542:                             ;   in Loop: Header=BB6_1473 Depth=1
	s_or_b64 exec, exec, s[20:21]
	s_waitcnt vmcnt(0)
	global_load_dwordx2 v[8:9], v[6:7], off offset:16
	s_waitcnt vmcnt(0)
	v_cmp_eq_u64_e32 vcc, 0, v[8:9]
	s_cbranch_vccnz .LBB6_1544
; %bb.1543:                             ;   in Loop: Header=BB6_1473 Depth=1
	global_load_dword v26, v[6:7], off offset:24
	s_waitcnt vmcnt(0)
	v_and_b32_e32 v6, 0xffffff, v26
	s_nop 0
	v_readfirstlane_b32 m0, v6
	buffer_wbl2 sc0 sc1
	global_store_dwordx2 v[8:9], v[26:27], off sc0 sc1
	s_sendmsg sendmsg(MSG_INTERRUPT)
.LBB6_1544:                             ;   in Loop: Header=BB6_1473 Depth=1
	s_or_b64 exec, exec, s[18:19]
	v_mov_b32_e32 v29, v27
	v_lshl_add_u64 v[2:3], v[2:3], 0, v[28:29]
	s_branch .LBB6_1548
.LBB6_1545:                             ;   in Loop: Header=BB6_1548 Depth=2
	s_or_b64 exec, exec, s[18:19]
	v_readfirstlane_b32 s15, v6
	s_cmp_eq_u32 s15, 0
	s_cbranch_scc1 .LBB6_1547
; %bb.1546:                             ;   in Loop: Header=BB6_1548 Depth=2
	s_sleep 1
	s_cbranch_execnz .LBB6_1548
	s_branch .LBB6_1550
.LBB6_1547:                             ;   in Loop: Header=BB6_1473 Depth=1
	s_branch .LBB6_1550
.LBB6_1548:                             ;   Parent Loop BB6_1473 Depth=1
                                        ; =>  This Inner Loop Header: Depth=2
	v_mov_b32_e32 v6, 1
	s_and_saveexec_b64 s[18:19], s[0:1]
	s_cbranch_execz .LBB6_1545
; %bb.1549:                             ;   in Loop: Header=BB6_1548 Depth=2
	global_load_dword v6, v[30:31], off offset:20 sc0 sc1
	s_waitcnt vmcnt(0)
	buffer_inv sc0 sc1
	v_and_b32_e32 v6, 1, v6
	s_branch .LBB6_1545
.LBB6_1550:                             ;   in Loop: Header=BB6_1473 Depth=1
	global_load_dwordx4 v[6:9], v[2:3], off
	s_and_saveexec_b64 s[18:19], s[0:1]
	s_cbranch_execz .LBB6_1472
; %bb.1551:                             ;   in Loop: Header=BB6_1473 Depth=1
	global_load_dwordx2 v[2:3], v27, s[2:3] offset:40
	global_load_dwordx2 v[12:13], v27, s[2:3] offset:24 sc0 sc1
	global_load_dwordx2 v[14:15], v27, s[2:3]
	s_waitcnt vmcnt(2)
	v_lshl_add_u64 v[8:9], v[2:3], 0, 1
	v_lshl_add_u64 v[16:17], v[8:9], 0, s[16:17]
	v_cmp_eq_u64_e32 vcc, 0, v[16:17]
	s_waitcnt vmcnt(1)
	v_mov_b32_e32 v10, v12
	v_cndmask_b32_e32 v9, v17, v9, vcc
	v_cndmask_b32_e32 v8, v16, v8, vcc
	v_and_b32_e32 v3, v9, v3
	v_and_b32_e32 v2, v8, v2
	v_mul_lo_u32 v3, v3, 24
	v_mul_hi_u32 v11, v2, 24
	v_mul_lo_u32 v2, v2, 24
	v_add_u32_e32 v3, v11, v3
	s_waitcnt vmcnt(0)
	v_lshl_add_u64 v[2:3], v[14:15], 0, v[2:3]
	global_store_dwordx2 v[2:3], v[12:13], off
	v_mov_b32_e32 v11, v13
	buffer_wbl2 sc0 sc1
	s_waitcnt vmcnt(0)
	global_atomic_cmpswap_x2 v[10:11], v27, v[8:11], s[2:3] offset:24 sc0 sc1
	s_waitcnt vmcnt(0)
	v_cmp_ne_u64_e32 vcc, v[10:11], v[12:13]
	s_and_b64 exec, exec, vcc
	s_cbranch_execz .LBB6_1472
; %bb.1552:                             ;   in Loop: Header=BB6_1473 Depth=1
	s_mov_b64 s[0:1], 0
.LBB6_1553:                             ;   Parent Loop BB6_1473 Depth=1
                                        ; =>  This Inner Loop Header: Depth=2
	s_sleep 1
	global_store_dwordx2 v[2:3], v[10:11], off
	buffer_wbl2 sc0 sc1
	s_waitcnt vmcnt(0)
	global_atomic_cmpswap_x2 v[12:13], v27, v[8:11], s[2:3] offset:24 sc0 sc1
	s_waitcnt vmcnt(0)
	v_cmp_eq_u64_e32 vcc, v[12:13], v[10:11]
	s_or_b64 s[0:1], vcc, s[0:1]
	v_mov_b64_e32 v[10:11], v[12:13]
	s_andn2_b64 exec, exec, s[0:1]
	s_cbranch_execnz .LBB6_1553
	s_branch .LBB6_1472
.LBB6_1554:
	s_mov_b64 s[0:1], 0
	s_branch .LBB6_1556
.LBB6_1555:
	s_mov_b64 s[0:1], -1
.LBB6_1556:
	s_mov_b32 s42, s12
	s_mov_b32 s43, s13
	;; [unrolled: 1-line block ×3, first 2 shown]
	s_and_b64 vcc, exec, s[0:1]
	s_cbranch_vccz .LBB6_1583
; %bb.1557:
	v_readfirstlane_b32 s0, v36
	s_waitcnt vmcnt(0)
	v_mov_b64_e32 v[8:9], 0
	v_cmp_eq_u32_e64 s[0:1], s0, v36
	s_and_saveexec_b64 s[4:5], s[0:1]
	s_cbranch_execz .LBB6_1563
; %bb.1558:
	v_mov_b32_e32 v2, 0
	global_load_dwordx2 v[6:7], v2, s[2:3] offset:24 sc0 sc1
	s_waitcnt vmcnt(0)
	buffer_inv sc0 sc1
	global_load_dwordx2 v[4:5], v2, s[2:3] offset:40
	global_load_dwordx2 v[8:9], v2, s[2:3]
	s_waitcnt vmcnt(1)
	v_and_b32_e32 v3, v4, v6
	v_and_b32_e32 v4, v5, v7
	v_mul_lo_u32 v4, v4, 24
	v_mul_hi_u32 v5, v3, 24
	v_add_u32_e32 v5, v5, v4
	v_mul_lo_u32 v4, v3, 24
	s_waitcnt vmcnt(0)
	v_lshl_add_u64 v[4:5], v[8:9], 0, v[4:5]
	global_load_dwordx2 v[4:5], v[4:5], off sc0 sc1
	s_waitcnt vmcnt(0)
	global_atomic_cmpswap_x2 v[8:9], v2, v[4:7], s[2:3] offset:24 sc0 sc1
	s_waitcnt vmcnt(0)
	buffer_inv sc0 sc1
	v_cmp_ne_u64_e32 vcc, v[8:9], v[6:7]
	s_and_saveexec_b64 s[6:7], vcc
	s_cbranch_execz .LBB6_1562
; %bb.1559:
	s_mov_b64 s[10:11], 0
.LBB6_1560:                             ; =>This Inner Loop Header: Depth=1
	s_sleep 1
	global_load_dwordx2 v[4:5], v2, s[2:3] offset:40
	global_load_dwordx2 v[10:11], v2, s[2:3]
	v_mov_b64_e32 v[6:7], v[8:9]
	s_waitcnt vmcnt(1)
	v_and_b32_e32 v4, v4, v6
	v_and_b32_e32 v3, v5, v7
	s_waitcnt vmcnt(0)
	v_mad_u64_u32 v[4:5], s[12:13], v4, 24, v[10:11]
	v_mov_b32_e32 v8, v5
	v_mad_u64_u32 v[8:9], s[12:13], v3, 24, v[8:9]
	v_mov_b32_e32 v5, v8
	global_load_dwordx2 v[4:5], v[4:5], off sc0 sc1
	s_waitcnt vmcnt(0)
	global_atomic_cmpswap_x2 v[8:9], v2, v[4:7], s[2:3] offset:24 sc0 sc1
	s_waitcnt vmcnt(0)
	buffer_inv sc0 sc1
	v_cmp_eq_u64_e32 vcc, v[8:9], v[6:7]
	s_or_b64 s[10:11], vcc, s[10:11]
	s_andn2_b64 exec, exec, s[10:11]
	s_cbranch_execnz .LBB6_1560
; %bb.1561:
	s_or_b64 exec, exec, s[10:11]
.LBB6_1562:
	s_or_b64 exec, exec, s[6:7]
.LBB6_1563:
	s_or_b64 exec, exec, s[4:5]
	v_mov_b32_e32 v2, 0
	global_load_dwordx2 v[10:11], v2, s[2:3] offset:40
	global_load_dwordx4 v[4:7], v2, s[2:3]
	v_readfirstlane_b32 s4, v8
	v_readfirstlane_b32 s5, v9
	s_mov_b64 s[6:7], exec
	s_waitcnt vmcnt(1)
	v_readfirstlane_b32 s10, v10
	v_readfirstlane_b32 s11, v11
	s_and_b64 s[10:11], s[4:5], s[10:11]
	s_mul_i32 s12, s11, 24
	s_mul_hi_u32 s13, s10, 24
	s_add_i32 s13, s13, s12
	s_mul_i32 s12, s10, 24
	s_waitcnt vmcnt(0)
	v_lshl_add_u64 v[8:9], v[4:5], 0, s[12:13]
	s_and_saveexec_b64 s[12:13], s[0:1]
	s_cbranch_execz .LBB6_1565
; %bb.1564:
	v_mov_b64_e32 v[10:11], s[6:7]
	v_mov_b32_e32 v12, 2
	v_mov_b32_e32 v13, 1
	global_store_dwordx4 v[8:9], v[10:13], off offset:8
.LBB6_1565:
	s_or_b64 exec, exec, s[12:13]
	s_lshl_b64 s[6:7], s[10:11], 12
	v_lshl_add_u64 v[6:7], v[6:7], 0, s[6:7]
	s_movk_i32 s6, 0xff1d
	s_mov_b32 s12, 0
	v_and_or_b32 v0, v0, s6, 34
	v_mov_b32_e32 v3, v2
	v_readfirstlane_b32 s6, v6
	v_readfirstlane_b32 s7, v7
	s_mov_b32 s13, s12
	s_mov_b32 s14, s12
	;; [unrolled: 1-line block ×3, first 2 shown]
	s_nop 1
	global_store_dwordx4 v28, v[0:3], s[6:7]
	s_nop 1
	v_mov_b64_e32 v[0:1], s[12:13]
	v_mov_b64_e32 v[2:3], s[14:15]
	global_store_dwordx4 v28, v[0:3], s[6:7] offset:16
	global_store_dwordx4 v28, v[0:3], s[6:7] offset:32
	;; [unrolled: 1-line block ×3, first 2 shown]
	s_and_saveexec_b64 s[6:7], s[0:1]
	s_cbranch_execz .LBB6_1573
; %bb.1566:
	v_mov_b32_e32 v6, 0
	global_load_dwordx2 v[12:13], v6, s[2:3] offset:32 sc0 sc1
	global_load_dwordx2 v[0:1], v6, s[2:3] offset:40
	v_mov_b32_e32 v10, s4
	v_mov_b32_e32 v11, s5
	s_waitcnt vmcnt(0)
	v_readfirstlane_b32 s10, v0
	v_readfirstlane_b32 s11, v1
	s_and_b64 s[10:11], s[10:11], s[4:5]
	s_mul_i32 s11, s11, 24
	s_mul_hi_u32 s12, s10, 24
	s_mul_i32 s10, s10, 24
	s_add_i32 s11, s12, s11
	v_lshl_add_u64 v[4:5], v[4:5], 0, s[10:11]
	global_store_dwordx2 v[4:5], v[12:13], off
	buffer_wbl2 sc0 sc1
	s_waitcnt vmcnt(0)
	global_atomic_cmpswap_x2 v[2:3], v6, v[10:13], s[2:3] offset:32 sc0 sc1
	s_waitcnt vmcnt(0)
	v_cmp_ne_u64_e32 vcc, v[2:3], v[12:13]
	s_and_saveexec_b64 s[10:11], vcc
	s_cbranch_execz .LBB6_1569
; %bb.1567:
	s_mov_b64 s[12:13], 0
.LBB6_1568:                             ; =>This Inner Loop Header: Depth=1
	s_sleep 1
	global_store_dwordx2 v[4:5], v[2:3], off
	v_mov_b32_e32 v0, s4
	v_mov_b32_e32 v1, s5
	buffer_wbl2 sc0 sc1
	s_waitcnt vmcnt(0)
	global_atomic_cmpswap_x2 v[0:1], v6, v[0:3], s[2:3] offset:32 sc0 sc1
	s_waitcnt vmcnt(0)
	v_cmp_eq_u64_e32 vcc, v[0:1], v[2:3]
	s_or_b64 s[12:13], vcc, s[12:13]
	v_mov_b64_e32 v[2:3], v[0:1]
	s_andn2_b64 exec, exec, s[12:13]
	s_cbranch_execnz .LBB6_1568
.LBB6_1569:
	s_or_b64 exec, exec, s[10:11]
	v_mov_b32_e32 v3, 0
	global_load_dwordx2 v[0:1], v3, s[2:3] offset:16
	s_mov_b64 s[10:11], exec
	v_mbcnt_lo_u32_b32 v2, s10, 0
	v_mbcnt_hi_u32_b32 v2, s11, v2
	v_cmp_eq_u32_e32 vcc, 0, v2
	s_and_saveexec_b64 s[12:13], vcc
	s_cbranch_execz .LBB6_1571
; %bb.1570:
	s_bcnt1_i32_b64 s10, s[10:11]
	v_mov_b32_e32 v2, s10
	buffer_wbl2 sc0 sc1
	s_waitcnt vmcnt(0)
	global_atomic_add_x2 v[0:1], v[2:3], off offset:8 sc1
.LBB6_1571:
	s_or_b64 exec, exec, s[12:13]
	s_waitcnt vmcnt(0)
	global_load_dwordx2 v[2:3], v[0:1], off offset:16
	s_waitcnt vmcnt(0)
	v_cmp_eq_u64_e32 vcc, 0, v[2:3]
	s_cbranch_vccnz .LBB6_1573
; %bb.1572:
	global_load_dword v0, v[0:1], off offset:24
	v_mov_b32_e32 v1, 0
	buffer_wbl2 sc0 sc1
	s_waitcnt vmcnt(0)
	global_store_dwordx2 v[2:3], v[0:1], off sc0 sc1
	v_and_b32_e32 v0, 0xffffff, v0
	s_nop 0
	v_readfirstlane_b32 m0, v0
	s_sendmsg sendmsg(MSG_INTERRUPT)
.LBB6_1573:
	s_or_b64 exec, exec, s[6:7]
	s_branch .LBB6_1577
.LBB6_1574:                             ;   in Loop: Header=BB6_1577 Depth=1
	s_or_b64 exec, exec, s[6:7]
	v_readfirstlane_b32 s6, v0
	s_cmp_eq_u32 s6, 0
	s_cbranch_scc1 .LBB6_1576
; %bb.1575:                             ;   in Loop: Header=BB6_1577 Depth=1
	s_sleep 1
	s_cbranch_execnz .LBB6_1577
	s_branch .LBB6_1579
.LBB6_1576:
	s_branch .LBB6_1579
.LBB6_1577:                             ; =>This Inner Loop Header: Depth=1
	v_mov_b32_e32 v0, 1
	s_and_saveexec_b64 s[6:7], s[0:1]
	s_cbranch_execz .LBB6_1574
; %bb.1578:                             ;   in Loop: Header=BB6_1577 Depth=1
	global_load_dword v0, v[8:9], off offset:20 sc0 sc1
	s_waitcnt vmcnt(0)
	buffer_inv sc0 sc1
	v_and_b32_e32 v0, 1, v0
	s_branch .LBB6_1574
.LBB6_1579:
	s_and_saveexec_b64 s[6:7], s[0:1]
	s_cbranch_execz .LBB6_1582
; %bb.1580:
	v_mov_b32_e32 v6, 0
	global_load_dwordx2 v[4:5], v6, s[2:3] offset:40
	global_load_dwordx2 v[8:9], v6, s[2:3] offset:24 sc0 sc1
	global_load_dwordx2 v[10:11], v6, s[2:3]
	s_mov_b64 s[0:1], 0
	s_waitcnt vmcnt(2)
	v_lshl_add_u64 v[0:1], v[4:5], 0, 1
	v_lshl_add_u64 v[12:13], v[0:1], 0, s[4:5]
	v_cmp_eq_u64_e32 vcc, 0, v[12:13]
	s_waitcnt vmcnt(1)
	v_mov_b32_e32 v2, v8
	v_cndmask_b32_e32 v1, v13, v1, vcc
	v_cndmask_b32_e32 v0, v12, v0, vcc
	v_and_b32_e32 v3, v1, v5
	v_and_b32_e32 v4, v0, v4
	v_mul_lo_u32 v3, v3, 24
	v_mul_hi_u32 v5, v4, 24
	v_mul_lo_u32 v4, v4, 24
	v_add_u32_e32 v5, v5, v3
	s_waitcnt vmcnt(0)
	v_lshl_add_u64 v[4:5], v[10:11], 0, v[4:5]
	global_store_dwordx2 v[4:5], v[8:9], off
	v_mov_b32_e32 v3, v9
	buffer_wbl2 sc0 sc1
	s_waitcnt vmcnt(0)
	global_atomic_cmpswap_x2 v[2:3], v6, v[0:3], s[2:3] offset:24 sc0 sc1
	s_waitcnt vmcnt(0)
	v_cmp_ne_u64_e32 vcc, v[2:3], v[8:9]
	s_and_b64 exec, exec, vcc
	s_cbranch_execz .LBB6_1582
.LBB6_1581:                             ; =>This Inner Loop Header: Depth=1
	s_sleep 1
	global_store_dwordx2 v[4:5], v[2:3], off
	buffer_wbl2 sc0 sc1
	s_waitcnt vmcnt(0)
	global_atomic_cmpswap_x2 v[8:9], v6, v[0:3], s[2:3] offset:24 sc0 sc1
	s_waitcnt vmcnt(0)
	v_cmp_eq_u64_e32 vcc, v[8:9], v[2:3]
	s_or_b64 s[0:1], vcc, s[0:1]
	v_mov_b64_e32 v[2:3], v[8:9]
	s_andn2_b64 exec, exec, s[0:1]
	s_cbranch_execnz .LBB6_1581
.LBB6_1582:
	s_or_b64 exec, exec, s[6:7]
.LBB6_1583:
	s_getpc_b64 s[0:1]
	s_add_u32 s0, s0, .str@rel32@lo+4
	s_addc_u32 s1, s1, .str@rel32@hi+12
	s_waitcnt vmcnt(0)
	v_mov_b32_e32 v0, s0
	v_mov_b32_e32 v1, s1
	s_mov_b64 s[18:19], src_private_base
	s_getpc_b64 s[46:47]
	s_add_u32 s46, s46, _ZNK8migraphx13basic_printerIZNS_4coutEvEUlT_E_ElsEPKc@rel32@lo+4
	s_addc_u32 s47, s47, _ZNK8migraphx13basic_printerIZNS_4coutEvEUlT_E_ElsEPKc@rel32@hi+12
	s_mov_b64 s[36:37], s[8:9]
	s_swappc_b64 s[30:31], s[46:47]
	s_getpc_b64 s[0:1]
	s_add_u32 s0, s0, .str.3@rel32@lo+4
	s_addc_u32 s1, s1, .str.3@rel32@hi+12
	s_mov_b64 s[8:9], s[36:37]
	v_mov_b32_e32 v0, s0
	v_mov_b32_e32 v1, s1
	s_swappc_b64 s[30:31], s[46:47]
	s_getpc_b64 s[0:1]
	s_add_u32 s0, s0, _ZN8migraphx4testlsIKNS_13basic_printerIZNS_4coutEvEUlT_E_EEEERS3_S7_RKNS0_10expressionINS0_14lhs_expressionIRNS_5arrayIiLj8EEENS0_3nopEEESC_NS0_5equalEEE@rel32@lo+4
	s_addc_u32 s1, s1, _ZN8migraphx4testlsIKNS_13basic_printerIZNS_4coutEvEUlT_E_EEEERS3_S7_RKNS0_10expressionINS0_14lhs_expressionIRNS_5arrayIiLj8EEENS0_3nopEEESC_NS0_5equalEEE@rel32@hi+12
	s_add_i32 s2, s33, 0x60
	s_mov_b64 s[8:9], s[36:37]
	v_mov_b32_e32 v0, s2
	v_mov_b32_e32 v1, s19
	s_swappc_b64 s[30:31], s[0:1]
	s_getpc_b64 s[0:1]
	s_add_u32 s0, s0, .str.4@rel32@lo+4
	s_addc_u32 s1, s1, .str.4@rel32@hi+12
	s_mov_b64 s[8:9], s[36:37]
	v_mov_b32_e32 v0, s0
	v_mov_b32_e32 v1, s1
	s_swappc_b64 s[30:31], s[46:47]
	s_mov_b64 s[8:9], s[36:37]
	v_mov_b32_e32 v0, 10
	s_getpc_b64 s[0:1]
	s_add_u32 s0, s0, _ZNK8migraphx13basic_printerIZNS_4coutEvEUlT_E_ElsEc@rel32@lo+4
	s_addc_u32 s1, s1, _ZNK8migraphx13basic_printerIZNS_4coutEvEUlT_E_ElsEc@rel32@hi+12
	s_swappc_b64 s[30:31], s[0:1]
	v_accvgpr_read_b32 v0, a0
	v_accvgpr_read_b32 v1, a1
	flat_load_dwordx2 v[0:1], v[0:1]
	s_mov_b64 s[8:9], s[36:37]
	s_mov_b32 s14, s44
	s_mov_b32 s13, s43
	;; [unrolled: 1-line block ×3, first 2 shown]
	s_waitcnt vmcnt(0) lgkmcnt(0)
	flat_load_dword v2, v[0:1]
	s_waitcnt vmcnt(0) lgkmcnt(0)
	v_add_u32_e32 v2, 1, v2
	flat_store_dword v[0:1], v2
.LBB6_1584:
	s_or_b64 exec, exec, s[40:41]
	s_getpc_b64 s[0:1]
	s_add_u32 s0, s0, _ZN8migraphx4test4failEv@rel32@lo+4
	s_addc_u32 s1, s1, _ZN8migraphx4test4failEv@rel32@hi+12
	s_swappc_b64 s[30:31], s[0:1]
	; divergent unreachable
.LBB6_1585:
	s_andn2_saveexec_b64 s[0:1], s[38:39]
	s_or_b64 exec, exec, s[0:1]
	v_readlane_b32 s30, v47, 0
	v_readlane_b32 s31, v47, 1
	;; [unrolled: 1-line block ×3, first 2 shown]
	s_or_saveexec_b64 s[2:3], -1
	scratch_load_dword v47, off, s33 offset:112 ; 4-byte Folded Reload
	s_mov_b64 exec, s[2:3]
	s_addk_i32 s32, 0xff80
	s_mov_b32 s33, s0
	s_waitcnt vmcnt(0)
	s_setpc_b64 s[30:31]
.Lfunc_end6:
	.size	_ZL17merge_interleavedRN8migraphx4test12test_managerE, .Lfunc_end6-_ZL17merge_interleavedRN8migraphx4test12test_managerE
                                        ; -- End function
	.section	.AMDGPU.csdata,"",@progbits
; Function info:
; codeLenInByte = 54240
; NumSgprs: 54
; NumVgprs: 62
; NumAgprs: 2
; TotalNumVgprs: 66
; ScratchSize: 144
; MemoryBound: 0
	.text
	.p2align	2                               ; -- Begin function _ZL21merge_many_duplicatesRN8migraphx4test12test_managerE
	.type	_ZL21merge_many_duplicatesRN8migraphx4test12test_managerE,@function
_ZL21merge_many_duplicatesRN8migraphx4test12test_managerE: ; @_ZL21merge_many_duplicatesRN8migraphx4test12test_managerE
; %bb.0:
	s_waitcnt vmcnt(0) expcnt(0) lgkmcnt(0)
	s_mov_b32 s0, s33
	s_mov_b32 s33, s32
	s_or_saveexec_b64 s[2:3], -1
	scratch_store_dword off, v47, s33 offset:112 ; 4-byte Folded Spill
	s_mov_b64 exec, s[2:3]
	v_writelane_b32 v47, s0, 2
	v_writelane_b32 v47, s30, 0
	s_addk_i32 s32, 0x80
	s_nop 0
	v_writelane_b32 v47, s31, 1
	v_mov_b32_e32 v20, v0
	v_mov_b32_e32 v0, 1
	;; [unrolled: 1-line block ×6, first 2 shown]
	s_mov_b32 s0, 0
	scratch_store_dwordx4 off, v[0:3], s33
	s_mov_b32 s1, s0
	s_mov_b32 s2, s0
	v_mov_b32_e32 v3, 3
	v_mov_b32_e32 v1, v2
	scratch_store_dwordx4 off, v[0:3], s33 offset:16
	s_mov_b32 s3, s0
	v_mov_b32_e32 v6, 0
	v_mov_b64_e32 v[0:1], s[0:1]
	v_mov_b64_e32 v[2:3], s[2:3]
	s_add_i32 s0, s33, 32
	scratch_store_dwordx4 off, v[0:3], s33 offset:32
	scratch_store_dwordx4 off, v[0:3], s33 offset:48
                                        ; implicit-def: $sgpr2_sgpr3
                                        ; implicit-def: $sgpr6_sgpr7
                                        ; implicit-def: $sgpr4_sgpr5
	s_nop 1
	v_mov_b32_e32 v2, s0
	s_mov_b64 s[0:1], 0
	v_mov_b32_e32 v3, 0
	s_branch .LBB7_2
.LBB7_1:                                ;   in Loop: Header=BB7_2 Depth=1
	s_or_b64 exec, exec, s[10:11]
	s_and_b64 s[10:11], exec, s[6:7]
	s_or_b64 s[0:1], s[10:11], s[0:1]
	s_andn2_b64 s[2:3], s[2:3], exec
	s_and_b64 s[10:11], s[4:5], exec
	s_or_b64 s[2:3], s[2:3], s[10:11]
	s_andn2_b64 exec, exec, s[0:1]
	s_cbranch_execz .LBB7_4
.LBB7_2:                                ; =>This Inner Loop Header: Depth=1
	v_mov_b32_e32 v1, v6
	v_mov_b32_e32 v0, v2
	v_cmp_ne_u32_e32 vcc, 16, v3
	s_or_b64 s[4:5], s[4:5], exec
	s_or_b64 s[6:7], s[6:7], exec
                                        ; implicit-def: $vgpr6
                                        ; implicit-def: $vgpr2
                                        ; implicit-def: $vgpr4
                                        ; implicit-def: $vgpr5
	s_and_saveexec_b64 s[10:11], vcc
	s_cbranch_execz .LBB7_1
; %bb.3:                                ;   in Loop: Header=BB7_2 Depth=1
	s_add_i32 s15, s33, 16
	v_add_u32_e32 v4, s15, v3
	v_add_u32_e32 v2, s33, v1
	scratch_load_dword v5, v4, off
	scratch_load_dword v6, v2, off
	s_andn2_b64 s[6:7], s[6:7], exec
	v_add_u32_e32 v2, 4, v0
	s_andn2_b64 s[4:5], s[4:5], exec
	s_waitcnt vmcnt(0)
	v_cmp_ge_i32_e32 vcc, v5, v6
	s_nop 1
	v_cndmask_b32_e64 v8, 0, 1, vcc
	v_min_i32_e32 v7, v5, v6
	v_cmp_lt_i32_e32 vcc, v5, v6
	v_lshl_add_u32 v6, v8, 2, v1
	scratch_store_dword v0, v7, off
	v_cndmask_b32_e64 v5, 0, 1, vcc
	v_cmp_eq_u32_e32 vcc, 16, v6
	v_lshlrev_b32_e32 v5, 2, v5
	s_and_b64 s[16:17], vcc, exec
	v_add_u32_e32 v3, v5, v3
	s_or_b64 s[6:7], s[6:7], s[16:17]
	s_branch .LBB7_1
.LBB7_4:
	s_or_b64 exec, exec, s[0:1]
	s_xor_b64 s[0:1], s[2:3], -1
	s_and_saveexec_b64 s[2:3], s[0:1]
	s_xor_b64 s[0:1], exec, s[2:3]
	s_cbranch_execz .LBB7_14
; %bb.5:
	v_cmp_ne_u32_e32 vcc, 16, v3
	s_and_saveexec_b64 s[2:3], vcc
	s_cbranch_execz .LBB7_13
; %bb.6:
	v_cmp_ne_u32_e32 vcc, 12, v3
	s_mov_b64 s[6:7], -1
	v_mov_b32_e32 v6, 12
	s_and_saveexec_b64 s[4:5], vcc
	s_cbranch_execz .LBB7_10
; %bb.7:
	v_sub_u32_e32 v6, 12, v3
	v_lshrrev_b32_e32 v6, 2, v6
	v_add_u32_e32 v7, 1, v6
	v_and_b32_e32 v8, 0x7ffffffe, v7
	v_add_u32_e32 v4, v4, v5
	s_mov_b32 s10, 0
	s_mov_b64 s[6:7], 0
	v_mov_b32_e32 v5, v8
.LBB7_8:                                ; =>This Inner Loop Header: Depth=1
	v_add_u32_e32 v6, s10, v4
	scratch_load_dwordx2 v[10:11], v6, off
	v_add_u32_e32 v5, -2, v5
	v_add_u32_e32 v6, s10, v2
	s_add_i32 s10, s10, 8
	v_cmp_eq_u32_e32 vcc, 0, v5
	s_or_b64 s[6:7], vcc, s[6:7]
	s_waitcnt vmcnt(0)
	scratch_store_dwordx2 v6, v[10:11], off
	s_andn2_b64 exec, exec, s[6:7]
	s_cbranch_execnz .LBB7_8
; %bb.9:
	s_or_b64 exec, exec, s[6:7]
	v_lshlrev_b32_e32 v4, 2, v8
	v_cmp_ne_u32_e32 vcc, v7, v8
	v_add_u32_e32 v2, v2, v4
	v_add_u32_e32 v6, v3, v4
	s_orn2_b64 s[6:7], vcc, exec
.LBB7_10:
	s_or_b64 exec, exec, s[4:5]
	s_and_b64 exec, exec, s[6:7]
	s_cbranch_execz .LBB7_13
; %bb.11:
	s_mov_b64 s[4:5], 0
.LBB7_12:                               ; =>This Inner Loop Header: Depth=1
	s_add_i32 s6, s33, 16
	v_add_u32_e32 v3, s6, v6
	scratch_load_dword v3, v3, off
	v_add_u32_e32 v6, 4, v6
	v_add_u32_e32 v4, 4, v2
	v_cmp_eq_u32_e32 vcc, 16, v6
	s_or_b64 s[4:5], vcc, s[4:5]
	s_waitcnt vmcnt(0)
	scratch_store_dword v2, v3, off
	v_mov_b32_e32 v2, v4
	s_andn2_b64 exec, exec, s[4:5]
	s_cbranch_execnz .LBB7_12
.LBB7_13:
	s_or_b64 exec, exec, s[2:3]
.LBB7_14:
	s_andn2_saveexec_b64 s[0:1], s[0:1]
	s_cbranch_execz .LBB7_23
; %bb.15:
	v_cmp_ne_u32_e32 vcc, 12, v1
	s_mov_b64 s[4:5], -1
	v_mov_b32_e32 v2, 12
	s_and_saveexec_b64 s[2:3], vcc
	s_cbranch_execz .LBB7_19
; %bb.16:
	v_sub_u32_e32 v2, 12, v1
	v_lshrrev_b32_e32 v2, 2, v2
	v_add_u32_e32 v3, 1, v2
	v_and_b32_e32 v4, 0x7ffffffe, v3
	v_add_u32_e32 v2, s33, v1
	s_mov_b32 s6, 0
	s_mov_b64 s[4:5], 0
	v_mov_b32_e32 v5, v4
.LBB7_17:                               ; =>This Inner Loop Header: Depth=1
	v_add_u32_e32 v6, s6, v2
	scratch_load_dwordx2 v[6:7], v6, off
	v_add_u32_e32 v5, -2, v5
	v_add_u32_e32 v8, s6, v0
	s_add_i32 s6, s6, 8
	v_cmp_eq_u32_e32 vcc, 0, v5
	s_or_b64 s[4:5], vcc, s[4:5]
	s_waitcnt vmcnt(0)
	scratch_store_dwordx2 v8, v[6:7], off
	s_andn2_b64 exec, exec, s[4:5]
	s_cbranch_execnz .LBB7_17
; %bb.18:
	s_or_b64 exec, exec, s[4:5]
	v_lshlrev_b32_e32 v2, 2, v4
	v_cmp_ne_u32_e32 vcc, v3, v4
	v_add_u32_e32 v0, v0, v2
	v_add_u32_e32 v2, v1, v2
	s_orn2_b64 s[4:5], vcc, exec
.LBB7_19:
	s_or_b64 exec, exec, s[2:3]
	s_and_saveexec_b64 s[2:3], s[4:5]
	s_cbranch_execz .LBB7_22
; %bb.20:
	s_mov_b64 s[4:5], 0
.LBB7_21:                               ; =>This Inner Loop Header: Depth=1
	v_add_u32_e32 v1, s33, v2
	scratch_load_dword v1, v1, off
	v_add_u32_e32 v2, 4, v2
	v_add_u32_e32 v3, 4, v0
	v_cmp_eq_u32_e32 vcc, 16, v2
	s_or_b64 s[4:5], vcc, s[4:5]
	s_waitcnt vmcnt(0)
	scratch_store_dword v0, v1, off
	v_mov_b32_e32 v0, v3
	s_andn2_b64 exec, exec, s[4:5]
	s_cbranch_execnz .LBB7_21
.LBB7_22:
	s_or_b64 exec, exec, s[2:3]
.LBB7_23:
	s_or_b64 exec, exec, s[0:1]
	scratch_load_dwordx4 v[0:3], off, s33 offset:32
	scratch_load_dwordx4 v[4:7], off, s33 offset:48
	s_mov_b64 s[0:1], src_private_base
	s_add_i32 s0, s33, 32
	v_mov_b32_e32 v16, s0
	s_add_i32 s0, s33, 64
	v_mov_b32_e32 v18, s0
	s_movk_i32 s0, 0xff
	v_mov_b32_e32 v8, 1
	v_mov_b32_e32 v11, 2
	;; [unrolled: 1-line block ×10, first 2 shown]
	scratch_store_dwordx4 off, v[8:11], s33 offset:64
	scratch_store_dwordx4 off, v[12:15], s33 offset:80
	scratch_store_dwordx4 off, v[16:19], s33 offset:96
	s_waitcnt vmcnt(4)
	v_cmp_ne_u32_e32 vcc, 1, v1
	s_nop 1
	v_cndmask_b32_e64 v1, 0, 1, vcc
	v_cmp_ne_u32_e32 vcc, 1, v0
	v_lshlrev_b16_e32 v1, 1, v1
	s_nop 0
	v_cndmask_b32_e64 v0, 0, 1, vcc
	v_cmp_ne_u32_e32 vcc, 1, v2
	v_bitop3_b16 v0, v0, 3, v1 bitop3:0xc8
	s_nop 0
	v_cndmask_b32_e64 v2, 0, 1, vcc
	v_cmp_ne_u32_e32 vcc, 2, v3
	v_lshlrev_b16_e32 v2, 2, v2
	s_nop 0
	v_cndmask_b32_e64 v3, 0, 1, vcc
	s_waitcnt vmcnt(3)
	v_cmp_ne_u32_e32 vcc, 2, v6
	v_lshlrev_b16_e32 v3, 3, v3
	v_or_b32_e32 v1, v3, v2
	v_cndmask_b32_e64 v6, 0, 1, vcc
	v_cmp_ne_u32_e32 vcc, 3, v7
	v_lshlrev_b16_e32 v6, 2, v6
	v_bitop3_b16 v0, v0, 15, v1 bitop3:0xc8
	v_cndmask_b32_e64 v7, 0, 1, vcc
	v_cmp_ne_u32_e32 vcc, 2, v5
	v_lshlrev_b16_e32 v7, 3, v7
	v_or_b32_e32 v2, v7, v6
	v_cndmask_b32_e64 v5, 0, 1, vcc
	v_cmp_ne_u32_e32 vcc, 2, v4
	v_lshlrev_b16_e32 v5, 1, v5
	s_nop 0
	v_cndmask_b32_e64 v4, 0, 1, vcc
	v_or_b32_e32 v3, v4, v5
	v_bitop3_b16 v1, v3, v2, 3 bitop3:0xec
	v_lshlrev_b16_e32 v1, 4, v1
	v_bitop3_b16 v0, v0, s0, v1 bitop3:0xc8
	v_cmp_ne_u16_e32 vcc, 0, v0
	s_and_saveexec_b64 s[0:1], vcc
	s_xor_b64 s[38:39], exec, s[0:1]
	s_cbranch_execz .LBB7_1585
; %bb.24:
	v_and_b32_e32 v0, 0x3ff, v31
	v_cmp_eq_u32_e32 vcc, 0, v0
	s_and_saveexec_b64 s[40:41], vcc
	s_cbranch_execz .LBB7_1584
; %bb.25:
	s_load_dwordx2 s[2:3], s[8:9], 0x50
	v_mbcnt_lo_u32_b32 v0, -1, 0
	v_mbcnt_hi_u32_b32 v36, -1, v0
	v_accvgpr_write_b32 a0, v20
	v_readfirstlane_b32 s0, v36
	v_accvgpr_write_b32 a1, v21
	v_mov_b64_e32 v[4:5], 0
	v_cmp_eq_u32_e64 s[0:1], s0, v36
	s_and_saveexec_b64 s[4:5], s[0:1]
	s_cbranch_execz .LBB7_31
; %bb.26:
	v_mov_b32_e32 v0, 0
	s_waitcnt lgkmcnt(0)
	global_load_dwordx2 v[6:7], v0, s[2:3] offset:24 sc0 sc1
	s_waitcnt vmcnt(0)
	buffer_inv sc0 sc1
	global_load_dwordx2 v[2:3], v0, s[2:3] offset:40
	global_load_dwordx2 v[4:5], v0, s[2:3]
	s_waitcnt vmcnt(1)
	v_and_b32_e32 v1, v2, v6
	v_and_b32_e32 v2, v3, v7
	v_mul_lo_u32 v2, v2, 24
	v_mul_hi_u32 v3, v1, 24
	v_add_u32_e32 v3, v3, v2
	v_mul_lo_u32 v2, v1, 24
	s_waitcnt vmcnt(0)
	v_lshl_add_u64 v[2:3], v[4:5], 0, v[2:3]
	global_load_dwordx2 v[4:5], v[2:3], off sc0 sc1
	s_waitcnt vmcnt(0)
	global_atomic_cmpswap_x2 v[4:5], v0, v[4:7], s[2:3] offset:24 sc0 sc1
	s_waitcnt vmcnt(0)
	buffer_inv sc0 sc1
	v_cmp_ne_u64_e32 vcc, v[4:5], v[6:7]
	s_and_saveexec_b64 s[6:7], vcc
	s_cbranch_execz .LBB7_30
; %bb.27:
	s_mov_b64 s[10:11], 0
.LBB7_28:                               ; =>This Inner Loop Header: Depth=1
	s_sleep 1
	global_load_dwordx2 v[2:3], v0, s[2:3] offset:40
	global_load_dwordx2 v[8:9], v0, s[2:3]
	v_mov_b64_e32 v[6:7], v[4:5]
	s_waitcnt vmcnt(1)
	v_and_b32_e32 v2, v2, v6
	v_and_b32_e32 v1, v3, v7
	s_waitcnt vmcnt(0)
	v_mad_u64_u32 v[2:3], s[16:17], v2, 24, v[8:9]
	v_mov_b32_e32 v4, v3
	v_mad_u64_u32 v[4:5], s[16:17], v1, 24, v[4:5]
	v_mov_b32_e32 v3, v4
	global_load_dwordx2 v[4:5], v[2:3], off sc0 sc1
	s_waitcnt vmcnt(0)
	global_atomic_cmpswap_x2 v[4:5], v0, v[4:7], s[2:3] offset:24 sc0 sc1
	s_waitcnt vmcnt(0)
	buffer_inv sc0 sc1
	v_cmp_eq_u64_e32 vcc, v[4:5], v[6:7]
	s_or_b64 s[10:11], vcc, s[10:11]
	s_andn2_b64 exec, exec, s[10:11]
	s_cbranch_execnz .LBB7_28
; %bb.29:
	s_or_b64 exec, exec, s[10:11]
.LBB7_30:
	s_or_b64 exec, exec, s[6:7]
.LBB7_31:
	s_or_b64 exec, exec, s[4:5]
	v_mov_b32_e32 v29, 0
	s_waitcnt lgkmcnt(0)
	global_load_dwordx2 v[6:7], v29, s[2:3] offset:40
	global_load_dwordx4 v[0:3], v29, s[2:3]
	v_readfirstlane_b32 s4, v4
	v_readfirstlane_b32 s5, v5
	s_mov_b64 s[6:7], exec
	s_waitcnt vmcnt(1)
	v_readfirstlane_b32 s10, v6
	v_readfirstlane_b32 s11, v7
	s_and_b64 s[10:11], s[4:5], s[10:11]
	s_mul_i32 s15, s11, 24
	s_mul_hi_u32 s16, s10, 24
	s_add_i32 s17, s16, s15
	s_mul_i32 s16, s10, 24
	s_waitcnt vmcnt(0)
	v_lshl_add_u64 v[4:5], v[0:1], 0, s[16:17]
	s_and_saveexec_b64 s[16:17], s[0:1]
	s_cbranch_execz .LBB7_33
; %bb.32:
	v_mov_b64_e32 v[6:7], s[6:7]
	v_mov_b32_e32 v8, 2
	v_mov_b32_e32 v9, 1
	global_store_dwordx4 v[4:5], v[6:9], off offset:8
.LBB7_33:
	s_or_b64 exec, exec, s[16:17]
	s_lshl_b64 s[6:7], s[10:11], 12
	v_lshl_add_u64 v[6:7], v[2:3], 0, s[6:7]
	s_mov_b32 s16, 0
	v_lshlrev_b32_e32 v28, 6, v36
	v_mov_b32_e32 v8, 33
	v_mov_b32_e32 v9, v29
	;; [unrolled: 1-line block ×4, first 2 shown]
	v_readfirstlane_b32 s6, v6
	v_readfirstlane_b32 s7, v7
	s_mov_b32 s17, s16
	s_mov_b32 s18, s16
	;; [unrolled: 1-line block ×3, first 2 shown]
	s_nop 1
	global_store_dwordx4 v28, v[8:11], s[6:7]
	s_nop 1
	v_mov_b64_e32 v[8:9], s[16:17]
	v_mov_b64_e32 v[10:11], s[18:19]
	global_store_dwordx4 v28, v[8:11], s[6:7] offset:16
	global_store_dwordx4 v28, v[8:11], s[6:7] offset:32
	;; [unrolled: 1-line block ×3, first 2 shown]
	s_and_saveexec_b64 s[6:7], s[0:1]
	s_cbranch_execz .LBB7_41
; %bb.34:
	v_mov_b32_e32 v10, 0
	global_load_dwordx2 v[14:15], v10, s[2:3] offset:32 sc0 sc1
	global_load_dwordx2 v[2:3], v10, s[2:3] offset:40
	v_mov_b32_e32 v12, s4
	v_mov_b32_e32 v13, s5
	s_waitcnt vmcnt(0)
	v_and_b32_e32 v2, s4, v2
	v_and_b32_e32 v3, s5, v3
	v_mul_lo_u32 v3, v3, 24
	v_mul_hi_u32 v8, v2, 24
	v_mul_lo_u32 v2, v2, 24
	v_add_u32_e32 v3, v8, v3
	v_lshl_add_u64 v[8:9], v[0:1], 0, v[2:3]
	global_store_dwordx2 v[8:9], v[14:15], off
	buffer_wbl2 sc0 sc1
	s_waitcnt vmcnt(0)
	global_atomic_cmpswap_x2 v[2:3], v10, v[12:15], s[2:3] offset:32 sc0 sc1
	s_waitcnt vmcnt(0)
	v_cmp_ne_u64_e32 vcc, v[2:3], v[14:15]
	s_and_saveexec_b64 s[10:11], vcc
	s_cbranch_execz .LBB7_37
; %bb.35:
	s_mov_b64 s[16:17], 0
.LBB7_36:                               ; =>This Inner Loop Header: Depth=1
	s_sleep 1
	global_store_dwordx2 v[8:9], v[2:3], off
	v_mov_b32_e32 v0, s4
	v_mov_b32_e32 v1, s5
	buffer_wbl2 sc0 sc1
	s_waitcnt vmcnt(0)
	global_atomic_cmpswap_x2 v[0:1], v10, v[0:3], s[2:3] offset:32 sc0 sc1
	s_waitcnt vmcnt(0)
	v_cmp_eq_u64_e32 vcc, v[0:1], v[2:3]
	s_or_b64 s[16:17], vcc, s[16:17]
	v_mov_b64_e32 v[2:3], v[0:1]
	s_andn2_b64 exec, exec, s[16:17]
	s_cbranch_execnz .LBB7_36
.LBB7_37:
	s_or_b64 exec, exec, s[10:11]
	v_mov_b32_e32 v3, 0
	global_load_dwordx2 v[0:1], v3, s[2:3] offset:16
	s_mov_b64 s[10:11], exec
	v_mbcnt_lo_u32_b32 v2, s10, 0
	v_mbcnt_hi_u32_b32 v2, s11, v2
	v_cmp_eq_u32_e32 vcc, 0, v2
	s_and_saveexec_b64 s[16:17], vcc
	s_cbranch_execz .LBB7_39
; %bb.38:
	s_bcnt1_i32_b64 s10, s[10:11]
	v_mov_b32_e32 v2, s10
	buffer_wbl2 sc0 sc1
	s_waitcnt vmcnt(0)
	global_atomic_add_x2 v[0:1], v[2:3], off offset:8 sc1
.LBB7_39:
	s_or_b64 exec, exec, s[16:17]
	s_waitcnt vmcnt(0)
	global_load_dwordx2 v[2:3], v[0:1], off offset:16
	s_waitcnt vmcnt(0)
	v_cmp_eq_u64_e32 vcc, 0, v[2:3]
	s_cbranch_vccnz .LBB7_41
; %bb.40:
	global_load_dword v0, v[0:1], off offset:24
	v_mov_b32_e32 v1, 0
	buffer_wbl2 sc0 sc1
	s_waitcnt vmcnt(0)
	global_store_dwordx2 v[2:3], v[0:1], off sc0 sc1
	v_and_b32_e32 v0, 0xffffff, v0
	s_nop 0
	v_readfirstlane_b32 m0, v0
	s_sendmsg sendmsg(MSG_INTERRUPT)
.LBB7_41:
	s_or_b64 exec, exec, s[6:7]
	v_lshl_add_u64 v[0:1], v[6:7], 0, v[28:29]
	s_branch .LBB7_45
.LBB7_42:                               ;   in Loop: Header=BB7_45 Depth=1
	s_or_b64 exec, exec, s[6:7]
	v_readfirstlane_b32 s6, v2
	s_cmp_eq_u32 s6, 0
	s_cbranch_scc1 .LBB7_44
; %bb.43:                               ;   in Loop: Header=BB7_45 Depth=1
	s_sleep 1
	s_cbranch_execnz .LBB7_45
	s_branch .LBB7_47
.LBB7_44:
	s_branch .LBB7_47
.LBB7_45:                               ; =>This Inner Loop Header: Depth=1
	v_mov_b32_e32 v2, 1
	s_and_saveexec_b64 s[6:7], s[0:1]
	s_cbranch_execz .LBB7_42
; %bb.46:                               ;   in Loop: Header=BB7_45 Depth=1
	global_load_dword v2, v[4:5], off offset:20 sc0 sc1
	s_waitcnt vmcnt(0)
	buffer_inv sc0 sc1
	v_and_b32_e32 v2, 1, v2
	s_branch .LBB7_42
.LBB7_47:
	global_load_dwordx2 v[4:5], v[0:1], off
	s_and_saveexec_b64 s[6:7], s[0:1]
	s_cbranch_execz .LBB7_50
; %bb.48:
	v_mov_b32_e32 v8, 0
	global_load_dwordx2 v[6:7], v8, s[2:3] offset:40
	global_load_dwordx2 v[10:11], v8, s[2:3] offset:24 sc0 sc1
	global_load_dwordx2 v[12:13], v8, s[2:3]
	s_mov_b64 s[0:1], 0
	s_waitcnt vmcnt(2)
	v_lshl_add_u64 v[0:1], v[6:7], 0, 1
	v_lshl_add_u64 v[14:15], v[0:1], 0, s[4:5]
	v_cmp_eq_u64_e32 vcc, 0, v[14:15]
	s_waitcnt vmcnt(1)
	v_mov_b32_e32 v2, v10
	v_cndmask_b32_e32 v1, v15, v1, vcc
	v_cndmask_b32_e32 v0, v14, v0, vcc
	v_and_b32_e32 v3, v1, v7
	v_and_b32_e32 v6, v0, v6
	v_mul_lo_u32 v3, v3, 24
	v_mul_hi_u32 v7, v6, 24
	v_mul_lo_u32 v6, v6, 24
	v_add_u32_e32 v7, v7, v3
	s_waitcnt vmcnt(0)
	v_lshl_add_u64 v[6:7], v[12:13], 0, v[6:7]
	global_store_dwordx2 v[6:7], v[10:11], off
	v_mov_b32_e32 v3, v11
	buffer_wbl2 sc0 sc1
	s_waitcnt vmcnt(0)
	global_atomic_cmpswap_x2 v[2:3], v8, v[0:3], s[2:3] offset:24 sc0 sc1
	s_waitcnt vmcnt(0)
	v_cmp_ne_u64_e32 vcc, v[2:3], v[10:11]
	s_and_b64 exec, exec, vcc
	s_cbranch_execz .LBB7_50
.LBB7_49:                               ; =>This Inner Loop Header: Depth=1
	s_sleep 1
	global_store_dwordx2 v[6:7], v[2:3], off
	buffer_wbl2 sc0 sc1
	s_waitcnt vmcnt(0)
	global_atomic_cmpswap_x2 v[10:11], v8, v[0:3], s[2:3] offset:24 sc0 sc1
	s_waitcnt vmcnt(0)
	v_cmp_eq_u64_e32 vcc, v[10:11], v[2:3]
	s_or_b64 s[0:1], vcc, s[0:1]
	v_mov_b64_e32 v[2:3], v[10:11]
	s_andn2_b64 exec, exec, s[0:1]
	s_cbranch_execnz .LBB7_49
.LBB7_50:
	s_or_b64 exec, exec, s[6:7]
	s_getpc_b64 s[6:7]
	s_add_u32 s6, s6, .str.5@rel32@lo+4
	s_addc_u32 s7, s7, .str.5@rel32@hi+12
	s_cmp_lg_u64 s[6:7], 0
	s_cselect_b64 s[4:5], -1, 0
	s_and_b64 vcc, exec, s[4:5]
	s_cbranch_vccz .LBB7_135
; %bb.51:
	s_waitcnt vmcnt(0)
	v_and_b32_e32 v26, 2, v4
	v_mov_b32_e32 v31, 0
	v_and_b32_e32 v0, -3, v4
	v_mov_b32_e32 v1, v5
	s_mov_b64 s[10:11], 3
	v_mov_b32_e32 v8, 2
	v_mov_b32_e32 v9, 1
	s_branch .LBB7_53
.LBB7_52:                               ;   in Loop: Header=BB7_53 Depth=1
	s_or_b64 exec, exec, s[20:21]
	s_sub_u32 s10, s10, s16
	s_subb_u32 s11, s11, s17
	s_add_u32 s6, s6, s16
	s_addc_u32 s7, s7, s17
	s_cmp_lg_u64 s[10:11], 0
	s_cbranch_scc0 .LBB7_134
.LBB7_53:                               ; =>This Loop Header: Depth=1
                                        ;     Child Loop BB7_56 Depth 2
                                        ;     Child Loop BB7_63 Depth 2
	;; [unrolled: 1-line block ×11, first 2 shown]
	v_cmp_lt_u64_e64 s[0:1], s[10:11], 56
	s_and_b64 s[0:1], s[0:1], exec
	v_cmp_gt_u64_e64 s[0:1], s[10:11], 7
	s_cselect_b32 s17, s11, 0
	s_cselect_b32 s16, s10, 56
	s_and_b64 vcc, exec, s[0:1]
	s_cbranch_vccnz .LBB7_58
; %bb.54:                               ;   in Loop: Header=BB7_53 Depth=1
	s_mov_b64 s[0:1], 0
	s_cmp_eq_u64 s[10:11], 0
	s_waitcnt vmcnt(0)
	v_mov_b64_e32 v[2:3], 0
	s_cbranch_scc1 .LBB7_57
; %bb.55:                               ;   in Loop: Header=BB7_53 Depth=1
	s_lshl_b64 s[18:19], s[16:17], 3
	s_mov_b64 s[20:21], 0
	v_mov_b64_e32 v[2:3], 0
	s_mov_b64 s[22:23], s[6:7]
.LBB7_56:                               ;   Parent Loop BB7_53 Depth=1
                                        ; =>  This Inner Loop Header: Depth=2
	global_load_ubyte v6, v31, s[22:23]
	s_waitcnt vmcnt(0)
	v_and_b32_e32 v30, 0xffff, v6
	v_lshlrev_b64 v[6:7], s20, v[30:31]
	s_add_u32 s20, s20, 8
	s_addc_u32 s21, s21, 0
	s_add_u32 s22, s22, 1
	s_addc_u32 s23, s23, 0
	v_or_b32_e32 v2, v6, v2
	s_cmp_lg_u32 s18, s20
	v_or_b32_e32 v3, v7, v3
	s_cbranch_scc1 .LBB7_56
.LBB7_57:                               ;   in Loop: Header=BB7_53 Depth=1
	s_mov_b32 s15, 0
	s_andn2_b64 vcc, exec, s[0:1]
	s_mov_b64 s[0:1], s[6:7]
	s_cbranch_vccz .LBB7_59
	s_branch .LBB7_60
.LBB7_58:                               ;   in Loop: Header=BB7_53 Depth=1
                                        ; implicit-def: $vgpr2_vgpr3
                                        ; implicit-def: $sgpr15
	s_mov_b64 s[0:1], s[6:7]
.LBB7_59:                               ;   in Loop: Header=BB7_53 Depth=1
	global_load_dwordx2 v[2:3], v31, s[6:7]
	s_add_i32 s15, s16, -8
	s_add_u32 s0, s6, 8
	s_addc_u32 s1, s7, 0
.LBB7_60:                               ;   in Loop: Header=BB7_53 Depth=1
	s_cmp_gt_u32 s15, 7
	s_cbranch_scc1 .LBB7_64
; %bb.61:                               ;   in Loop: Header=BB7_53 Depth=1
	s_cmp_eq_u32 s15, 0
	s_cbranch_scc1 .LBB7_65
; %bb.62:                               ;   in Loop: Header=BB7_53 Depth=1
	s_mov_b64 s[18:19], 0
	v_mov_b64_e32 v[10:11], 0
	s_mov_b64 s[20:21], 0
.LBB7_63:                               ;   Parent Loop BB7_53 Depth=1
                                        ; =>  This Inner Loop Header: Depth=2
	s_add_u32 s22, s0, s20
	s_addc_u32 s23, s1, s21
	global_load_ubyte v6, v31, s[22:23]
	s_add_u32 s20, s20, 1
	s_addc_u32 s21, s21, 0
	s_waitcnt vmcnt(0)
	v_and_b32_e32 v30, 0xffff, v6
	v_lshlrev_b64 v[6:7], s18, v[30:31]
	s_add_u32 s18, s18, 8
	s_addc_u32 s19, s19, 0
	v_or_b32_e32 v10, v6, v10
	s_cmp_lg_u32 s15, s20
	v_or_b32_e32 v11, v7, v11
	s_cbranch_scc1 .LBB7_63
	s_branch .LBB7_66
.LBB7_64:                               ;   in Loop: Header=BB7_53 Depth=1
                                        ; implicit-def: $vgpr10_vgpr11
                                        ; implicit-def: $sgpr22
	s_branch .LBB7_67
.LBB7_65:                               ;   in Loop: Header=BB7_53 Depth=1
	v_mov_b64_e32 v[10:11], 0
.LBB7_66:                               ;   in Loop: Header=BB7_53 Depth=1
	s_mov_b32 s22, 0
	s_cbranch_execnz .LBB7_68
.LBB7_67:                               ;   in Loop: Header=BB7_53 Depth=1
	global_load_dwordx2 v[10:11], v31, s[0:1]
	s_add_i32 s22, s15, -8
	s_add_u32 s0, s0, 8
	s_addc_u32 s1, s1, 0
.LBB7_68:                               ;   in Loop: Header=BB7_53 Depth=1
	s_cmp_gt_u32 s22, 7
	s_cbranch_scc1 .LBB7_72
; %bb.69:                               ;   in Loop: Header=BB7_53 Depth=1
	s_cmp_eq_u32 s22, 0
	s_cbranch_scc1 .LBB7_73
; %bb.70:                               ;   in Loop: Header=BB7_53 Depth=1
	s_mov_b64 s[18:19], 0
	v_mov_b64_e32 v[12:13], 0
	s_mov_b64 s[20:21], 0
.LBB7_71:                               ;   Parent Loop BB7_53 Depth=1
                                        ; =>  This Inner Loop Header: Depth=2
	s_add_u32 s24, s0, s20
	s_addc_u32 s25, s1, s21
	global_load_ubyte v6, v31, s[24:25]
	s_add_u32 s20, s20, 1
	s_addc_u32 s21, s21, 0
	s_waitcnt vmcnt(0)
	v_and_b32_e32 v30, 0xffff, v6
	v_lshlrev_b64 v[6:7], s18, v[30:31]
	s_add_u32 s18, s18, 8
	s_addc_u32 s19, s19, 0
	v_or_b32_e32 v12, v6, v12
	s_cmp_lg_u32 s22, s20
	v_or_b32_e32 v13, v7, v13
	s_cbranch_scc1 .LBB7_71
	s_branch .LBB7_74
.LBB7_72:                               ;   in Loop: Header=BB7_53 Depth=1
                                        ; implicit-def: $sgpr15
	s_branch .LBB7_75
.LBB7_73:                               ;   in Loop: Header=BB7_53 Depth=1
	v_mov_b64_e32 v[12:13], 0
.LBB7_74:                               ;   in Loop: Header=BB7_53 Depth=1
	s_mov_b32 s15, 0
	s_cbranch_execnz .LBB7_76
.LBB7_75:                               ;   in Loop: Header=BB7_53 Depth=1
	global_load_dwordx2 v[12:13], v31, s[0:1]
	s_add_i32 s15, s22, -8
	s_add_u32 s0, s0, 8
	s_addc_u32 s1, s1, 0
.LBB7_76:                               ;   in Loop: Header=BB7_53 Depth=1
	s_cmp_gt_u32 s15, 7
	s_cbranch_scc1 .LBB7_80
; %bb.77:                               ;   in Loop: Header=BB7_53 Depth=1
	s_cmp_eq_u32 s15, 0
	s_cbranch_scc1 .LBB7_81
; %bb.78:                               ;   in Loop: Header=BB7_53 Depth=1
	s_mov_b64 s[18:19], 0
	v_mov_b64_e32 v[14:15], 0
	s_mov_b64 s[20:21], 0
.LBB7_79:                               ;   Parent Loop BB7_53 Depth=1
                                        ; =>  This Inner Loop Header: Depth=2
	s_add_u32 s22, s0, s20
	s_addc_u32 s23, s1, s21
	global_load_ubyte v6, v31, s[22:23]
	s_add_u32 s20, s20, 1
	s_addc_u32 s21, s21, 0
	s_waitcnt vmcnt(0)
	v_and_b32_e32 v30, 0xffff, v6
	v_lshlrev_b64 v[6:7], s18, v[30:31]
	s_add_u32 s18, s18, 8
	s_addc_u32 s19, s19, 0
	v_or_b32_e32 v14, v6, v14
	s_cmp_lg_u32 s15, s20
	v_or_b32_e32 v15, v7, v15
	s_cbranch_scc1 .LBB7_79
	s_branch .LBB7_82
.LBB7_80:                               ;   in Loop: Header=BB7_53 Depth=1
                                        ; implicit-def: $vgpr14_vgpr15
                                        ; implicit-def: $sgpr22
	s_branch .LBB7_83
.LBB7_81:                               ;   in Loop: Header=BB7_53 Depth=1
	v_mov_b64_e32 v[14:15], 0
.LBB7_82:                               ;   in Loop: Header=BB7_53 Depth=1
	s_mov_b32 s22, 0
	s_cbranch_execnz .LBB7_84
.LBB7_83:                               ;   in Loop: Header=BB7_53 Depth=1
	global_load_dwordx2 v[14:15], v31, s[0:1]
	s_add_i32 s22, s15, -8
	s_add_u32 s0, s0, 8
	s_addc_u32 s1, s1, 0
.LBB7_84:                               ;   in Loop: Header=BB7_53 Depth=1
	s_cmp_gt_u32 s22, 7
	s_cbranch_scc1 .LBB7_88
; %bb.85:                               ;   in Loop: Header=BB7_53 Depth=1
	s_cmp_eq_u32 s22, 0
	s_cbranch_scc1 .LBB7_89
; %bb.86:                               ;   in Loop: Header=BB7_53 Depth=1
	s_mov_b64 s[18:19], 0
	v_mov_b64_e32 v[16:17], 0
	s_mov_b64 s[20:21], 0
.LBB7_87:                               ;   Parent Loop BB7_53 Depth=1
                                        ; =>  This Inner Loop Header: Depth=2
	s_add_u32 s24, s0, s20
	s_addc_u32 s25, s1, s21
	global_load_ubyte v6, v31, s[24:25]
	s_add_u32 s20, s20, 1
	s_addc_u32 s21, s21, 0
	s_waitcnt vmcnt(0)
	v_and_b32_e32 v30, 0xffff, v6
	v_lshlrev_b64 v[6:7], s18, v[30:31]
	s_add_u32 s18, s18, 8
	s_addc_u32 s19, s19, 0
	v_or_b32_e32 v16, v6, v16
	s_cmp_lg_u32 s22, s20
	v_or_b32_e32 v17, v7, v17
	s_cbranch_scc1 .LBB7_87
	s_branch .LBB7_90
.LBB7_88:                               ;   in Loop: Header=BB7_53 Depth=1
                                        ; implicit-def: $sgpr15
	s_branch .LBB7_91
.LBB7_89:                               ;   in Loop: Header=BB7_53 Depth=1
	v_mov_b64_e32 v[16:17], 0
.LBB7_90:                               ;   in Loop: Header=BB7_53 Depth=1
	s_mov_b32 s15, 0
	s_cbranch_execnz .LBB7_92
.LBB7_91:                               ;   in Loop: Header=BB7_53 Depth=1
	global_load_dwordx2 v[16:17], v31, s[0:1]
	s_add_i32 s15, s22, -8
	s_add_u32 s0, s0, 8
	s_addc_u32 s1, s1, 0
.LBB7_92:                               ;   in Loop: Header=BB7_53 Depth=1
	s_cmp_gt_u32 s15, 7
	s_cbranch_scc1 .LBB7_96
; %bb.93:                               ;   in Loop: Header=BB7_53 Depth=1
	s_cmp_eq_u32 s15, 0
	s_cbranch_scc1 .LBB7_97
; %bb.94:                               ;   in Loop: Header=BB7_53 Depth=1
	s_mov_b64 s[18:19], 0
	v_mov_b64_e32 v[18:19], 0
	s_mov_b64 s[20:21], 0
.LBB7_95:                               ;   Parent Loop BB7_53 Depth=1
                                        ; =>  This Inner Loop Header: Depth=2
	s_add_u32 s22, s0, s20
	s_addc_u32 s23, s1, s21
	global_load_ubyte v6, v31, s[22:23]
	s_add_u32 s20, s20, 1
	s_addc_u32 s21, s21, 0
	s_waitcnt vmcnt(0)
	v_and_b32_e32 v30, 0xffff, v6
	v_lshlrev_b64 v[6:7], s18, v[30:31]
	s_add_u32 s18, s18, 8
	s_addc_u32 s19, s19, 0
	v_or_b32_e32 v18, v6, v18
	s_cmp_lg_u32 s15, s20
	v_or_b32_e32 v19, v7, v19
	s_cbranch_scc1 .LBB7_95
	s_branch .LBB7_98
.LBB7_96:                               ;   in Loop: Header=BB7_53 Depth=1
                                        ; implicit-def: $vgpr18_vgpr19
                                        ; implicit-def: $sgpr22
	s_branch .LBB7_99
.LBB7_97:                               ;   in Loop: Header=BB7_53 Depth=1
	v_mov_b64_e32 v[18:19], 0
.LBB7_98:                               ;   in Loop: Header=BB7_53 Depth=1
	s_mov_b32 s22, 0
	s_cbranch_execnz .LBB7_100
.LBB7_99:                               ;   in Loop: Header=BB7_53 Depth=1
	global_load_dwordx2 v[18:19], v31, s[0:1]
	s_add_i32 s22, s15, -8
	s_add_u32 s0, s0, 8
	s_addc_u32 s1, s1, 0
.LBB7_100:                              ;   in Loop: Header=BB7_53 Depth=1
	s_cmp_gt_u32 s22, 7
	s_cbranch_scc1 .LBB7_104
; %bb.101:                              ;   in Loop: Header=BB7_53 Depth=1
	s_cmp_eq_u32 s22, 0
	s_cbranch_scc1 .LBB7_105
; %bb.102:                              ;   in Loop: Header=BB7_53 Depth=1
	s_mov_b64 s[18:19], 0
	v_mov_b64_e32 v[20:21], 0
	s_mov_b64 s[20:21], s[0:1]
.LBB7_103:                              ;   Parent Loop BB7_53 Depth=1
                                        ; =>  This Inner Loop Header: Depth=2
	global_load_ubyte v6, v31, s[20:21]
	s_add_i32 s22, s22, -1
	s_waitcnt vmcnt(0)
	v_and_b32_e32 v30, 0xffff, v6
	v_lshlrev_b64 v[6:7], s18, v[30:31]
	s_add_u32 s18, s18, 8
	s_addc_u32 s19, s19, 0
	s_add_u32 s20, s20, 1
	s_addc_u32 s21, s21, 0
	v_or_b32_e32 v20, v6, v20
	s_cmp_lg_u32 s22, 0
	v_or_b32_e32 v21, v7, v21
	s_cbranch_scc1 .LBB7_103
	s_branch .LBB7_106
.LBB7_104:                              ;   in Loop: Header=BB7_53 Depth=1
	s_branch .LBB7_107
.LBB7_105:                              ;   in Loop: Header=BB7_53 Depth=1
	v_mov_b64_e32 v[20:21], 0
.LBB7_106:                              ;   in Loop: Header=BB7_53 Depth=1
	s_cbranch_execnz .LBB7_108
.LBB7_107:                              ;   in Loop: Header=BB7_53 Depth=1
	global_load_dwordx2 v[20:21], v31, s[0:1]
.LBB7_108:                              ;   in Loop: Header=BB7_53 Depth=1
	v_readfirstlane_b32 s0, v36
	v_mov_b64_e32 v[6:7], 0
	s_nop 0
	v_cmp_eq_u32_e64 s[0:1], s0, v36
	s_and_saveexec_b64 s[18:19], s[0:1]
	s_cbranch_execz .LBB7_114
; %bb.109:                              ;   in Loop: Header=BB7_53 Depth=1
	global_load_dwordx2 v[24:25], v31, s[2:3] offset:24 sc0 sc1
	s_waitcnt vmcnt(0)
	buffer_inv sc0 sc1
	global_load_dwordx2 v[6:7], v31, s[2:3] offset:40
	global_load_dwordx2 v[22:23], v31, s[2:3]
	s_waitcnt vmcnt(1)
	v_and_b32_e32 v6, v6, v24
	v_and_b32_e32 v7, v7, v25
	v_mul_lo_u32 v7, v7, 24
	v_mul_hi_u32 v27, v6, 24
	v_add_u32_e32 v7, v27, v7
	v_mul_lo_u32 v6, v6, 24
	s_waitcnt vmcnt(0)
	v_lshl_add_u64 v[6:7], v[22:23], 0, v[6:7]
	global_load_dwordx2 v[22:23], v[6:7], off sc0 sc1
	s_waitcnt vmcnt(0)
	global_atomic_cmpswap_x2 v[6:7], v31, v[22:25], s[2:3] offset:24 sc0 sc1
	s_waitcnt vmcnt(0)
	buffer_inv sc0 sc1
	v_cmp_ne_u64_e32 vcc, v[6:7], v[24:25]
	s_and_saveexec_b64 s[20:21], vcc
	s_cbranch_execz .LBB7_113
; %bb.110:                              ;   in Loop: Header=BB7_53 Depth=1
	s_mov_b64 s[22:23], 0
.LBB7_111:                              ;   Parent Loop BB7_53 Depth=1
                                        ; =>  This Inner Loop Header: Depth=2
	s_sleep 1
	global_load_dwordx2 v[22:23], v31, s[2:3] offset:40
	global_load_dwordx2 v[32:33], v31, s[2:3]
	v_mov_b64_e32 v[24:25], v[6:7]
	s_waitcnt vmcnt(1)
	v_and_b32_e32 v6, v22, v24
	s_waitcnt vmcnt(0)
	v_mad_u64_u32 v[6:7], s[24:25], v6, 24, v[32:33]
	v_and_b32_e32 v23, v23, v25
	v_mov_b32_e32 v22, v7
	v_mad_u64_u32 v[22:23], s[24:25], v23, 24, v[22:23]
	v_mov_b32_e32 v7, v22
	global_load_dwordx2 v[22:23], v[6:7], off sc0 sc1
	s_waitcnt vmcnt(0)
	global_atomic_cmpswap_x2 v[6:7], v31, v[22:25], s[2:3] offset:24 sc0 sc1
	s_waitcnt vmcnt(0)
	buffer_inv sc0 sc1
	v_cmp_eq_u64_e32 vcc, v[6:7], v[24:25]
	s_or_b64 s[22:23], vcc, s[22:23]
	s_andn2_b64 exec, exec, s[22:23]
	s_cbranch_execnz .LBB7_111
; %bb.112:                              ;   in Loop: Header=BB7_53 Depth=1
	s_or_b64 exec, exec, s[22:23]
.LBB7_113:                              ;   in Loop: Header=BB7_53 Depth=1
	s_or_b64 exec, exec, s[20:21]
.LBB7_114:                              ;   in Loop: Header=BB7_53 Depth=1
	s_or_b64 exec, exec, s[18:19]
	global_load_dwordx2 v[32:33], v31, s[2:3] offset:40
	global_load_dwordx4 v[22:25], v31, s[2:3]
	v_readfirstlane_b32 s18, v6
	v_readfirstlane_b32 s19, v7
	s_mov_b64 s[20:21], exec
	s_waitcnt vmcnt(1)
	v_readfirstlane_b32 s22, v32
	v_readfirstlane_b32 s23, v33
	s_and_b64 s[22:23], s[18:19], s[22:23]
	s_mul_i32 s15, s23, 24
	s_mul_hi_u32 s24, s22, 24
	s_add_i32 s25, s24, s15
	s_mul_i32 s24, s22, 24
	s_waitcnt vmcnt(0)
	v_lshl_add_u64 v[32:33], v[22:23], 0, s[24:25]
	s_and_saveexec_b64 s[24:25], s[0:1]
	s_cbranch_execz .LBB7_116
; %bb.115:                              ;   in Loop: Header=BB7_53 Depth=1
	v_mov_b64_e32 v[6:7], s[20:21]
	global_store_dwordx4 v[32:33], v[6:9], off offset:8
.LBB7_116:                              ;   in Loop: Header=BB7_53 Depth=1
	s_or_b64 exec, exec, s[24:25]
	s_lshl_b64 s[20:21], s[22:23], 12
	v_lshl_add_u64 v[6:7], v[24:25], 0, s[20:21]
	v_or_b32_e32 v25, v0, v26
	v_cmp_gt_u64_e64 vcc, s[10:11], 56
	s_lshl_b32 s15, s16, 2
	s_add_i32 s15, s15, 28
	v_cndmask_b32_e32 v0, v25, v0, vcc
	v_or_b32_e32 v24, 0, v1
	s_and_b32 s15, s15, 0x1e0
	v_and_b32_e32 v0, 0xffffff1f, v0
	v_cndmask_b32_e32 v1, v24, v1, vcc
	v_or_b32_e32 v0, s15, v0
	v_readfirstlane_b32 s20, v6
	v_readfirstlane_b32 s21, v7
	s_nop 4
	global_store_dwordx4 v28, v[0:3], s[20:21]
	global_store_dwordx4 v28, v[10:13], s[20:21] offset:16
	global_store_dwordx4 v28, v[14:17], s[20:21] offset:32
	;; [unrolled: 1-line block ×3, first 2 shown]
	s_and_saveexec_b64 s[20:21], s[0:1]
	s_cbranch_execz .LBB7_124
; %bb.117:                              ;   in Loop: Header=BB7_53 Depth=1
	global_load_dwordx2 v[14:15], v31, s[2:3] offset:32 sc0 sc1
	global_load_dwordx2 v[0:1], v31, s[2:3] offset:40
	v_mov_b32_e32 v12, s18
	v_mov_b32_e32 v13, s19
	s_waitcnt vmcnt(0)
	v_readfirstlane_b32 s22, v0
	v_readfirstlane_b32 s23, v1
	s_and_b64 s[22:23], s[22:23], s[18:19]
	s_mul_i32 s15, s23, 24
	s_mul_hi_u32 s23, s22, 24
	s_mul_i32 s22, s22, 24
	s_add_i32 s23, s23, s15
	v_lshl_add_u64 v[10:11], v[22:23], 0, s[22:23]
	global_store_dwordx2 v[10:11], v[14:15], off
	buffer_wbl2 sc0 sc1
	s_waitcnt vmcnt(0)
	global_atomic_cmpswap_x2 v[2:3], v31, v[12:15], s[2:3] offset:32 sc0 sc1
	s_waitcnt vmcnt(0)
	v_cmp_ne_u64_e32 vcc, v[2:3], v[14:15]
	s_and_saveexec_b64 s[22:23], vcc
	s_cbranch_execz .LBB7_120
; %bb.118:                              ;   in Loop: Header=BB7_53 Depth=1
	s_mov_b64 s[24:25], 0
.LBB7_119:                              ;   Parent Loop BB7_53 Depth=1
                                        ; =>  This Inner Loop Header: Depth=2
	s_sleep 1
	global_store_dwordx2 v[10:11], v[2:3], off
	v_mov_b32_e32 v0, s18
	v_mov_b32_e32 v1, s19
	buffer_wbl2 sc0 sc1
	s_waitcnt vmcnt(0)
	global_atomic_cmpswap_x2 v[0:1], v31, v[0:3], s[2:3] offset:32 sc0 sc1
	s_waitcnt vmcnt(0)
	v_cmp_eq_u64_e32 vcc, v[0:1], v[2:3]
	s_or_b64 s[24:25], vcc, s[24:25]
	v_mov_b64_e32 v[2:3], v[0:1]
	s_andn2_b64 exec, exec, s[24:25]
	s_cbranch_execnz .LBB7_119
.LBB7_120:                              ;   in Loop: Header=BB7_53 Depth=1
	s_or_b64 exec, exec, s[22:23]
	global_load_dwordx2 v[0:1], v31, s[2:3] offset:16
	s_mov_b64 s[24:25], exec
	v_mbcnt_lo_u32_b32 v2, s24, 0
	v_mbcnt_hi_u32_b32 v2, s25, v2
	v_cmp_eq_u32_e32 vcc, 0, v2
	s_and_saveexec_b64 s[22:23], vcc
	s_cbranch_execz .LBB7_122
; %bb.121:                              ;   in Loop: Header=BB7_53 Depth=1
	s_bcnt1_i32_b64 s15, s[24:25]
	v_mov_b32_e32 v30, s15
	buffer_wbl2 sc0 sc1
	s_waitcnt vmcnt(0)
	global_atomic_add_x2 v[0:1], v[30:31], off offset:8 sc1
.LBB7_122:                              ;   in Loop: Header=BB7_53 Depth=1
	s_or_b64 exec, exec, s[22:23]
	s_waitcnt vmcnt(0)
	global_load_dwordx2 v[2:3], v[0:1], off offset:16
	s_waitcnt vmcnt(0)
	v_cmp_eq_u64_e32 vcc, 0, v[2:3]
	s_cbranch_vccnz .LBB7_124
; %bb.123:                              ;   in Loop: Header=BB7_53 Depth=1
	global_load_dword v30, v[0:1], off offset:24
	s_waitcnt vmcnt(0)
	v_and_b32_e32 v0, 0xffffff, v30
	s_nop 0
	v_readfirstlane_b32 m0, v0
	buffer_wbl2 sc0 sc1
	global_store_dwordx2 v[2:3], v[30:31], off sc0 sc1
	s_sendmsg sendmsg(MSG_INTERRUPT)
.LBB7_124:                              ;   in Loop: Header=BB7_53 Depth=1
	s_or_b64 exec, exec, s[20:21]
	v_mov_b32_e32 v29, v31
	v_lshl_add_u64 v[0:1], v[6:7], 0, v[28:29]
	s_branch .LBB7_128
.LBB7_125:                              ;   in Loop: Header=BB7_128 Depth=2
	s_or_b64 exec, exec, s[20:21]
	v_readfirstlane_b32 s15, v2
	s_cmp_eq_u32 s15, 0
	s_cbranch_scc1 .LBB7_127
; %bb.126:                              ;   in Loop: Header=BB7_128 Depth=2
	s_sleep 1
	s_cbranch_execnz .LBB7_128
	s_branch .LBB7_130
.LBB7_127:                              ;   in Loop: Header=BB7_53 Depth=1
	s_branch .LBB7_130
.LBB7_128:                              ;   Parent Loop BB7_53 Depth=1
                                        ; =>  This Inner Loop Header: Depth=2
	v_mov_b32_e32 v2, 1
	s_and_saveexec_b64 s[20:21], s[0:1]
	s_cbranch_execz .LBB7_125
; %bb.129:                              ;   in Loop: Header=BB7_128 Depth=2
	global_load_dword v2, v[32:33], off offset:20 sc0 sc1
	s_waitcnt vmcnt(0)
	buffer_inv sc0 sc1
	v_and_b32_e32 v2, 1, v2
	s_branch .LBB7_125
.LBB7_130:                              ;   in Loop: Header=BB7_53 Depth=1
	global_load_dwordx4 v[0:3], v[0:1], off
	s_and_saveexec_b64 s[20:21], s[0:1]
	s_cbranch_execz .LBB7_52
; %bb.131:                              ;   in Loop: Header=BB7_53 Depth=1
	global_load_dwordx2 v[2:3], v31, s[2:3] offset:40
	global_load_dwordx2 v[6:7], v31, s[2:3] offset:24 sc0 sc1
	global_load_dwordx2 v[14:15], v31, s[2:3]
	s_waitcnt vmcnt(2)
	v_lshl_add_u64 v[10:11], v[2:3], 0, 1
	v_lshl_add_u64 v[16:17], v[10:11], 0, s[18:19]
	v_cmp_eq_u64_e32 vcc, 0, v[16:17]
	s_waitcnt vmcnt(1)
	v_mov_b32_e32 v12, v6
	v_cndmask_b32_e32 v11, v17, v11, vcc
	v_cndmask_b32_e32 v10, v16, v10, vcc
	v_and_b32_e32 v3, v11, v3
	v_and_b32_e32 v2, v10, v2
	v_mul_lo_u32 v3, v3, 24
	v_mul_hi_u32 v13, v2, 24
	v_mul_lo_u32 v2, v2, 24
	v_add_u32_e32 v3, v13, v3
	s_waitcnt vmcnt(0)
	v_lshl_add_u64 v[2:3], v[14:15], 0, v[2:3]
	global_store_dwordx2 v[2:3], v[6:7], off
	v_mov_b32_e32 v13, v7
	buffer_wbl2 sc0 sc1
	s_waitcnt vmcnt(0)
	global_atomic_cmpswap_x2 v[12:13], v31, v[10:13], s[2:3] offset:24 sc0 sc1
	s_waitcnt vmcnt(0)
	v_cmp_ne_u64_e32 vcc, v[12:13], v[6:7]
	s_and_b64 exec, exec, vcc
	s_cbranch_execz .LBB7_52
; %bb.132:                              ;   in Loop: Header=BB7_53 Depth=1
	s_mov_b64 s[0:1], 0
.LBB7_133:                              ;   Parent Loop BB7_53 Depth=1
                                        ; =>  This Inner Loop Header: Depth=2
	s_sleep 1
	global_store_dwordx2 v[2:3], v[12:13], off
	buffer_wbl2 sc0 sc1
	s_waitcnt vmcnt(0)
	global_atomic_cmpswap_x2 v[6:7], v31, v[10:13], s[2:3] offset:24 sc0 sc1
	s_waitcnt vmcnt(0)
	v_cmp_eq_u64_e32 vcc, v[6:7], v[12:13]
	s_or_b64 s[0:1], vcc, s[0:1]
	v_mov_b64_e32 v[12:13], v[6:7]
	s_andn2_b64 exec, exec, s[0:1]
	s_cbranch_execnz .LBB7_133
	s_branch .LBB7_52
.LBB7_134:
	s_branch .LBB7_162
.LBB7_135:
                                        ; implicit-def: $vgpr0_vgpr1
	s_cbranch_execz .LBB7_162
; %bb.136:
	v_readfirstlane_b32 s0, v36
	v_mov_b64_e32 v[6:7], 0
	s_nop 0
	v_cmp_eq_u32_e64 s[0:1], s0, v36
	s_and_saveexec_b64 s[6:7], s[0:1]
	s_cbranch_execz .LBB7_142
; %bb.137:
	s_waitcnt vmcnt(0)
	v_mov_b32_e32 v0, 0
	global_load_dwordx2 v[8:9], v0, s[2:3] offset:24 sc0 sc1
	s_waitcnt vmcnt(0)
	buffer_inv sc0 sc1
	global_load_dwordx2 v[2:3], v0, s[2:3] offset:40
	global_load_dwordx2 v[6:7], v0, s[2:3]
	s_waitcnt vmcnt(1)
	v_and_b32_e32 v1, v2, v8
	v_and_b32_e32 v2, v3, v9
	v_mul_lo_u32 v2, v2, 24
	v_mul_hi_u32 v3, v1, 24
	v_add_u32_e32 v3, v3, v2
	v_mul_lo_u32 v2, v1, 24
	s_waitcnt vmcnt(0)
	v_lshl_add_u64 v[2:3], v[6:7], 0, v[2:3]
	global_load_dwordx2 v[6:7], v[2:3], off sc0 sc1
	s_waitcnt vmcnt(0)
	global_atomic_cmpswap_x2 v[6:7], v0, v[6:9], s[2:3] offset:24 sc0 sc1
	s_waitcnt vmcnt(0)
	buffer_inv sc0 sc1
	v_cmp_ne_u64_e32 vcc, v[6:7], v[8:9]
	s_and_saveexec_b64 s[10:11], vcc
	s_cbranch_execz .LBB7_141
; %bb.138:
	s_mov_b64 s[16:17], 0
.LBB7_139:                              ; =>This Inner Loop Header: Depth=1
	s_sleep 1
	global_load_dwordx2 v[2:3], v0, s[2:3] offset:40
	global_load_dwordx2 v[10:11], v0, s[2:3]
	v_mov_b64_e32 v[8:9], v[6:7]
	s_waitcnt vmcnt(1)
	v_and_b32_e32 v2, v2, v8
	v_and_b32_e32 v1, v3, v9
	s_waitcnt vmcnt(0)
	v_mad_u64_u32 v[2:3], s[18:19], v2, 24, v[10:11]
	v_mov_b32_e32 v6, v3
	v_mad_u64_u32 v[6:7], s[18:19], v1, 24, v[6:7]
	v_mov_b32_e32 v3, v6
	global_load_dwordx2 v[6:7], v[2:3], off sc0 sc1
	s_waitcnt vmcnt(0)
	global_atomic_cmpswap_x2 v[6:7], v0, v[6:9], s[2:3] offset:24 sc0 sc1
	s_waitcnt vmcnt(0)
	buffer_inv sc0 sc1
	v_cmp_eq_u64_e32 vcc, v[6:7], v[8:9]
	s_or_b64 s[16:17], vcc, s[16:17]
	s_andn2_b64 exec, exec, s[16:17]
	s_cbranch_execnz .LBB7_139
; %bb.140:
	s_or_b64 exec, exec, s[16:17]
.LBB7_141:
	s_or_b64 exec, exec, s[10:11]
.LBB7_142:
	s_or_b64 exec, exec, s[6:7]
	v_mov_b32_e32 v29, 0
	global_load_dwordx2 v[8:9], v29, s[2:3] offset:40
	global_load_dwordx4 v[0:3], v29, s[2:3]
	v_readfirstlane_b32 s6, v6
	v_readfirstlane_b32 s7, v7
	s_mov_b64 s[10:11], exec
	s_waitcnt vmcnt(1)
	v_readfirstlane_b32 s16, v8
	v_readfirstlane_b32 s17, v9
	s_and_b64 s[16:17], s[6:7], s[16:17]
	s_mul_i32 s15, s17, 24
	s_mul_hi_u32 s18, s16, 24
	s_add_i32 s19, s18, s15
	s_mul_i32 s18, s16, 24
	s_waitcnt vmcnt(0)
	v_lshl_add_u64 v[8:9], v[0:1], 0, s[18:19]
	s_and_saveexec_b64 s[18:19], s[0:1]
	s_cbranch_execz .LBB7_144
; %bb.143:
	v_mov_b64_e32 v[10:11], s[10:11]
	v_mov_b32_e32 v12, 2
	v_mov_b32_e32 v13, 1
	global_store_dwordx4 v[8:9], v[10:13], off offset:8
.LBB7_144:
	s_or_b64 exec, exec, s[18:19]
	s_lshl_b64 s[10:11], s[16:17], 12
	v_lshl_add_u64 v[10:11], v[2:3], 0, s[10:11]
	s_movk_i32 s10, 0xff1f
	s_mov_b32 s16, 0
	v_and_or_b32 v4, v4, s10, 32
	v_mov_b32_e32 v6, v29
	v_mov_b32_e32 v7, v29
	v_readfirstlane_b32 s10, v10
	v_readfirstlane_b32 s11, v11
	s_mov_b32 s17, s16
	s_mov_b32 s18, s16
	;; [unrolled: 1-line block ×3, first 2 shown]
	s_nop 1
	global_store_dwordx4 v28, v[4:7], s[10:11]
	v_mov_b64_e32 v[2:3], s[16:17]
	s_nop 0
	v_mov_b64_e32 v[4:5], s[18:19]
	global_store_dwordx4 v28, v[2:5], s[10:11] offset:16
	global_store_dwordx4 v28, v[2:5], s[10:11] offset:32
	;; [unrolled: 1-line block ×3, first 2 shown]
	s_and_saveexec_b64 s[10:11], s[0:1]
	s_cbranch_execz .LBB7_152
; %bb.145:
	v_mov_b32_e32 v6, 0
	global_load_dwordx2 v[14:15], v6, s[2:3] offset:32 sc0 sc1
	global_load_dwordx2 v[2:3], v6, s[2:3] offset:40
	v_mov_b32_e32 v12, s6
	v_mov_b32_e32 v13, s7
	s_waitcnt vmcnt(0)
	v_readfirstlane_b32 s16, v2
	v_readfirstlane_b32 s17, v3
	s_and_b64 s[16:17], s[16:17], s[6:7]
	s_mul_i32 s15, s17, 24
	s_mul_hi_u32 s17, s16, 24
	s_mul_i32 s16, s16, 24
	s_add_i32 s17, s17, s15
	v_lshl_add_u64 v[4:5], v[0:1], 0, s[16:17]
	global_store_dwordx2 v[4:5], v[14:15], off
	buffer_wbl2 sc0 sc1
	s_waitcnt vmcnt(0)
	global_atomic_cmpswap_x2 v[2:3], v6, v[12:15], s[2:3] offset:32 sc0 sc1
	s_waitcnt vmcnt(0)
	v_cmp_ne_u64_e32 vcc, v[2:3], v[14:15]
	s_and_saveexec_b64 s[16:17], vcc
	s_cbranch_execz .LBB7_148
; %bb.146:
	s_mov_b64 s[18:19], 0
.LBB7_147:                              ; =>This Inner Loop Header: Depth=1
	s_sleep 1
	global_store_dwordx2 v[4:5], v[2:3], off
	v_mov_b32_e32 v0, s6
	v_mov_b32_e32 v1, s7
	buffer_wbl2 sc0 sc1
	s_waitcnt vmcnt(0)
	global_atomic_cmpswap_x2 v[0:1], v6, v[0:3], s[2:3] offset:32 sc0 sc1
	s_waitcnt vmcnt(0)
	v_cmp_eq_u64_e32 vcc, v[0:1], v[2:3]
	s_or_b64 s[18:19], vcc, s[18:19]
	v_mov_b64_e32 v[2:3], v[0:1]
	s_andn2_b64 exec, exec, s[18:19]
	s_cbranch_execnz .LBB7_147
.LBB7_148:
	s_or_b64 exec, exec, s[16:17]
	v_mov_b32_e32 v3, 0
	global_load_dwordx2 v[0:1], v3, s[2:3] offset:16
	s_mov_b64 s[16:17], exec
	v_mbcnt_lo_u32_b32 v2, s16, 0
	v_mbcnt_hi_u32_b32 v2, s17, v2
	v_cmp_eq_u32_e32 vcc, 0, v2
	s_and_saveexec_b64 s[18:19], vcc
	s_cbranch_execz .LBB7_150
; %bb.149:
	s_bcnt1_i32_b64 s15, s[16:17]
	v_mov_b32_e32 v2, s15
	buffer_wbl2 sc0 sc1
	s_waitcnt vmcnt(0)
	global_atomic_add_x2 v[0:1], v[2:3], off offset:8 sc1
.LBB7_150:
	s_or_b64 exec, exec, s[18:19]
	s_waitcnt vmcnt(0)
	global_load_dwordx2 v[2:3], v[0:1], off offset:16
	s_waitcnt vmcnt(0)
	v_cmp_eq_u64_e32 vcc, 0, v[2:3]
	s_cbranch_vccnz .LBB7_152
; %bb.151:
	global_load_dword v0, v[0:1], off offset:24
	v_mov_b32_e32 v1, 0
	buffer_wbl2 sc0 sc1
	s_waitcnt vmcnt(0)
	global_store_dwordx2 v[2:3], v[0:1], off sc0 sc1
	v_and_b32_e32 v0, 0xffffff, v0
	s_nop 0
	v_readfirstlane_b32 m0, v0
	s_sendmsg sendmsg(MSG_INTERRUPT)
.LBB7_152:
	s_or_b64 exec, exec, s[10:11]
	v_lshl_add_u64 v[0:1], v[10:11], 0, v[28:29]
	s_branch .LBB7_156
.LBB7_153:                              ;   in Loop: Header=BB7_156 Depth=1
	s_or_b64 exec, exec, s[10:11]
	v_readfirstlane_b32 s10, v2
	s_cmp_eq_u32 s10, 0
	s_cbranch_scc1 .LBB7_155
; %bb.154:                              ;   in Loop: Header=BB7_156 Depth=1
	s_sleep 1
	s_cbranch_execnz .LBB7_156
	s_branch .LBB7_158
.LBB7_155:
	s_branch .LBB7_158
.LBB7_156:                              ; =>This Inner Loop Header: Depth=1
	v_mov_b32_e32 v2, 1
	s_and_saveexec_b64 s[10:11], s[0:1]
	s_cbranch_execz .LBB7_153
; %bb.157:                              ;   in Loop: Header=BB7_156 Depth=1
	global_load_dword v2, v[8:9], off offset:20 sc0 sc1
	s_waitcnt vmcnt(0)
	buffer_inv sc0 sc1
	v_and_b32_e32 v2, 1, v2
	s_branch .LBB7_153
.LBB7_158:
	global_load_dwordx2 v[0:1], v[0:1], off
	s_and_saveexec_b64 s[10:11], s[0:1]
	s_cbranch_execz .LBB7_161
; %bb.159:
	v_mov_b32_e32 v8, 0
	global_load_dwordx2 v[6:7], v8, s[2:3] offset:40
	global_load_dwordx2 v[10:11], v8, s[2:3] offset:24 sc0 sc1
	global_load_dwordx2 v[12:13], v8, s[2:3]
	s_mov_b64 s[0:1], 0
	s_waitcnt vmcnt(2)
	v_lshl_add_u64 v[2:3], v[6:7], 0, 1
	v_lshl_add_u64 v[14:15], v[2:3], 0, s[6:7]
	v_cmp_eq_u64_e32 vcc, 0, v[14:15]
	s_waitcnt vmcnt(1)
	v_mov_b32_e32 v4, v10
	v_cndmask_b32_e32 v3, v15, v3, vcc
	v_cndmask_b32_e32 v2, v14, v2, vcc
	v_and_b32_e32 v5, v3, v7
	v_and_b32_e32 v6, v2, v6
	v_mul_lo_u32 v5, v5, 24
	v_mul_hi_u32 v7, v6, 24
	v_mul_lo_u32 v6, v6, 24
	v_add_u32_e32 v7, v7, v5
	s_waitcnt vmcnt(0)
	v_lshl_add_u64 v[6:7], v[12:13], 0, v[6:7]
	global_store_dwordx2 v[6:7], v[10:11], off
	v_mov_b32_e32 v5, v11
	buffer_wbl2 sc0 sc1
	s_waitcnt vmcnt(0)
	global_atomic_cmpswap_x2 v[4:5], v8, v[2:5], s[2:3] offset:24 sc0 sc1
	s_waitcnt vmcnt(0)
	v_cmp_ne_u64_e32 vcc, v[4:5], v[10:11]
	s_and_b64 exec, exec, vcc
	s_cbranch_execz .LBB7_161
.LBB7_160:                              ; =>This Inner Loop Header: Depth=1
	s_sleep 1
	global_store_dwordx2 v[6:7], v[4:5], off
	buffer_wbl2 sc0 sc1
	s_waitcnt vmcnt(0)
	global_atomic_cmpswap_x2 v[10:11], v8, v[2:5], s[2:3] offset:24 sc0 sc1
	s_waitcnt vmcnt(0)
	v_cmp_eq_u64_e32 vcc, v[10:11], v[4:5]
	s_or_b64 s[0:1], vcc, s[0:1]
	v_mov_b64_e32 v[4:5], v[10:11]
	s_andn2_b64 exec, exec, s[0:1]
	s_cbranch_execnz .LBB7_160
.LBB7_161:
	s_or_b64 exec, exec, s[10:11]
.LBB7_162:
	s_getpc_b64 s[6:7]
	s_add_u32 s6, s6, __PRETTY_FUNCTION__._ZL21merge_many_duplicatesRN8migraphx4test12test_managerE@rel32@lo+4
	s_addc_u32 s7, s7, __PRETTY_FUNCTION__._ZL21merge_many_duplicatesRN8migraphx4test12test_managerE@rel32@hi+12
	s_cmp_lg_u64 s[6:7], 0
	s_cbranch_scc0 .LBB7_247
; %bb.163:
	s_waitcnt vmcnt(0)
	v_and_b32_e32 v6, -3, v0
	v_mov_b32_e32 v7, v1
	s_mov_b64 s[10:11], 59
	v_mov_b32_e32 v27, 0
	v_mov_b32_e32 v4, 2
	;; [unrolled: 1-line block ×3, first 2 shown]
	s_branch .LBB7_165
.LBB7_164:                              ;   in Loop: Header=BB7_165 Depth=1
	s_or_b64 exec, exec, s[20:21]
	s_sub_u32 s10, s10, s16
	s_subb_u32 s11, s11, s17
	s_add_u32 s6, s6, s16
	s_addc_u32 s7, s7, s17
	s_cmp_lg_u64 s[10:11], 0
	s_cbranch_scc0 .LBB7_246
.LBB7_165:                              ; =>This Loop Header: Depth=1
                                        ;     Child Loop BB7_168 Depth 2
                                        ;     Child Loop BB7_175 Depth 2
	;; [unrolled: 1-line block ×11, first 2 shown]
	v_cmp_lt_u64_e64 s[0:1], s[10:11], 56
	s_and_b64 s[0:1], s[0:1], exec
	v_cmp_gt_u64_e64 s[0:1], s[10:11], 7
	s_cselect_b32 s17, s11, 0
	s_cselect_b32 s16, s10, 56
	s_and_b64 vcc, exec, s[0:1]
	s_cbranch_vccnz .LBB7_170
; %bb.166:                              ;   in Loop: Header=BB7_165 Depth=1
	s_mov_b64 s[0:1], 0
	s_cmp_eq_u64 s[10:11], 0
	s_waitcnt vmcnt(0)
	v_mov_b64_e32 v[8:9], 0
	s_cbranch_scc1 .LBB7_169
; %bb.167:                              ;   in Loop: Header=BB7_165 Depth=1
	s_lshl_b64 s[18:19], s[16:17], 3
	s_mov_b64 s[20:21], 0
	v_mov_b64_e32 v[8:9], 0
	s_mov_b64 s[22:23], s[6:7]
.LBB7_168:                              ;   Parent Loop BB7_165 Depth=1
                                        ; =>  This Inner Loop Header: Depth=2
	global_load_ubyte v2, v27, s[22:23]
	s_waitcnt vmcnt(0)
	v_and_b32_e32 v26, 0xffff, v2
	v_lshlrev_b64 v[2:3], s20, v[26:27]
	s_add_u32 s20, s20, 8
	s_addc_u32 s21, s21, 0
	s_add_u32 s22, s22, 1
	s_addc_u32 s23, s23, 0
	v_or_b32_e32 v8, v2, v8
	s_cmp_lg_u32 s18, s20
	v_or_b32_e32 v9, v3, v9
	s_cbranch_scc1 .LBB7_168
.LBB7_169:                              ;   in Loop: Header=BB7_165 Depth=1
	s_mov_b32 s15, 0
	s_andn2_b64 vcc, exec, s[0:1]
	s_mov_b64 s[0:1], s[6:7]
	s_cbranch_vccz .LBB7_171
	s_branch .LBB7_172
.LBB7_170:                              ;   in Loop: Header=BB7_165 Depth=1
                                        ; implicit-def: $sgpr15
	s_mov_b64 s[0:1], s[6:7]
.LBB7_171:                              ;   in Loop: Header=BB7_165 Depth=1
	global_load_dwordx2 v[8:9], v27, s[6:7]
	s_add_i32 s15, s16, -8
	s_add_u32 s0, s6, 8
	s_addc_u32 s1, s7, 0
.LBB7_172:                              ;   in Loop: Header=BB7_165 Depth=1
	s_cmp_gt_u32 s15, 7
	s_cbranch_scc1 .LBB7_176
; %bb.173:                              ;   in Loop: Header=BB7_165 Depth=1
	s_cmp_eq_u32 s15, 0
	s_cbranch_scc1 .LBB7_177
; %bb.174:                              ;   in Loop: Header=BB7_165 Depth=1
	s_mov_b64 s[18:19], 0
	v_mov_b64_e32 v[10:11], 0
	s_mov_b64 s[20:21], 0
.LBB7_175:                              ;   Parent Loop BB7_165 Depth=1
                                        ; =>  This Inner Loop Header: Depth=2
	s_add_u32 s22, s0, s20
	s_addc_u32 s23, s1, s21
	global_load_ubyte v2, v27, s[22:23]
	s_add_u32 s20, s20, 1
	s_addc_u32 s21, s21, 0
	s_waitcnt vmcnt(0)
	v_and_b32_e32 v26, 0xffff, v2
	v_lshlrev_b64 v[2:3], s18, v[26:27]
	s_add_u32 s18, s18, 8
	s_addc_u32 s19, s19, 0
	v_or_b32_e32 v10, v2, v10
	s_cmp_lg_u32 s15, s20
	v_or_b32_e32 v11, v3, v11
	s_cbranch_scc1 .LBB7_175
	s_branch .LBB7_178
.LBB7_176:                              ;   in Loop: Header=BB7_165 Depth=1
                                        ; implicit-def: $vgpr10_vgpr11
                                        ; implicit-def: $sgpr22
	s_branch .LBB7_179
.LBB7_177:                              ;   in Loop: Header=BB7_165 Depth=1
	v_mov_b64_e32 v[10:11], 0
.LBB7_178:                              ;   in Loop: Header=BB7_165 Depth=1
	s_mov_b32 s22, 0
	s_cbranch_execnz .LBB7_180
.LBB7_179:                              ;   in Loop: Header=BB7_165 Depth=1
	global_load_dwordx2 v[10:11], v27, s[0:1]
	s_add_i32 s22, s15, -8
	s_add_u32 s0, s0, 8
	s_addc_u32 s1, s1, 0
.LBB7_180:                              ;   in Loop: Header=BB7_165 Depth=1
	s_cmp_gt_u32 s22, 7
	s_cbranch_scc1 .LBB7_184
; %bb.181:                              ;   in Loop: Header=BB7_165 Depth=1
	s_cmp_eq_u32 s22, 0
	s_cbranch_scc1 .LBB7_185
; %bb.182:                              ;   in Loop: Header=BB7_165 Depth=1
	s_mov_b64 s[18:19], 0
	v_mov_b64_e32 v[12:13], 0
	s_mov_b64 s[20:21], 0
.LBB7_183:                              ;   Parent Loop BB7_165 Depth=1
                                        ; =>  This Inner Loop Header: Depth=2
	s_add_u32 s24, s0, s20
	s_addc_u32 s25, s1, s21
	global_load_ubyte v2, v27, s[24:25]
	s_add_u32 s20, s20, 1
	s_addc_u32 s21, s21, 0
	s_waitcnt vmcnt(0)
	v_and_b32_e32 v26, 0xffff, v2
	v_lshlrev_b64 v[2:3], s18, v[26:27]
	s_add_u32 s18, s18, 8
	s_addc_u32 s19, s19, 0
	v_or_b32_e32 v12, v2, v12
	s_cmp_lg_u32 s22, s20
	v_or_b32_e32 v13, v3, v13
	s_cbranch_scc1 .LBB7_183
	s_branch .LBB7_186
.LBB7_184:                              ;   in Loop: Header=BB7_165 Depth=1
                                        ; implicit-def: $sgpr15
	s_branch .LBB7_187
.LBB7_185:                              ;   in Loop: Header=BB7_165 Depth=1
	v_mov_b64_e32 v[12:13], 0
.LBB7_186:                              ;   in Loop: Header=BB7_165 Depth=1
	s_mov_b32 s15, 0
	s_cbranch_execnz .LBB7_188
.LBB7_187:                              ;   in Loop: Header=BB7_165 Depth=1
	global_load_dwordx2 v[12:13], v27, s[0:1]
	s_add_i32 s15, s22, -8
	s_add_u32 s0, s0, 8
	s_addc_u32 s1, s1, 0
.LBB7_188:                              ;   in Loop: Header=BB7_165 Depth=1
	s_cmp_gt_u32 s15, 7
	s_cbranch_scc1 .LBB7_192
; %bb.189:                              ;   in Loop: Header=BB7_165 Depth=1
	s_cmp_eq_u32 s15, 0
	s_cbranch_scc1 .LBB7_193
; %bb.190:                              ;   in Loop: Header=BB7_165 Depth=1
	s_mov_b64 s[18:19], 0
	v_mov_b64_e32 v[14:15], 0
	s_mov_b64 s[20:21], 0
.LBB7_191:                              ;   Parent Loop BB7_165 Depth=1
                                        ; =>  This Inner Loop Header: Depth=2
	s_add_u32 s22, s0, s20
	s_addc_u32 s23, s1, s21
	global_load_ubyte v2, v27, s[22:23]
	s_add_u32 s20, s20, 1
	s_addc_u32 s21, s21, 0
	s_waitcnt vmcnt(0)
	v_and_b32_e32 v26, 0xffff, v2
	v_lshlrev_b64 v[2:3], s18, v[26:27]
	s_add_u32 s18, s18, 8
	s_addc_u32 s19, s19, 0
	v_or_b32_e32 v14, v2, v14
	s_cmp_lg_u32 s15, s20
	v_or_b32_e32 v15, v3, v15
	s_cbranch_scc1 .LBB7_191
	s_branch .LBB7_194
.LBB7_192:                              ;   in Loop: Header=BB7_165 Depth=1
                                        ; implicit-def: $vgpr14_vgpr15
                                        ; implicit-def: $sgpr22
	s_branch .LBB7_195
.LBB7_193:                              ;   in Loop: Header=BB7_165 Depth=1
	v_mov_b64_e32 v[14:15], 0
.LBB7_194:                              ;   in Loop: Header=BB7_165 Depth=1
	s_mov_b32 s22, 0
	s_cbranch_execnz .LBB7_196
.LBB7_195:                              ;   in Loop: Header=BB7_165 Depth=1
	global_load_dwordx2 v[14:15], v27, s[0:1]
	s_add_i32 s22, s15, -8
	s_add_u32 s0, s0, 8
	s_addc_u32 s1, s1, 0
.LBB7_196:                              ;   in Loop: Header=BB7_165 Depth=1
	s_cmp_gt_u32 s22, 7
	s_cbranch_scc1 .LBB7_200
; %bb.197:                              ;   in Loop: Header=BB7_165 Depth=1
	s_cmp_eq_u32 s22, 0
	s_cbranch_scc1 .LBB7_201
; %bb.198:                              ;   in Loop: Header=BB7_165 Depth=1
	s_mov_b64 s[18:19], 0
	v_mov_b64_e32 v[16:17], 0
	s_mov_b64 s[20:21], 0
.LBB7_199:                              ;   Parent Loop BB7_165 Depth=1
                                        ; =>  This Inner Loop Header: Depth=2
	s_add_u32 s24, s0, s20
	s_addc_u32 s25, s1, s21
	global_load_ubyte v2, v27, s[24:25]
	s_add_u32 s20, s20, 1
	s_addc_u32 s21, s21, 0
	s_waitcnt vmcnt(0)
	v_and_b32_e32 v26, 0xffff, v2
	v_lshlrev_b64 v[2:3], s18, v[26:27]
	s_add_u32 s18, s18, 8
	s_addc_u32 s19, s19, 0
	v_or_b32_e32 v16, v2, v16
	s_cmp_lg_u32 s22, s20
	v_or_b32_e32 v17, v3, v17
	s_cbranch_scc1 .LBB7_199
	s_branch .LBB7_202
.LBB7_200:                              ;   in Loop: Header=BB7_165 Depth=1
                                        ; implicit-def: $sgpr15
	s_branch .LBB7_203
.LBB7_201:                              ;   in Loop: Header=BB7_165 Depth=1
	v_mov_b64_e32 v[16:17], 0
.LBB7_202:                              ;   in Loop: Header=BB7_165 Depth=1
	s_mov_b32 s15, 0
	s_cbranch_execnz .LBB7_204
.LBB7_203:                              ;   in Loop: Header=BB7_165 Depth=1
	global_load_dwordx2 v[16:17], v27, s[0:1]
	s_add_i32 s15, s22, -8
	s_add_u32 s0, s0, 8
	s_addc_u32 s1, s1, 0
.LBB7_204:                              ;   in Loop: Header=BB7_165 Depth=1
	s_cmp_gt_u32 s15, 7
	s_cbranch_scc1 .LBB7_208
; %bb.205:                              ;   in Loop: Header=BB7_165 Depth=1
	s_cmp_eq_u32 s15, 0
	s_cbranch_scc1 .LBB7_209
; %bb.206:                              ;   in Loop: Header=BB7_165 Depth=1
	s_mov_b64 s[18:19], 0
	v_mov_b64_e32 v[18:19], 0
	s_mov_b64 s[20:21], 0
.LBB7_207:                              ;   Parent Loop BB7_165 Depth=1
                                        ; =>  This Inner Loop Header: Depth=2
	s_add_u32 s22, s0, s20
	s_addc_u32 s23, s1, s21
	global_load_ubyte v2, v27, s[22:23]
	s_add_u32 s20, s20, 1
	s_addc_u32 s21, s21, 0
	s_waitcnt vmcnt(0)
	v_and_b32_e32 v26, 0xffff, v2
	v_lshlrev_b64 v[2:3], s18, v[26:27]
	s_add_u32 s18, s18, 8
	s_addc_u32 s19, s19, 0
	v_or_b32_e32 v18, v2, v18
	s_cmp_lg_u32 s15, s20
	v_or_b32_e32 v19, v3, v19
	s_cbranch_scc1 .LBB7_207
	s_branch .LBB7_210
.LBB7_208:                              ;   in Loop: Header=BB7_165 Depth=1
                                        ; implicit-def: $vgpr18_vgpr19
                                        ; implicit-def: $sgpr22
	s_branch .LBB7_211
.LBB7_209:                              ;   in Loop: Header=BB7_165 Depth=1
	v_mov_b64_e32 v[18:19], 0
.LBB7_210:                              ;   in Loop: Header=BB7_165 Depth=1
	s_mov_b32 s22, 0
	s_cbranch_execnz .LBB7_212
.LBB7_211:                              ;   in Loop: Header=BB7_165 Depth=1
	global_load_dwordx2 v[18:19], v27, s[0:1]
	s_add_i32 s22, s15, -8
	s_add_u32 s0, s0, 8
	s_addc_u32 s1, s1, 0
.LBB7_212:                              ;   in Loop: Header=BB7_165 Depth=1
	s_cmp_gt_u32 s22, 7
	s_cbranch_scc1 .LBB7_216
; %bb.213:                              ;   in Loop: Header=BB7_165 Depth=1
	s_cmp_eq_u32 s22, 0
	s_cbranch_scc1 .LBB7_217
; %bb.214:                              ;   in Loop: Header=BB7_165 Depth=1
	s_mov_b64 s[18:19], 0
	v_mov_b64_e32 v[20:21], 0
	s_mov_b64 s[20:21], s[0:1]
.LBB7_215:                              ;   Parent Loop BB7_165 Depth=1
                                        ; =>  This Inner Loop Header: Depth=2
	global_load_ubyte v2, v27, s[20:21]
	s_add_i32 s22, s22, -1
	s_waitcnt vmcnt(0)
	v_and_b32_e32 v26, 0xffff, v2
	v_lshlrev_b64 v[2:3], s18, v[26:27]
	s_add_u32 s18, s18, 8
	s_addc_u32 s19, s19, 0
	s_add_u32 s20, s20, 1
	s_addc_u32 s21, s21, 0
	v_or_b32_e32 v20, v2, v20
	s_cmp_lg_u32 s22, 0
	v_or_b32_e32 v21, v3, v21
	s_cbranch_scc1 .LBB7_215
	s_branch .LBB7_218
.LBB7_216:                              ;   in Loop: Header=BB7_165 Depth=1
	s_branch .LBB7_219
.LBB7_217:                              ;   in Loop: Header=BB7_165 Depth=1
	v_mov_b64_e32 v[20:21], 0
.LBB7_218:                              ;   in Loop: Header=BB7_165 Depth=1
	s_cbranch_execnz .LBB7_220
.LBB7_219:                              ;   in Loop: Header=BB7_165 Depth=1
	global_load_dwordx2 v[20:21], v27, s[0:1]
.LBB7_220:                              ;   in Loop: Header=BB7_165 Depth=1
	v_readfirstlane_b32 s0, v36
	v_mov_b64_e32 v[2:3], 0
	s_nop 0
	v_cmp_eq_u32_e64 s[0:1], s0, v36
	s_and_saveexec_b64 s[18:19], s[0:1]
	s_cbranch_execz .LBB7_226
; %bb.221:                              ;   in Loop: Header=BB7_165 Depth=1
	global_load_dwordx2 v[24:25], v27, s[2:3] offset:24 sc0 sc1
	s_waitcnt vmcnt(0)
	buffer_inv sc0 sc1
	global_load_dwordx2 v[2:3], v27, s[2:3] offset:40
	global_load_dwordx2 v[22:23], v27, s[2:3]
	s_waitcnt vmcnt(1)
	v_and_b32_e32 v2, v2, v24
	v_and_b32_e32 v3, v3, v25
	v_mul_lo_u32 v3, v3, 24
	v_mul_hi_u32 v26, v2, 24
	v_add_u32_e32 v3, v26, v3
	v_mul_lo_u32 v2, v2, 24
	s_waitcnt vmcnt(0)
	v_lshl_add_u64 v[2:3], v[22:23], 0, v[2:3]
	global_load_dwordx2 v[22:23], v[2:3], off sc0 sc1
	s_waitcnt vmcnt(0)
	global_atomic_cmpswap_x2 v[2:3], v27, v[22:25], s[2:3] offset:24 sc0 sc1
	s_waitcnt vmcnt(0)
	buffer_inv sc0 sc1
	v_cmp_ne_u64_e32 vcc, v[2:3], v[24:25]
	s_and_saveexec_b64 s[20:21], vcc
	s_cbranch_execz .LBB7_225
; %bb.222:                              ;   in Loop: Header=BB7_165 Depth=1
	s_mov_b64 s[22:23], 0
.LBB7_223:                              ;   Parent Loop BB7_165 Depth=1
                                        ; =>  This Inner Loop Header: Depth=2
	s_sleep 1
	global_load_dwordx2 v[22:23], v27, s[2:3] offset:40
	global_load_dwordx2 v[30:31], v27, s[2:3]
	v_mov_b64_e32 v[24:25], v[2:3]
	s_waitcnt vmcnt(1)
	v_and_b32_e32 v2, v22, v24
	s_waitcnt vmcnt(0)
	v_mad_u64_u32 v[2:3], s[24:25], v2, 24, v[30:31]
	v_and_b32_e32 v23, v23, v25
	v_mov_b32_e32 v22, v3
	v_mad_u64_u32 v[22:23], s[24:25], v23, 24, v[22:23]
	v_mov_b32_e32 v3, v22
	global_load_dwordx2 v[22:23], v[2:3], off sc0 sc1
	s_waitcnt vmcnt(0)
	global_atomic_cmpswap_x2 v[2:3], v27, v[22:25], s[2:3] offset:24 sc0 sc1
	s_waitcnt vmcnt(0)
	buffer_inv sc0 sc1
	v_cmp_eq_u64_e32 vcc, v[2:3], v[24:25]
	s_or_b64 s[22:23], vcc, s[22:23]
	s_andn2_b64 exec, exec, s[22:23]
	s_cbranch_execnz .LBB7_223
; %bb.224:                              ;   in Loop: Header=BB7_165 Depth=1
	s_or_b64 exec, exec, s[22:23]
.LBB7_225:                              ;   in Loop: Header=BB7_165 Depth=1
	s_or_b64 exec, exec, s[20:21]
.LBB7_226:                              ;   in Loop: Header=BB7_165 Depth=1
	s_or_b64 exec, exec, s[18:19]
	global_load_dwordx2 v[30:31], v27, s[2:3] offset:40
	global_load_dwordx4 v[22:25], v27, s[2:3]
	v_readfirstlane_b32 s18, v2
	v_readfirstlane_b32 s19, v3
	s_mov_b64 s[20:21], exec
	s_waitcnt vmcnt(1)
	v_readfirstlane_b32 s22, v30
	v_readfirstlane_b32 s23, v31
	s_and_b64 s[22:23], s[18:19], s[22:23]
	s_mul_i32 s15, s23, 24
	s_mul_hi_u32 s24, s22, 24
	s_add_i32 s25, s24, s15
	s_mul_i32 s24, s22, 24
	s_waitcnt vmcnt(0)
	v_lshl_add_u64 v[30:31], v[22:23], 0, s[24:25]
	s_and_saveexec_b64 s[24:25], s[0:1]
	s_cbranch_execz .LBB7_228
; %bb.227:                              ;   in Loop: Header=BB7_165 Depth=1
	v_mov_b64_e32 v[2:3], s[20:21]
	global_store_dwordx4 v[30:31], v[2:5], off offset:8
.LBB7_228:                              ;   in Loop: Header=BB7_165 Depth=1
	s_or_b64 exec, exec, s[24:25]
	s_lshl_b64 s[20:21], s[22:23], 12
	v_lshl_add_u64 v[2:3], v[24:25], 0, s[20:21]
	v_or_b32_e32 v24, 2, v6
	v_cmp_gt_u64_e64 vcc, s[10:11], 56
	s_lshl_b32 s15, s16, 2
	s_add_i32 s15, s15, 28
	v_cndmask_b32_e32 v6, v24, v6, vcc
	s_and_b32 s15, s15, 0x1e0
	v_and_b32_e32 v6, 0xffffff1f, v6
	v_or_b32_e32 v6, s15, v6
	v_readfirstlane_b32 s20, v2
	v_readfirstlane_b32 s21, v3
	s_nop 4
	global_store_dwordx4 v28, v[6:9], s[20:21]
	global_store_dwordx4 v28, v[10:13], s[20:21] offset:16
	global_store_dwordx4 v28, v[14:17], s[20:21] offset:32
	;; [unrolled: 1-line block ×3, first 2 shown]
	s_and_saveexec_b64 s[20:21], s[0:1]
	s_cbranch_execz .LBB7_236
; %bb.229:                              ;   in Loop: Header=BB7_165 Depth=1
	global_load_dwordx2 v[14:15], v27, s[2:3] offset:32 sc0 sc1
	global_load_dwordx2 v[6:7], v27, s[2:3] offset:40
	v_mov_b32_e32 v12, s18
	v_mov_b32_e32 v13, s19
	s_waitcnt vmcnt(0)
	v_readfirstlane_b32 s22, v6
	v_readfirstlane_b32 s23, v7
	s_and_b64 s[22:23], s[22:23], s[18:19]
	s_mul_i32 s15, s23, 24
	s_mul_hi_u32 s23, s22, 24
	s_mul_i32 s22, s22, 24
	s_add_i32 s23, s23, s15
	v_lshl_add_u64 v[10:11], v[22:23], 0, s[22:23]
	global_store_dwordx2 v[10:11], v[14:15], off
	buffer_wbl2 sc0 sc1
	s_waitcnt vmcnt(0)
	global_atomic_cmpswap_x2 v[8:9], v27, v[12:15], s[2:3] offset:32 sc0 sc1
	s_waitcnt vmcnt(0)
	v_cmp_ne_u64_e32 vcc, v[8:9], v[14:15]
	s_and_saveexec_b64 s[22:23], vcc
	s_cbranch_execz .LBB7_232
; %bb.230:                              ;   in Loop: Header=BB7_165 Depth=1
	s_mov_b64 s[24:25], 0
.LBB7_231:                              ;   Parent Loop BB7_165 Depth=1
                                        ; =>  This Inner Loop Header: Depth=2
	s_sleep 1
	global_store_dwordx2 v[10:11], v[8:9], off
	v_mov_b32_e32 v6, s18
	v_mov_b32_e32 v7, s19
	buffer_wbl2 sc0 sc1
	s_waitcnt vmcnt(0)
	global_atomic_cmpswap_x2 v[6:7], v27, v[6:9], s[2:3] offset:32 sc0 sc1
	s_waitcnt vmcnt(0)
	v_cmp_eq_u64_e32 vcc, v[6:7], v[8:9]
	s_or_b64 s[24:25], vcc, s[24:25]
	v_mov_b64_e32 v[8:9], v[6:7]
	s_andn2_b64 exec, exec, s[24:25]
	s_cbranch_execnz .LBB7_231
.LBB7_232:                              ;   in Loop: Header=BB7_165 Depth=1
	s_or_b64 exec, exec, s[22:23]
	global_load_dwordx2 v[6:7], v27, s[2:3] offset:16
	s_mov_b64 s[24:25], exec
	v_mbcnt_lo_u32_b32 v8, s24, 0
	v_mbcnt_hi_u32_b32 v8, s25, v8
	v_cmp_eq_u32_e32 vcc, 0, v8
	s_and_saveexec_b64 s[22:23], vcc
	s_cbranch_execz .LBB7_234
; %bb.233:                              ;   in Loop: Header=BB7_165 Depth=1
	s_bcnt1_i32_b64 s15, s[24:25]
	v_mov_b32_e32 v26, s15
	buffer_wbl2 sc0 sc1
	s_waitcnt vmcnt(0)
	global_atomic_add_x2 v[6:7], v[26:27], off offset:8 sc1
.LBB7_234:                              ;   in Loop: Header=BB7_165 Depth=1
	s_or_b64 exec, exec, s[22:23]
	s_waitcnt vmcnt(0)
	global_load_dwordx2 v[8:9], v[6:7], off offset:16
	s_waitcnt vmcnt(0)
	v_cmp_eq_u64_e32 vcc, 0, v[8:9]
	s_cbranch_vccnz .LBB7_236
; %bb.235:                              ;   in Loop: Header=BB7_165 Depth=1
	global_load_dword v26, v[6:7], off offset:24
	s_waitcnt vmcnt(0)
	v_and_b32_e32 v6, 0xffffff, v26
	s_nop 0
	v_readfirstlane_b32 m0, v6
	buffer_wbl2 sc0 sc1
	global_store_dwordx2 v[8:9], v[26:27], off sc0 sc1
	s_sendmsg sendmsg(MSG_INTERRUPT)
.LBB7_236:                              ;   in Loop: Header=BB7_165 Depth=1
	s_or_b64 exec, exec, s[20:21]
	v_mov_b32_e32 v29, v27
	v_lshl_add_u64 v[2:3], v[2:3], 0, v[28:29]
	s_branch .LBB7_240
.LBB7_237:                              ;   in Loop: Header=BB7_240 Depth=2
	s_or_b64 exec, exec, s[20:21]
	v_readfirstlane_b32 s15, v6
	s_cmp_eq_u32 s15, 0
	s_cbranch_scc1 .LBB7_239
; %bb.238:                              ;   in Loop: Header=BB7_240 Depth=2
	s_sleep 1
	s_cbranch_execnz .LBB7_240
	s_branch .LBB7_242
.LBB7_239:                              ;   in Loop: Header=BB7_165 Depth=1
	s_branch .LBB7_242
.LBB7_240:                              ;   Parent Loop BB7_165 Depth=1
                                        ; =>  This Inner Loop Header: Depth=2
	v_mov_b32_e32 v6, 1
	s_and_saveexec_b64 s[20:21], s[0:1]
	s_cbranch_execz .LBB7_237
; %bb.241:                              ;   in Loop: Header=BB7_240 Depth=2
	global_load_dword v6, v[30:31], off offset:20 sc0 sc1
	s_waitcnt vmcnt(0)
	buffer_inv sc0 sc1
	v_and_b32_e32 v6, 1, v6
	s_branch .LBB7_237
.LBB7_242:                              ;   in Loop: Header=BB7_165 Depth=1
	global_load_dwordx4 v[6:9], v[2:3], off
	s_and_saveexec_b64 s[20:21], s[0:1]
	s_cbranch_execz .LBB7_164
; %bb.243:                              ;   in Loop: Header=BB7_165 Depth=1
	global_load_dwordx2 v[2:3], v27, s[2:3] offset:40
	global_load_dwordx2 v[12:13], v27, s[2:3] offset:24 sc0 sc1
	global_load_dwordx2 v[14:15], v27, s[2:3]
	s_waitcnt vmcnt(2)
	v_lshl_add_u64 v[8:9], v[2:3], 0, 1
	v_lshl_add_u64 v[16:17], v[8:9], 0, s[18:19]
	v_cmp_eq_u64_e32 vcc, 0, v[16:17]
	s_waitcnt vmcnt(1)
	v_mov_b32_e32 v10, v12
	v_cndmask_b32_e32 v9, v17, v9, vcc
	v_cndmask_b32_e32 v8, v16, v8, vcc
	v_and_b32_e32 v3, v9, v3
	v_and_b32_e32 v2, v8, v2
	v_mul_lo_u32 v3, v3, 24
	v_mul_hi_u32 v11, v2, 24
	v_mul_lo_u32 v2, v2, 24
	v_add_u32_e32 v3, v11, v3
	s_waitcnt vmcnt(0)
	v_lshl_add_u64 v[2:3], v[14:15], 0, v[2:3]
	global_store_dwordx2 v[2:3], v[12:13], off
	v_mov_b32_e32 v11, v13
	buffer_wbl2 sc0 sc1
	s_waitcnt vmcnt(0)
	global_atomic_cmpswap_x2 v[10:11], v27, v[8:11], s[2:3] offset:24 sc0 sc1
	s_waitcnt vmcnt(0)
	v_cmp_ne_u64_e32 vcc, v[10:11], v[12:13]
	s_and_b64 exec, exec, vcc
	s_cbranch_execz .LBB7_164
; %bb.244:                              ;   in Loop: Header=BB7_165 Depth=1
	s_mov_b64 s[0:1], 0
.LBB7_245:                              ;   Parent Loop BB7_165 Depth=1
                                        ; =>  This Inner Loop Header: Depth=2
	s_sleep 1
	global_store_dwordx2 v[2:3], v[10:11], off
	buffer_wbl2 sc0 sc1
	s_waitcnt vmcnt(0)
	global_atomic_cmpswap_x2 v[12:13], v27, v[8:11], s[2:3] offset:24 sc0 sc1
	s_waitcnt vmcnt(0)
	v_cmp_eq_u64_e32 vcc, v[12:13], v[10:11]
	s_or_b64 s[0:1], vcc, s[0:1]
	v_mov_b64_e32 v[10:11], v[12:13]
	s_andn2_b64 exec, exec, s[0:1]
	s_cbranch_execnz .LBB7_245
	s_branch .LBB7_164
.LBB7_246:
	s_branch .LBB7_274
.LBB7_247:
	s_cbranch_execz .LBB7_274
; %bb.248:
	v_readfirstlane_b32 s0, v36
	s_waitcnt vmcnt(0)
	v_mov_b64_e32 v[8:9], 0
	v_cmp_eq_u32_e64 s[0:1], s0, v36
	s_and_saveexec_b64 s[6:7], s[0:1]
	s_cbranch_execz .LBB7_254
; %bb.249:
	v_mov_b32_e32 v2, 0
	global_load_dwordx2 v[6:7], v2, s[2:3] offset:24 sc0 sc1
	s_waitcnt vmcnt(0)
	buffer_inv sc0 sc1
	global_load_dwordx2 v[4:5], v2, s[2:3] offset:40
	global_load_dwordx2 v[8:9], v2, s[2:3]
	s_waitcnt vmcnt(1)
	v_and_b32_e32 v3, v4, v6
	v_and_b32_e32 v4, v5, v7
	v_mul_lo_u32 v4, v4, 24
	v_mul_hi_u32 v5, v3, 24
	v_add_u32_e32 v5, v5, v4
	v_mul_lo_u32 v4, v3, 24
	s_waitcnt vmcnt(0)
	v_lshl_add_u64 v[4:5], v[8:9], 0, v[4:5]
	global_load_dwordx2 v[4:5], v[4:5], off sc0 sc1
	s_waitcnt vmcnt(0)
	global_atomic_cmpswap_x2 v[8:9], v2, v[4:7], s[2:3] offset:24 sc0 sc1
	s_waitcnt vmcnt(0)
	buffer_inv sc0 sc1
	v_cmp_ne_u64_e32 vcc, v[8:9], v[6:7]
	s_and_saveexec_b64 s[10:11], vcc
	s_cbranch_execz .LBB7_253
; %bb.250:
	s_mov_b64 s[16:17], 0
.LBB7_251:                              ; =>This Inner Loop Header: Depth=1
	s_sleep 1
	global_load_dwordx2 v[4:5], v2, s[2:3] offset:40
	global_load_dwordx2 v[10:11], v2, s[2:3]
	v_mov_b64_e32 v[6:7], v[8:9]
	s_waitcnt vmcnt(1)
	v_and_b32_e32 v4, v4, v6
	v_and_b32_e32 v3, v5, v7
	s_waitcnt vmcnt(0)
	v_mad_u64_u32 v[4:5], s[18:19], v4, 24, v[10:11]
	v_mov_b32_e32 v8, v5
	v_mad_u64_u32 v[8:9], s[18:19], v3, 24, v[8:9]
	v_mov_b32_e32 v5, v8
	global_load_dwordx2 v[4:5], v[4:5], off sc0 sc1
	s_waitcnt vmcnt(0)
	global_atomic_cmpswap_x2 v[8:9], v2, v[4:7], s[2:3] offset:24 sc0 sc1
	s_waitcnt vmcnt(0)
	buffer_inv sc0 sc1
	v_cmp_eq_u64_e32 vcc, v[8:9], v[6:7]
	s_or_b64 s[16:17], vcc, s[16:17]
	s_andn2_b64 exec, exec, s[16:17]
	s_cbranch_execnz .LBB7_251
; %bb.252:
	s_or_b64 exec, exec, s[16:17]
.LBB7_253:
	s_or_b64 exec, exec, s[10:11]
.LBB7_254:
	s_or_b64 exec, exec, s[6:7]
	v_mov_b32_e32 v2, 0
	global_load_dwordx2 v[10:11], v2, s[2:3] offset:40
	global_load_dwordx4 v[4:7], v2, s[2:3]
	v_readfirstlane_b32 s6, v8
	v_readfirstlane_b32 s7, v9
	s_mov_b64 s[10:11], exec
	s_waitcnt vmcnt(1)
	v_readfirstlane_b32 s16, v10
	v_readfirstlane_b32 s17, v11
	s_and_b64 s[16:17], s[6:7], s[16:17]
	s_mul_i32 s15, s17, 24
	s_mul_hi_u32 s18, s16, 24
	s_add_i32 s19, s18, s15
	s_mul_i32 s18, s16, 24
	s_waitcnt vmcnt(0)
	v_lshl_add_u64 v[8:9], v[4:5], 0, s[18:19]
	s_and_saveexec_b64 s[18:19], s[0:1]
	s_cbranch_execz .LBB7_256
; %bb.255:
	v_mov_b64_e32 v[10:11], s[10:11]
	v_mov_b32_e32 v12, 2
	v_mov_b32_e32 v13, 1
	global_store_dwordx4 v[8:9], v[10:13], off offset:8
.LBB7_256:
	s_or_b64 exec, exec, s[18:19]
	s_lshl_b64 s[10:11], s[16:17], 12
	v_lshl_add_u64 v[6:7], v[6:7], 0, s[10:11]
	s_movk_i32 s10, 0xff1d
	s_mov_b32 s16, 0
	v_and_or_b32 v0, v0, s10, 34
	v_mov_b32_e32 v3, v2
	v_readfirstlane_b32 s10, v6
	v_readfirstlane_b32 s11, v7
	s_mov_b32 s17, s16
	s_mov_b32 s18, s16
	;; [unrolled: 1-line block ×3, first 2 shown]
	s_nop 1
	global_store_dwordx4 v28, v[0:3], s[10:11]
	s_nop 1
	v_mov_b64_e32 v[0:1], s[16:17]
	v_mov_b64_e32 v[2:3], s[18:19]
	global_store_dwordx4 v28, v[0:3], s[10:11] offset:16
	global_store_dwordx4 v28, v[0:3], s[10:11] offset:32
	;; [unrolled: 1-line block ×3, first 2 shown]
	s_and_saveexec_b64 s[10:11], s[0:1]
	s_cbranch_execz .LBB7_264
; %bb.257:
	v_mov_b32_e32 v6, 0
	global_load_dwordx2 v[12:13], v6, s[2:3] offset:32 sc0 sc1
	global_load_dwordx2 v[0:1], v6, s[2:3] offset:40
	v_mov_b32_e32 v10, s6
	v_mov_b32_e32 v11, s7
	s_waitcnt vmcnt(0)
	v_readfirstlane_b32 s16, v0
	v_readfirstlane_b32 s17, v1
	s_and_b64 s[16:17], s[16:17], s[6:7]
	s_mul_i32 s15, s17, 24
	s_mul_hi_u32 s17, s16, 24
	s_mul_i32 s16, s16, 24
	s_add_i32 s17, s17, s15
	v_lshl_add_u64 v[4:5], v[4:5], 0, s[16:17]
	global_store_dwordx2 v[4:5], v[12:13], off
	buffer_wbl2 sc0 sc1
	s_waitcnt vmcnt(0)
	global_atomic_cmpswap_x2 v[2:3], v6, v[10:13], s[2:3] offset:32 sc0 sc1
	s_waitcnt vmcnt(0)
	v_cmp_ne_u64_e32 vcc, v[2:3], v[12:13]
	s_and_saveexec_b64 s[16:17], vcc
	s_cbranch_execz .LBB7_260
; %bb.258:
	s_mov_b64 s[18:19], 0
.LBB7_259:                              ; =>This Inner Loop Header: Depth=1
	s_sleep 1
	global_store_dwordx2 v[4:5], v[2:3], off
	v_mov_b32_e32 v0, s6
	v_mov_b32_e32 v1, s7
	buffer_wbl2 sc0 sc1
	s_waitcnt vmcnt(0)
	global_atomic_cmpswap_x2 v[0:1], v6, v[0:3], s[2:3] offset:32 sc0 sc1
	s_waitcnt vmcnt(0)
	v_cmp_eq_u64_e32 vcc, v[0:1], v[2:3]
	s_or_b64 s[18:19], vcc, s[18:19]
	v_mov_b64_e32 v[2:3], v[0:1]
	s_andn2_b64 exec, exec, s[18:19]
	s_cbranch_execnz .LBB7_259
.LBB7_260:
	s_or_b64 exec, exec, s[16:17]
	v_mov_b32_e32 v3, 0
	global_load_dwordx2 v[0:1], v3, s[2:3] offset:16
	s_mov_b64 s[16:17], exec
	v_mbcnt_lo_u32_b32 v2, s16, 0
	v_mbcnt_hi_u32_b32 v2, s17, v2
	v_cmp_eq_u32_e32 vcc, 0, v2
	s_and_saveexec_b64 s[18:19], vcc
	s_cbranch_execz .LBB7_262
; %bb.261:
	s_bcnt1_i32_b64 s15, s[16:17]
	v_mov_b32_e32 v2, s15
	buffer_wbl2 sc0 sc1
	s_waitcnt vmcnt(0)
	global_atomic_add_x2 v[0:1], v[2:3], off offset:8 sc1
.LBB7_262:
	s_or_b64 exec, exec, s[18:19]
	s_waitcnt vmcnt(0)
	global_load_dwordx2 v[2:3], v[0:1], off offset:16
	s_waitcnt vmcnt(0)
	v_cmp_eq_u64_e32 vcc, 0, v[2:3]
	s_cbranch_vccnz .LBB7_264
; %bb.263:
	global_load_dword v0, v[0:1], off offset:24
	v_mov_b32_e32 v1, 0
	buffer_wbl2 sc0 sc1
	s_waitcnt vmcnt(0)
	global_store_dwordx2 v[2:3], v[0:1], off sc0 sc1
	v_and_b32_e32 v0, 0xffffff, v0
	s_nop 0
	v_readfirstlane_b32 m0, v0
	s_sendmsg sendmsg(MSG_INTERRUPT)
.LBB7_264:
	s_or_b64 exec, exec, s[10:11]
	s_branch .LBB7_268
.LBB7_265:                              ;   in Loop: Header=BB7_268 Depth=1
	s_or_b64 exec, exec, s[10:11]
	v_readfirstlane_b32 s10, v0
	s_cmp_eq_u32 s10, 0
	s_cbranch_scc1 .LBB7_267
; %bb.266:                              ;   in Loop: Header=BB7_268 Depth=1
	s_sleep 1
	s_cbranch_execnz .LBB7_268
	s_branch .LBB7_270
.LBB7_267:
	s_branch .LBB7_270
.LBB7_268:                              ; =>This Inner Loop Header: Depth=1
	v_mov_b32_e32 v0, 1
	s_and_saveexec_b64 s[10:11], s[0:1]
	s_cbranch_execz .LBB7_265
; %bb.269:                              ;   in Loop: Header=BB7_268 Depth=1
	global_load_dword v0, v[8:9], off offset:20 sc0 sc1
	s_waitcnt vmcnt(0)
	buffer_inv sc0 sc1
	v_and_b32_e32 v0, 1, v0
	s_branch .LBB7_265
.LBB7_270:
	s_and_saveexec_b64 s[10:11], s[0:1]
	s_cbranch_execz .LBB7_273
; %bb.271:
	v_mov_b32_e32 v6, 0
	global_load_dwordx2 v[4:5], v6, s[2:3] offset:40
	global_load_dwordx2 v[8:9], v6, s[2:3] offset:24 sc0 sc1
	global_load_dwordx2 v[10:11], v6, s[2:3]
	s_mov_b64 s[0:1], 0
	s_waitcnt vmcnt(2)
	v_lshl_add_u64 v[0:1], v[4:5], 0, 1
	v_lshl_add_u64 v[12:13], v[0:1], 0, s[6:7]
	v_cmp_eq_u64_e32 vcc, 0, v[12:13]
	s_waitcnt vmcnt(1)
	v_mov_b32_e32 v2, v8
	v_cndmask_b32_e32 v1, v13, v1, vcc
	v_cndmask_b32_e32 v0, v12, v0, vcc
	v_and_b32_e32 v3, v1, v5
	v_and_b32_e32 v4, v0, v4
	v_mul_lo_u32 v3, v3, 24
	v_mul_hi_u32 v5, v4, 24
	v_mul_lo_u32 v4, v4, 24
	v_add_u32_e32 v5, v5, v3
	s_waitcnt vmcnt(0)
	v_lshl_add_u64 v[4:5], v[10:11], 0, v[4:5]
	global_store_dwordx2 v[4:5], v[8:9], off
	v_mov_b32_e32 v3, v9
	buffer_wbl2 sc0 sc1
	s_waitcnt vmcnt(0)
	global_atomic_cmpswap_x2 v[2:3], v6, v[0:3], s[2:3] offset:24 sc0 sc1
	s_waitcnt vmcnt(0)
	v_cmp_ne_u64_e32 vcc, v[2:3], v[8:9]
	s_and_b64 exec, exec, vcc
	s_cbranch_execz .LBB7_273
.LBB7_272:                              ; =>This Inner Loop Header: Depth=1
	s_sleep 1
	global_store_dwordx2 v[4:5], v[2:3], off
	buffer_wbl2 sc0 sc1
	s_waitcnt vmcnt(0)
	global_atomic_cmpswap_x2 v[8:9], v6, v[0:3], s[2:3] offset:24 sc0 sc1
	s_waitcnt vmcnt(0)
	v_cmp_eq_u64_e32 vcc, v[8:9], v[2:3]
	s_or_b64 s[0:1], vcc, s[0:1]
	v_mov_b64_e32 v[2:3], v[8:9]
	s_andn2_b64 exec, exec, s[0:1]
	s_cbranch_execnz .LBB7_272
.LBB7_273:
	s_or_b64 exec, exec, s[10:11]
.LBB7_274:
	v_readfirstlane_b32 s0, v36
	s_waitcnt vmcnt(0)
	v_mov_b64_e32 v[4:5], 0
	v_cmp_eq_u32_e64 s[0:1], s0, v36
	s_and_saveexec_b64 s[6:7], s[0:1]
	s_cbranch_execz .LBB7_280
; %bb.275:
	v_mov_b32_e32 v0, 0
	global_load_dwordx2 v[6:7], v0, s[2:3] offset:24 sc0 sc1
	s_waitcnt vmcnt(0)
	buffer_inv sc0 sc1
	global_load_dwordx2 v[2:3], v0, s[2:3] offset:40
	global_load_dwordx2 v[4:5], v0, s[2:3]
	s_waitcnt vmcnt(1)
	v_and_b32_e32 v1, v2, v6
	v_and_b32_e32 v2, v3, v7
	v_mul_lo_u32 v2, v2, 24
	v_mul_hi_u32 v3, v1, 24
	v_add_u32_e32 v3, v3, v2
	v_mul_lo_u32 v2, v1, 24
	s_waitcnt vmcnt(0)
	v_lshl_add_u64 v[2:3], v[4:5], 0, v[2:3]
	global_load_dwordx2 v[4:5], v[2:3], off sc0 sc1
	s_waitcnt vmcnt(0)
	global_atomic_cmpswap_x2 v[4:5], v0, v[4:7], s[2:3] offset:24 sc0 sc1
	s_waitcnt vmcnt(0)
	buffer_inv sc0 sc1
	v_cmp_ne_u64_e32 vcc, v[4:5], v[6:7]
	s_and_saveexec_b64 s[10:11], vcc
	s_cbranch_execz .LBB7_279
; %bb.276:
	s_mov_b64 s[16:17], 0
.LBB7_277:                              ; =>This Inner Loop Header: Depth=1
	s_sleep 1
	global_load_dwordx2 v[2:3], v0, s[2:3] offset:40
	global_load_dwordx2 v[8:9], v0, s[2:3]
	v_mov_b64_e32 v[6:7], v[4:5]
	s_waitcnt vmcnt(1)
	v_and_b32_e32 v2, v2, v6
	v_and_b32_e32 v1, v3, v7
	s_waitcnt vmcnt(0)
	v_mad_u64_u32 v[2:3], s[18:19], v2, 24, v[8:9]
	v_mov_b32_e32 v4, v3
	v_mad_u64_u32 v[4:5], s[18:19], v1, 24, v[4:5]
	v_mov_b32_e32 v3, v4
	global_load_dwordx2 v[4:5], v[2:3], off sc0 sc1
	s_waitcnt vmcnt(0)
	global_atomic_cmpswap_x2 v[4:5], v0, v[4:7], s[2:3] offset:24 sc0 sc1
	s_waitcnt vmcnt(0)
	buffer_inv sc0 sc1
	v_cmp_eq_u64_e32 vcc, v[4:5], v[6:7]
	s_or_b64 s[16:17], vcc, s[16:17]
	s_andn2_b64 exec, exec, s[16:17]
	s_cbranch_execnz .LBB7_277
; %bb.278:
	s_or_b64 exec, exec, s[16:17]
.LBB7_279:
	s_or_b64 exec, exec, s[10:11]
.LBB7_280:
	s_or_b64 exec, exec, s[6:7]
	v_mov_b32_e32 v29, 0
	global_load_dwordx2 v[6:7], v29, s[2:3] offset:40
	global_load_dwordx4 v[0:3], v29, s[2:3]
	v_readfirstlane_b32 s6, v4
	v_readfirstlane_b32 s7, v5
	s_mov_b64 s[10:11], exec
	s_waitcnt vmcnt(1)
	v_readfirstlane_b32 s16, v6
	v_readfirstlane_b32 s17, v7
	s_and_b64 s[16:17], s[6:7], s[16:17]
	s_mul_i32 s15, s17, 24
	s_mul_hi_u32 s18, s16, 24
	s_add_i32 s19, s18, s15
	s_mul_i32 s18, s16, 24
	s_waitcnt vmcnt(0)
	v_lshl_add_u64 v[4:5], v[0:1], 0, s[18:19]
	s_and_saveexec_b64 s[18:19], s[0:1]
	s_cbranch_execz .LBB7_282
; %bb.281:
	v_mov_b64_e32 v[6:7], s[10:11]
	v_mov_b32_e32 v8, 2
	v_mov_b32_e32 v9, 1
	global_store_dwordx4 v[4:5], v[6:9], off offset:8
.LBB7_282:
	s_or_b64 exec, exec, s[18:19]
	s_lshl_b64 s[10:11], s[16:17], 12
	v_lshl_add_u64 v[6:7], v[2:3], 0, s[10:11]
	s_mov_b32 s16, 0
	v_mov_b32_e32 v8, 33
	v_mov_b32_e32 v9, v29
	;; [unrolled: 1-line block ×4, first 2 shown]
	v_readfirstlane_b32 s10, v6
	v_readfirstlane_b32 s11, v7
	s_mov_b32 s17, s16
	s_mov_b32 s18, s16
	s_mov_b32 s19, s16
	s_nop 1
	global_store_dwordx4 v28, v[8:11], s[10:11]
	s_nop 1
	v_mov_b64_e32 v[8:9], s[16:17]
	v_mov_b64_e32 v[10:11], s[18:19]
	global_store_dwordx4 v28, v[8:11], s[10:11] offset:16
	global_store_dwordx4 v28, v[8:11], s[10:11] offset:32
	;; [unrolled: 1-line block ×3, first 2 shown]
	s_and_saveexec_b64 s[10:11], s[0:1]
	s_cbranch_execz .LBB7_290
; %bb.283:
	v_mov_b32_e32 v10, 0
	global_load_dwordx2 v[14:15], v10, s[2:3] offset:32 sc0 sc1
	global_load_dwordx2 v[2:3], v10, s[2:3] offset:40
	v_mov_b32_e32 v12, s6
	v_mov_b32_e32 v13, s7
	s_waitcnt vmcnt(0)
	v_readfirstlane_b32 s16, v2
	v_readfirstlane_b32 s17, v3
	s_and_b64 s[16:17], s[16:17], s[6:7]
	s_mul_i32 s15, s17, 24
	s_mul_hi_u32 s17, s16, 24
	s_mul_i32 s16, s16, 24
	s_add_i32 s17, s17, s15
	v_lshl_add_u64 v[8:9], v[0:1], 0, s[16:17]
	global_store_dwordx2 v[8:9], v[14:15], off
	buffer_wbl2 sc0 sc1
	s_waitcnt vmcnt(0)
	global_atomic_cmpswap_x2 v[2:3], v10, v[12:15], s[2:3] offset:32 sc0 sc1
	s_waitcnt vmcnt(0)
	v_cmp_ne_u64_e32 vcc, v[2:3], v[14:15]
	s_and_saveexec_b64 s[16:17], vcc
	s_cbranch_execz .LBB7_286
; %bb.284:
	s_mov_b64 s[18:19], 0
.LBB7_285:                              ; =>This Inner Loop Header: Depth=1
	s_sleep 1
	global_store_dwordx2 v[8:9], v[2:3], off
	v_mov_b32_e32 v0, s6
	v_mov_b32_e32 v1, s7
	buffer_wbl2 sc0 sc1
	s_waitcnt vmcnt(0)
	global_atomic_cmpswap_x2 v[0:1], v10, v[0:3], s[2:3] offset:32 sc0 sc1
	s_waitcnt vmcnt(0)
	v_cmp_eq_u64_e32 vcc, v[0:1], v[2:3]
	s_or_b64 s[18:19], vcc, s[18:19]
	v_mov_b64_e32 v[2:3], v[0:1]
	s_andn2_b64 exec, exec, s[18:19]
	s_cbranch_execnz .LBB7_285
.LBB7_286:
	s_or_b64 exec, exec, s[16:17]
	v_mov_b32_e32 v3, 0
	global_load_dwordx2 v[0:1], v3, s[2:3] offset:16
	s_mov_b64 s[16:17], exec
	v_mbcnt_lo_u32_b32 v2, s16, 0
	v_mbcnt_hi_u32_b32 v2, s17, v2
	v_cmp_eq_u32_e32 vcc, 0, v2
	s_and_saveexec_b64 s[18:19], vcc
	s_cbranch_execz .LBB7_288
; %bb.287:
	s_bcnt1_i32_b64 s15, s[16:17]
	v_mov_b32_e32 v2, s15
	buffer_wbl2 sc0 sc1
	s_waitcnt vmcnt(0)
	global_atomic_add_x2 v[0:1], v[2:3], off offset:8 sc1
.LBB7_288:
	s_or_b64 exec, exec, s[18:19]
	s_waitcnt vmcnt(0)
	global_load_dwordx2 v[2:3], v[0:1], off offset:16
	s_waitcnt vmcnt(0)
	v_cmp_eq_u64_e32 vcc, 0, v[2:3]
	s_cbranch_vccnz .LBB7_290
; %bb.289:
	global_load_dword v0, v[0:1], off offset:24
	v_mov_b32_e32 v1, 0
	buffer_wbl2 sc0 sc1
	s_waitcnt vmcnt(0)
	global_store_dwordx2 v[2:3], v[0:1], off sc0 sc1
	v_and_b32_e32 v0, 0xffffff, v0
	s_nop 0
	v_readfirstlane_b32 m0, v0
	s_sendmsg sendmsg(MSG_INTERRUPT)
.LBB7_290:
	s_or_b64 exec, exec, s[10:11]
	v_lshl_add_u64 v[0:1], v[6:7], 0, v[28:29]
	s_branch .LBB7_294
.LBB7_291:                              ;   in Loop: Header=BB7_294 Depth=1
	s_or_b64 exec, exec, s[10:11]
	v_readfirstlane_b32 s10, v2
	s_cmp_eq_u32 s10, 0
	s_cbranch_scc1 .LBB7_293
; %bb.292:                              ;   in Loop: Header=BB7_294 Depth=1
	s_sleep 1
	s_cbranch_execnz .LBB7_294
	s_branch .LBB7_296
.LBB7_293:
	s_branch .LBB7_296
.LBB7_294:                              ; =>This Inner Loop Header: Depth=1
	v_mov_b32_e32 v2, 1
	s_and_saveexec_b64 s[10:11], s[0:1]
	s_cbranch_execz .LBB7_291
; %bb.295:                              ;   in Loop: Header=BB7_294 Depth=1
	global_load_dword v2, v[4:5], off offset:20 sc0 sc1
	s_waitcnt vmcnt(0)
	buffer_inv sc0 sc1
	v_and_b32_e32 v2, 1, v2
	s_branch .LBB7_291
.LBB7_296:
	global_load_dwordx2 v[0:1], v[0:1], off
	s_and_saveexec_b64 s[10:11], s[0:1]
	s_cbranch_execz .LBB7_299
; %bb.297:
	v_mov_b32_e32 v8, 0
	global_load_dwordx2 v[6:7], v8, s[2:3] offset:40
	global_load_dwordx2 v[10:11], v8, s[2:3] offset:24 sc0 sc1
	global_load_dwordx2 v[12:13], v8, s[2:3]
	s_mov_b64 s[0:1], 0
	s_waitcnt vmcnt(2)
	v_lshl_add_u64 v[2:3], v[6:7], 0, 1
	v_lshl_add_u64 v[14:15], v[2:3], 0, s[6:7]
	v_cmp_eq_u64_e32 vcc, 0, v[14:15]
	s_waitcnt vmcnt(1)
	v_mov_b32_e32 v4, v10
	v_cndmask_b32_e32 v3, v15, v3, vcc
	v_cndmask_b32_e32 v2, v14, v2, vcc
	v_and_b32_e32 v5, v3, v7
	v_and_b32_e32 v6, v2, v6
	v_mul_lo_u32 v5, v5, 24
	v_mul_hi_u32 v7, v6, 24
	v_mul_lo_u32 v6, v6, 24
	v_add_u32_e32 v7, v7, v5
	s_waitcnt vmcnt(0)
	v_lshl_add_u64 v[6:7], v[12:13], 0, v[6:7]
	global_store_dwordx2 v[6:7], v[10:11], off
	v_mov_b32_e32 v5, v11
	buffer_wbl2 sc0 sc1
	s_waitcnt vmcnt(0)
	global_atomic_cmpswap_x2 v[4:5], v8, v[2:5], s[2:3] offset:24 sc0 sc1
	s_waitcnt vmcnt(0)
	v_cmp_ne_u64_e32 vcc, v[4:5], v[10:11]
	s_and_b64 exec, exec, vcc
	s_cbranch_execz .LBB7_299
.LBB7_298:                              ; =>This Inner Loop Header: Depth=1
	s_sleep 1
	global_store_dwordx2 v[6:7], v[4:5], off
	buffer_wbl2 sc0 sc1
	s_waitcnt vmcnt(0)
	global_atomic_cmpswap_x2 v[10:11], v8, v[2:5], s[2:3] offset:24 sc0 sc1
	s_waitcnt vmcnt(0)
	v_cmp_eq_u64_e32 vcc, v[10:11], v[4:5]
	s_or_b64 s[0:1], vcc, s[0:1]
	v_mov_b64_e32 v[4:5], v[10:11]
	s_andn2_b64 exec, exec, s[0:1]
	s_cbranch_execnz .LBB7_298
.LBB7_299:
	s_or_b64 exec, exec, s[10:11]
	s_getpc_b64 s[10:11]
	s_add_u32 s10, s10, .str.6@rel32@lo+4
	s_addc_u32 s11, s11, .str.6@rel32@hi+12
	s_cmp_lg_u64 s[10:11], 0
	s_cselect_b64 s[6:7], -1, 0
	s_and_b64 vcc, exec, s[6:7]
	s_cbranch_vccz .LBB7_384
; %bb.300:
	s_waitcnt vmcnt(0)
	v_and_b32_e32 v30, 2, v0
	v_mov_b32_e32 v33, 0
	v_and_b32_e32 v2, -3, v0
	v_mov_b32_e32 v3, v1
	s_mov_b64 s[16:17], 3
	v_mov_b32_e32 v6, 2
	v_mov_b32_e32 v7, 1
	s_branch .LBB7_302
.LBB7_301:                              ;   in Loop: Header=BB7_302 Depth=1
	s_or_b64 exec, exec, s[22:23]
	s_sub_u32 s16, s16, s18
	s_subb_u32 s17, s17, s19
	s_add_u32 s10, s10, s18
	s_addc_u32 s11, s11, s19
	s_cmp_lg_u64 s[16:17], 0
	s_cbranch_scc0 .LBB7_383
.LBB7_302:                              ; =>This Loop Header: Depth=1
                                        ;     Child Loop BB7_305 Depth 2
                                        ;     Child Loop BB7_312 Depth 2
	;; [unrolled: 1-line block ×11, first 2 shown]
	v_cmp_lt_u64_e64 s[0:1], s[16:17], 56
	s_and_b64 s[0:1], s[0:1], exec
	v_cmp_gt_u64_e64 s[0:1], s[16:17], 7
	s_cselect_b32 s19, s17, 0
	s_cselect_b32 s18, s16, 56
	s_and_b64 vcc, exec, s[0:1]
	s_cbranch_vccnz .LBB7_307
; %bb.303:                              ;   in Loop: Header=BB7_302 Depth=1
	s_mov_b64 s[0:1], 0
	s_cmp_eq_u64 s[16:17], 0
	v_mov_b64_e32 v[10:11], 0
	s_cbranch_scc1 .LBB7_306
; %bb.304:                              ;   in Loop: Header=BB7_302 Depth=1
	s_lshl_b64 s[20:21], s[18:19], 3
	s_mov_b64 s[22:23], 0
	v_mov_b64_e32 v[10:11], 0
	s_mov_b64 s[24:25], s[10:11]
.LBB7_305:                              ;   Parent Loop BB7_302 Depth=1
                                        ; =>  This Inner Loop Header: Depth=2
	global_load_ubyte v4, v33, s[24:25]
	s_waitcnt vmcnt(0)
	v_and_b32_e32 v32, 0xffff, v4
	v_lshlrev_b64 v[4:5], s22, v[32:33]
	s_add_u32 s22, s22, 8
	s_addc_u32 s23, s23, 0
	s_add_u32 s24, s24, 1
	s_addc_u32 s25, s25, 0
	v_or_b32_e32 v10, v4, v10
	s_cmp_lg_u32 s20, s22
	v_or_b32_e32 v11, v5, v11
	s_cbranch_scc1 .LBB7_305
.LBB7_306:                              ;   in Loop: Header=BB7_302 Depth=1
	s_mov_b32 s15, 0
	s_andn2_b64 vcc, exec, s[0:1]
	s_mov_b64 s[0:1], s[10:11]
	s_cbranch_vccz .LBB7_308
	s_branch .LBB7_309
.LBB7_307:                              ;   in Loop: Header=BB7_302 Depth=1
                                        ; implicit-def: $vgpr10_vgpr11
                                        ; implicit-def: $sgpr15
	s_mov_b64 s[0:1], s[10:11]
.LBB7_308:                              ;   in Loop: Header=BB7_302 Depth=1
	global_load_dwordx2 v[10:11], v33, s[10:11]
	s_add_i32 s15, s18, -8
	s_add_u32 s0, s10, 8
	s_addc_u32 s1, s11, 0
.LBB7_309:                              ;   in Loop: Header=BB7_302 Depth=1
	s_cmp_gt_u32 s15, 7
	s_cbranch_scc1 .LBB7_313
; %bb.310:                              ;   in Loop: Header=BB7_302 Depth=1
	s_cmp_eq_u32 s15, 0
	s_cbranch_scc1 .LBB7_314
; %bb.311:                              ;   in Loop: Header=BB7_302 Depth=1
	s_mov_b64 s[20:21], 0
	v_mov_b64_e32 v[12:13], 0
	s_mov_b64 s[22:23], 0
.LBB7_312:                              ;   Parent Loop BB7_302 Depth=1
                                        ; =>  This Inner Loop Header: Depth=2
	s_add_u32 s24, s0, s22
	s_addc_u32 s25, s1, s23
	global_load_ubyte v4, v33, s[24:25]
	s_add_u32 s22, s22, 1
	s_addc_u32 s23, s23, 0
	s_waitcnt vmcnt(0)
	v_and_b32_e32 v32, 0xffff, v4
	v_lshlrev_b64 v[4:5], s20, v[32:33]
	s_add_u32 s20, s20, 8
	s_addc_u32 s21, s21, 0
	v_or_b32_e32 v12, v4, v12
	s_cmp_lg_u32 s15, s22
	v_or_b32_e32 v13, v5, v13
	s_cbranch_scc1 .LBB7_312
	s_branch .LBB7_315
.LBB7_313:                              ;   in Loop: Header=BB7_302 Depth=1
                                        ; implicit-def: $vgpr12_vgpr13
                                        ; implicit-def: $sgpr24
	s_branch .LBB7_316
.LBB7_314:                              ;   in Loop: Header=BB7_302 Depth=1
	v_mov_b64_e32 v[12:13], 0
.LBB7_315:                              ;   in Loop: Header=BB7_302 Depth=1
	s_mov_b32 s24, 0
	s_cbranch_execnz .LBB7_317
.LBB7_316:                              ;   in Loop: Header=BB7_302 Depth=1
	global_load_dwordx2 v[12:13], v33, s[0:1]
	s_add_i32 s24, s15, -8
	s_add_u32 s0, s0, 8
	s_addc_u32 s1, s1, 0
.LBB7_317:                              ;   in Loop: Header=BB7_302 Depth=1
	s_cmp_gt_u32 s24, 7
	s_cbranch_scc1 .LBB7_321
; %bb.318:                              ;   in Loop: Header=BB7_302 Depth=1
	s_cmp_eq_u32 s24, 0
	s_cbranch_scc1 .LBB7_322
; %bb.319:                              ;   in Loop: Header=BB7_302 Depth=1
	s_mov_b64 s[20:21], 0
	v_mov_b64_e32 v[14:15], 0
	s_mov_b64 s[22:23], 0
.LBB7_320:                              ;   Parent Loop BB7_302 Depth=1
                                        ; =>  This Inner Loop Header: Depth=2
	s_add_u32 s26, s0, s22
	s_addc_u32 s27, s1, s23
	global_load_ubyte v4, v33, s[26:27]
	s_add_u32 s22, s22, 1
	s_addc_u32 s23, s23, 0
	s_waitcnt vmcnt(0)
	v_and_b32_e32 v32, 0xffff, v4
	v_lshlrev_b64 v[4:5], s20, v[32:33]
	s_add_u32 s20, s20, 8
	s_addc_u32 s21, s21, 0
	v_or_b32_e32 v14, v4, v14
	s_cmp_lg_u32 s24, s22
	v_or_b32_e32 v15, v5, v15
	s_cbranch_scc1 .LBB7_320
	s_branch .LBB7_323
.LBB7_321:                              ;   in Loop: Header=BB7_302 Depth=1
                                        ; implicit-def: $sgpr15
	s_branch .LBB7_324
.LBB7_322:                              ;   in Loop: Header=BB7_302 Depth=1
	v_mov_b64_e32 v[14:15], 0
.LBB7_323:                              ;   in Loop: Header=BB7_302 Depth=1
	s_mov_b32 s15, 0
	s_cbranch_execnz .LBB7_325
.LBB7_324:                              ;   in Loop: Header=BB7_302 Depth=1
	global_load_dwordx2 v[14:15], v33, s[0:1]
	s_add_i32 s15, s24, -8
	s_add_u32 s0, s0, 8
	s_addc_u32 s1, s1, 0
.LBB7_325:                              ;   in Loop: Header=BB7_302 Depth=1
	s_cmp_gt_u32 s15, 7
	s_cbranch_scc1 .LBB7_329
; %bb.326:                              ;   in Loop: Header=BB7_302 Depth=1
	s_cmp_eq_u32 s15, 0
	s_cbranch_scc1 .LBB7_330
; %bb.327:                              ;   in Loop: Header=BB7_302 Depth=1
	s_mov_b64 s[20:21], 0
	v_mov_b64_e32 v[16:17], 0
	s_mov_b64 s[22:23], 0
.LBB7_328:                              ;   Parent Loop BB7_302 Depth=1
                                        ; =>  This Inner Loop Header: Depth=2
	s_add_u32 s24, s0, s22
	s_addc_u32 s25, s1, s23
	global_load_ubyte v4, v33, s[24:25]
	s_add_u32 s22, s22, 1
	s_addc_u32 s23, s23, 0
	s_waitcnt vmcnt(0)
	v_and_b32_e32 v32, 0xffff, v4
	v_lshlrev_b64 v[4:5], s20, v[32:33]
	s_add_u32 s20, s20, 8
	s_addc_u32 s21, s21, 0
	v_or_b32_e32 v16, v4, v16
	s_cmp_lg_u32 s15, s22
	v_or_b32_e32 v17, v5, v17
	s_cbranch_scc1 .LBB7_328
	s_branch .LBB7_331
.LBB7_329:                              ;   in Loop: Header=BB7_302 Depth=1
                                        ; implicit-def: $vgpr16_vgpr17
                                        ; implicit-def: $sgpr24
	s_branch .LBB7_332
.LBB7_330:                              ;   in Loop: Header=BB7_302 Depth=1
	v_mov_b64_e32 v[16:17], 0
.LBB7_331:                              ;   in Loop: Header=BB7_302 Depth=1
	s_mov_b32 s24, 0
	s_cbranch_execnz .LBB7_333
.LBB7_332:                              ;   in Loop: Header=BB7_302 Depth=1
	global_load_dwordx2 v[16:17], v33, s[0:1]
	s_add_i32 s24, s15, -8
	s_add_u32 s0, s0, 8
	s_addc_u32 s1, s1, 0
.LBB7_333:                              ;   in Loop: Header=BB7_302 Depth=1
	s_cmp_gt_u32 s24, 7
	s_cbranch_scc1 .LBB7_337
; %bb.334:                              ;   in Loop: Header=BB7_302 Depth=1
	s_cmp_eq_u32 s24, 0
	s_cbranch_scc1 .LBB7_338
; %bb.335:                              ;   in Loop: Header=BB7_302 Depth=1
	s_mov_b64 s[20:21], 0
	v_mov_b64_e32 v[18:19], 0
	s_mov_b64 s[22:23], 0
.LBB7_336:                              ;   Parent Loop BB7_302 Depth=1
                                        ; =>  This Inner Loop Header: Depth=2
	s_add_u32 s26, s0, s22
	s_addc_u32 s27, s1, s23
	global_load_ubyte v4, v33, s[26:27]
	s_add_u32 s22, s22, 1
	s_addc_u32 s23, s23, 0
	s_waitcnt vmcnt(0)
	v_and_b32_e32 v32, 0xffff, v4
	v_lshlrev_b64 v[4:5], s20, v[32:33]
	s_add_u32 s20, s20, 8
	s_addc_u32 s21, s21, 0
	v_or_b32_e32 v18, v4, v18
	s_cmp_lg_u32 s24, s22
	v_or_b32_e32 v19, v5, v19
	s_cbranch_scc1 .LBB7_336
	s_branch .LBB7_339
.LBB7_337:                              ;   in Loop: Header=BB7_302 Depth=1
                                        ; implicit-def: $sgpr15
	s_branch .LBB7_340
.LBB7_338:                              ;   in Loop: Header=BB7_302 Depth=1
	v_mov_b64_e32 v[18:19], 0
.LBB7_339:                              ;   in Loop: Header=BB7_302 Depth=1
	s_mov_b32 s15, 0
	s_cbranch_execnz .LBB7_341
.LBB7_340:                              ;   in Loop: Header=BB7_302 Depth=1
	global_load_dwordx2 v[18:19], v33, s[0:1]
	s_add_i32 s15, s24, -8
	s_add_u32 s0, s0, 8
	s_addc_u32 s1, s1, 0
.LBB7_341:                              ;   in Loop: Header=BB7_302 Depth=1
	s_cmp_gt_u32 s15, 7
	s_cbranch_scc1 .LBB7_345
; %bb.342:                              ;   in Loop: Header=BB7_302 Depth=1
	s_cmp_eq_u32 s15, 0
	s_cbranch_scc1 .LBB7_346
; %bb.343:                              ;   in Loop: Header=BB7_302 Depth=1
	s_mov_b64 s[20:21], 0
	v_mov_b64_e32 v[20:21], 0
	s_mov_b64 s[22:23], 0
.LBB7_344:                              ;   Parent Loop BB7_302 Depth=1
                                        ; =>  This Inner Loop Header: Depth=2
	s_add_u32 s24, s0, s22
	s_addc_u32 s25, s1, s23
	global_load_ubyte v4, v33, s[24:25]
	s_add_u32 s22, s22, 1
	s_addc_u32 s23, s23, 0
	s_waitcnt vmcnt(0)
	v_and_b32_e32 v32, 0xffff, v4
	v_lshlrev_b64 v[4:5], s20, v[32:33]
	s_add_u32 s20, s20, 8
	s_addc_u32 s21, s21, 0
	v_or_b32_e32 v20, v4, v20
	s_cmp_lg_u32 s15, s22
	v_or_b32_e32 v21, v5, v21
	s_cbranch_scc1 .LBB7_344
	s_branch .LBB7_347
.LBB7_345:                              ;   in Loop: Header=BB7_302 Depth=1
                                        ; implicit-def: $vgpr20_vgpr21
                                        ; implicit-def: $sgpr24
	s_branch .LBB7_348
.LBB7_346:                              ;   in Loop: Header=BB7_302 Depth=1
	v_mov_b64_e32 v[20:21], 0
.LBB7_347:                              ;   in Loop: Header=BB7_302 Depth=1
	s_mov_b32 s24, 0
	s_cbranch_execnz .LBB7_349
.LBB7_348:                              ;   in Loop: Header=BB7_302 Depth=1
	global_load_dwordx2 v[20:21], v33, s[0:1]
	s_add_i32 s24, s15, -8
	s_add_u32 s0, s0, 8
	s_addc_u32 s1, s1, 0
.LBB7_349:                              ;   in Loop: Header=BB7_302 Depth=1
	s_cmp_gt_u32 s24, 7
	s_cbranch_scc1 .LBB7_353
; %bb.350:                              ;   in Loop: Header=BB7_302 Depth=1
	s_cmp_eq_u32 s24, 0
	s_cbranch_scc1 .LBB7_354
; %bb.351:                              ;   in Loop: Header=BB7_302 Depth=1
	s_mov_b64 s[20:21], 0
	v_mov_b64_e32 v[22:23], 0
	s_mov_b64 s[22:23], s[0:1]
.LBB7_352:                              ;   Parent Loop BB7_302 Depth=1
                                        ; =>  This Inner Loop Header: Depth=2
	global_load_ubyte v4, v33, s[22:23]
	s_add_i32 s24, s24, -1
	s_waitcnt vmcnt(0)
	v_and_b32_e32 v32, 0xffff, v4
	v_lshlrev_b64 v[4:5], s20, v[32:33]
	s_add_u32 s20, s20, 8
	s_addc_u32 s21, s21, 0
	s_add_u32 s22, s22, 1
	s_addc_u32 s23, s23, 0
	v_or_b32_e32 v22, v4, v22
	s_cmp_lg_u32 s24, 0
	v_or_b32_e32 v23, v5, v23
	s_cbranch_scc1 .LBB7_352
	s_branch .LBB7_355
.LBB7_353:                              ;   in Loop: Header=BB7_302 Depth=1
	s_branch .LBB7_356
.LBB7_354:                              ;   in Loop: Header=BB7_302 Depth=1
	v_mov_b64_e32 v[22:23], 0
.LBB7_355:                              ;   in Loop: Header=BB7_302 Depth=1
	s_cbranch_execnz .LBB7_357
.LBB7_356:                              ;   in Loop: Header=BB7_302 Depth=1
	global_load_dwordx2 v[22:23], v33, s[0:1]
.LBB7_357:                              ;   in Loop: Header=BB7_302 Depth=1
	v_readfirstlane_b32 s0, v36
	s_waitcnt vmcnt(0)
	v_mov_b64_e32 v[4:5], 0
	v_cmp_eq_u32_e64 s[0:1], s0, v36
	s_and_saveexec_b64 s[20:21], s[0:1]
	s_cbranch_execz .LBB7_363
; %bb.358:                              ;   in Loop: Header=BB7_302 Depth=1
	global_load_dwordx2 v[26:27], v33, s[2:3] offset:24 sc0 sc1
	s_waitcnt vmcnt(0)
	buffer_inv sc0 sc1
	global_load_dwordx2 v[4:5], v33, s[2:3] offset:40
	global_load_dwordx2 v[8:9], v33, s[2:3]
	s_waitcnt vmcnt(1)
	v_and_b32_e32 v4, v4, v26
	v_and_b32_e32 v5, v5, v27
	v_mul_lo_u32 v5, v5, 24
	v_mul_hi_u32 v24, v4, 24
	v_add_u32_e32 v5, v24, v5
	v_mul_lo_u32 v4, v4, 24
	s_waitcnt vmcnt(0)
	v_lshl_add_u64 v[4:5], v[8:9], 0, v[4:5]
	global_load_dwordx2 v[24:25], v[4:5], off sc0 sc1
	s_waitcnt vmcnt(0)
	global_atomic_cmpswap_x2 v[4:5], v33, v[24:27], s[2:3] offset:24 sc0 sc1
	s_waitcnt vmcnt(0)
	buffer_inv sc0 sc1
	v_cmp_ne_u64_e32 vcc, v[4:5], v[26:27]
	s_and_saveexec_b64 s[22:23], vcc
	s_cbranch_execz .LBB7_362
; %bb.359:                              ;   in Loop: Header=BB7_302 Depth=1
	s_mov_b64 s[24:25], 0
.LBB7_360:                              ;   Parent Loop BB7_302 Depth=1
                                        ; =>  This Inner Loop Header: Depth=2
	s_sleep 1
	global_load_dwordx2 v[8:9], v33, s[2:3] offset:40
	global_load_dwordx2 v[24:25], v33, s[2:3]
	v_mov_b64_e32 v[26:27], v[4:5]
	s_waitcnt vmcnt(1)
	v_and_b32_e32 v4, v8, v26
	s_waitcnt vmcnt(0)
	v_mad_u64_u32 v[4:5], s[26:27], v4, 24, v[24:25]
	v_and_b32_e32 v9, v9, v27
	v_mov_b32_e32 v8, v5
	v_mad_u64_u32 v[8:9], s[26:27], v9, 24, v[8:9]
	v_mov_b32_e32 v5, v8
	global_load_dwordx2 v[24:25], v[4:5], off sc0 sc1
	s_waitcnt vmcnt(0)
	global_atomic_cmpswap_x2 v[4:5], v33, v[24:27], s[2:3] offset:24 sc0 sc1
	s_waitcnt vmcnt(0)
	buffer_inv sc0 sc1
	v_cmp_eq_u64_e32 vcc, v[4:5], v[26:27]
	s_or_b64 s[24:25], vcc, s[24:25]
	s_andn2_b64 exec, exec, s[24:25]
	s_cbranch_execnz .LBB7_360
; %bb.361:                              ;   in Loop: Header=BB7_302 Depth=1
	s_or_b64 exec, exec, s[24:25]
.LBB7_362:                              ;   in Loop: Header=BB7_302 Depth=1
	s_or_b64 exec, exec, s[22:23]
.LBB7_363:                              ;   in Loop: Header=BB7_302 Depth=1
	s_or_b64 exec, exec, s[20:21]
	global_load_dwordx2 v[8:9], v33, s[2:3] offset:40
	global_load_dwordx4 v[24:27], v33, s[2:3]
	v_readfirstlane_b32 s20, v4
	v_readfirstlane_b32 s21, v5
	s_mov_b64 s[22:23], exec
	s_waitcnt vmcnt(1)
	v_readfirstlane_b32 s24, v8
	v_readfirstlane_b32 s25, v9
	s_and_b64 s[24:25], s[20:21], s[24:25]
	s_mul_i32 s15, s25, 24
	s_mul_hi_u32 s26, s24, 24
	s_add_i32 s27, s26, s15
	s_mul_i32 s26, s24, 24
	s_waitcnt vmcnt(0)
	v_lshl_add_u64 v[34:35], v[24:25], 0, s[26:27]
	s_and_saveexec_b64 s[26:27], s[0:1]
	s_cbranch_execz .LBB7_365
; %bb.364:                              ;   in Loop: Header=BB7_302 Depth=1
	v_mov_b64_e32 v[4:5], s[22:23]
	global_store_dwordx4 v[34:35], v[4:7], off offset:8
.LBB7_365:                              ;   in Loop: Header=BB7_302 Depth=1
	s_or_b64 exec, exec, s[26:27]
	s_nop 0
	v_or_b32_e32 v5, v2, v30
	v_cmp_gt_u64_e64 vcc, s[16:17], 56
	s_lshl_b32 s15, s18, 2
	s_lshl_b64 s[22:23], s[24:25], 12
	v_cndmask_b32_e32 v2, v5, v2, vcc
	s_add_i32 s15, s15, 28
	v_lshl_add_u64 v[26:27], v[26:27], 0, s[22:23]
	v_or_b32_e32 v4, 0, v3
	s_and_b32 s15, s15, 0x1e0
	v_and_b32_e32 v2, 0xffffff1f, v2
	v_cndmask_b32_e32 v9, v4, v3, vcc
	v_or_b32_e32 v8, s15, v2
	v_readfirstlane_b32 s22, v26
	v_readfirstlane_b32 s23, v27
	s_nop 4
	global_store_dwordx4 v28, v[8:11], s[22:23]
	global_store_dwordx4 v28, v[12:15], s[22:23] offset:16
	global_store_dwordx4 v28, v[16:19], s[22:23] offset:32
	;; [unrolled: 1-line block ×3, first 2 shown]
	s_and_saveexec_b64 s[22:23], s[0:1]
	s_cbranch_execz .LBB7_373
; %bb.366:                              ;   in Loop: Header=BB7_302 Depth=1
	global_load_dwordx2 v[12:13], v33, s[2:3] offset:32 sc0 sc1
	global_load_dwordx2 v[2:3], v33, s[2:3] offset:40
	v_mov_b32_e32 v10, s20
	v_mov_b32_e32 v11, s21
	s_waitcnt vmcnt(0)
	v_readfirstlane_b32 s24, v2
	v_readfirstlane_b32 s25, v3
	s_and_b64 s[24:25], s[24:25], s[20:21]
	s_mul_i32 s15, s25, 24
	s_mul_hi_u32 s25, s24, 24
	s_mul_i32 s24, s24, 24
	s_add_i32 s25, s25, s15
	v_lshl_add_u64 v[8:9], v[24:25], 0, s[24:25]
	global_store_dwordx2 v[8:9], v[12:13], off
	buffer_wbl2 sc0 sc1
	s_waitcnt vmcnt(0)
	global_atomic_cmpswap_x2 v[4:5], v33, v[10:13], s[2:3] offset:32 sc0 sc1
	s_waitcnt vmcnt(0)
	v_cmp_ne_u64_e32 vcc, v[4:5], v[12:13]
	s_and_saveexec_b64 s[24:25], vcc
	s_cbranch_execz .LBB7_369
; %bb.367:                              ;   in Loop: Header=BB7_302 Depth=1
	s_mov_b64 s[26:27], 0
.LBB7_368:                              ;   Parent Loop BB7_302 Depth=1
                                        ; =>  This Inner Loop Header: Depth=2
	s_sleep 1
	global_store_dwordx2 v[8:9], v[4:5], off
	v_mov_b32_e32 v2, s20
	v_mov_b32_e32 v3, s21
	buffer_wbl2 sc0 sc1
	s_waitcnt vmcnt(0)
	global_atomic_cmpswap_x2 v[2:3], v33, v[2:5], s[2:3] offset:32 sc0 sc1
	s_waitcnt vmcnt(0)
	v_cmp_eq_u64_e32 vcc, v[2:3], v[4:5]
	s_or_b64 s[26:27], vcc, s[26:27]
	v_mov_b64_e32 v[4:5], v[2:3]
	s_andn2_b64 exec, exec, s[26:27]
	s_cbranch_execnz .LBB7_368
.LBB7_369:                              ;   in Loop: Header=BB7_302 Depth=1
	s_or_b64 exec, exec, s[24:25]
	global_load_dwordx2 v[2:3], v33, s[2:3] offset:16
	s_mov_b64 s[26:27], exec
	v_mbcnt_lo_u32_b32 v4, s26, 0
	v_mbcnt_hi_u32_b32 v4, s27, v4
	v_cmp_eq_u32_e32 vcc, 0, v4
	s_and_saveexec_b64 s[24:25], vcc
	s_cbranch_execz .LBB7_371
; %bb.370:                              ;   in Loop: Header=BB7_302 Depth=1
	s_bcnt1_i32_b64 s15, s[26:27]
	v_mov_b32_e32 v32, s15
	buffer_wbl2 sc0 sc1
	s_waitcnt vmcnt(0)
	global_atomic_add_x2 v[2:3], v[32:33], off offset:8 sc1
.LBB7_371:                              ;   in Loop: Header=BB7_302 Depth=1
	s_or_b64 exec, exec, s[24:25]
	s_waitcnt vmcnt(0)
	global_load_dwordx2 v[4:5], v[2:3], off offset:16
	s_waitcnt vmcnt(0)
	v_cmp_eq_u64_e32 vcc, 0, v[4:5]
	s_cbranch_vccnz .LBB7_373
; %bb.372:                              ;   in Loop: Header=BB7_302 Depth=1
	global_load_dword v32, v[2:3], off offset:24
	s_waitcnt vmcnt(0)
	v_and_b32_e32 v2, 0xffffff, v32
	s_nop 0
	v_readfirstlane_b32 m0, v2
	buffer_wbl2 sc0 sc1
	global_store_dwordx2 v[4:5], v[32:33], off sc0 sc1
	s_sendmsg sendmsg(MSG_INTERRUPT)
.LBB7_373:                              ;   in Loop: Header=BB7_302 Depth=1
	s_or_b64 exec, exec, s[22:23]
	v_mov_b32_e32 v29, v33
	v_lshl_add_u64 v[2:3], v[26:27], 0, v[28:29]
	s_branch .LBB7_377
.LBB7_374:                              ;   in Loop: Header=BB7_377 Depth=2
	s_or_b64 exec, exec, s[22:23]
	v_readfirstlane_b32 s15, v4
	s_cmp_eq_u32 s15, 0
	s_cbranch_scc1 .LBB7_376
; %bb.375:                              ;   in Loop: Header=BB7_377 Depth=2
	s_sleep 1
	s_cbranch_execnz .LBB7_377
	s_branch .LBB7_379
.LBB7_376:                              ;   in Loop: Header=BB7_302 Depth=1
	s_branch .LBB7_379
.LBB7_377:                              ;   Parent Loop BB7_302 Depth=1
                                        ; =>  This Inner Loop Header: Depth=2
	v_mov_b32_e32 v4, 1
	s_and_saveexec_b64 s[22:23], s[0:1]
	s_cbranch_execz .LBB7_374
; %bb.378:                              ;   in Loop: Header=BB7_377 Depth=2
	global_load_dword v4, v[34:35], off offset:20 sc0 sc1
	s_waitcnt vmcnt(0)
	buffer_inv sc0 sc1
	v_and_b32_e32 v4, 1, v4
	s_branch .LBB7_374
.LBB7_379:                              ;   in Loop: Header=BB7_302 Depth=1
	global_load_dwordx4 v[2:5], v[2:3], off
	s_and_saveexec_b64 s[22:23], s[0:1]
	s_cbranch_execz .LBB7_301
; %bb.380:                              ;   in Loop: Header=BB7_302 Depth=1
	global_load_dwordx2 v[4:5], v33, s[2:3] offset:40
	global_load_dwordx2 v[12:13], v33, s[2:3] offset:24 sc0 sc1
	global_load_dwordx2 v[14:15], v33, s[2:3]
	s_waitcnt vmcnt(2)
	v_lshl_add_u64 v[8:9], v[4:5], 0, 1
	v_lshl_add_u64 v[16:17], v[8:9], 0, s[20:21]
	v_cmp_eq_u64_e32 vcc, 0, v[16:17]
	s_waitcnt vmcnt(1)
	v_mov_b32_e32 v10, v12
	v_cndmask_b32_e32 v9, v17, v9, vcc
	v_cndmask_b32_e32 v8, v16, v8, vcc
	v_and_b32_e32 v5, v9, v5
	v_and_b32_e32 v4, v8, v4
	v_mul_lo_u32 v5, v5, 24
	v_mul_hi_u32 v11, v4, 24
	v_mul_lo_u32 v4, v4, 24
	v_add_u32_e32 v5, v11, v5
	s_waitcnt vmcnt(0)
	v_lshl_add_u64 v[4:5], v[14:15], 0, v[4:5]
	global_store_dwordx2 v[4:5], v[12:13], off
	v_mov_b32_e32 v11, v13
	buffer_wbl2 sc0 sc1
	s_waitcnt vmcnt(0)
	global_atomic_cmpswap_x2 v[10:11], v33, v[8:11], s[2:3] offset:24 sc0 sc1
	s_waitcnt vmcnt(0)
	v_cmp_ne_u64_e32 vcc, v[10:11], v[12:13]
	s_and_b64 exec, exec, vcc
	s_cbranch_execz .LBB7_301
; %bb.381:                              ;   in Loop: Header=BB7_302 Depth=1
	s_mov_b64 s[0:1], 0
.LBB7_382:                              ;   Parent Loop BB7_302 Depth=1
                                        ; =>  This Inner Loop Header: Depth=2
	s_sleep 1
	global_store_dwordx2 v[4:5], v[10:11], off
	buffer_wbl2 sc0 sc1
	s_waitcnt vmcnt(0)
	global_atomic_cmpswap_x2 v[12:13], v33, v[8:11], s[2:3] offset:24 sc0 sc1
	s_waitcnt vmcnt(0)
	v_cmp_eq_u64_e32 vcc, v[12:13], v[10:11]
	s_or_b64 s[0:1], vcc, s[0:1]
	v_mov_b64_e32 v[10:11], v[12:13]
	s_andn2_b64 exec, exec, s[0:1]
	s_cbranch_execnz .LBB7_382
	s_branch .LBB7_301
.LBB7_383:
	s_branch .LBB7_411
.LBB7_384:
                                        ; implicit-def: $vgpr2_vgpr3
	s_cbranch_execz .LBB7_411
; %bb.385:
	v_readfirstlane_b32 s0, v36
	s_waitcnt vmcnt(0)
	v_mov_b64_e32 v[2:3], 0
	v_cmp_eq_u32_e64 s[0:1], s0, v36
	s_and_saveexec_b64 s[10:11], s[0:1]
	s_cbranch_execz .LBB7_391
; %bb.386:
	v_mov_b32_e32 v4, 0
	global_load_dwordx2 v[8:9], v4, s[2:3] offset:24 sc0 sc1
	s_waitcnt vmcnt(0)
	buffer_inv sc0 sc1
	global_load_dwordx2 v[2:3], v4, s[2:3] offset:40
	global_load_dwordx2 v[6:7], v4, s[2:3]
	s_waitcnt vmcnt(1)
	v_and_b32_e32 v2, v2, v8
	v_and_b32_e32 v3, v3, v9
	v_mul_lo_u32 v3, v3, 24
	v_mul_hi_u32 v5, v2, 24
	v_add_u32_e32 v3, v5, v3
	v_mul_lo_u32 v2, v2, 24
	s_waitcnt vmcnt(0)
	v_lshl_add_u64 v[2:3], v[6:7], 0, v[2:3]
	global_load_dwordx2 v[6:7], v[2:3], off sc0 sc1
	s_waitcnt vmcnt(0)
	global_atomic_cmpswap_x2 v[2:3], v4, v[6:9], s[2:3] offset:24 sc0 sc1
	s_waitcnt vmcnt(0)
	buffer_inv sc0 sc1
	v_cmp_ne_u64_e32 vcc, v[2:3], v[8:9]
	s_and_saveexec_b64 s[16:17], vcc
	s_cbranch_execz .LBB7_390
; %bb.387:
	s_mov_b64 s[18:19], 0
.LBB7_388:                              ; =>This Inner Loop Header: Depth=1
	s_sleep 1
	global_load_dwordx2 v[6:7], v4, s[2:3] offset:40
	global_load_dwordx2 v[10:11], v4, s[2:3]
	v_mov_b64_e32 v[8:9], v[2:3]
	s_waitcnt vmcnt(1)
	v_and_b32_e32 v2, v6, v8
	s_waitcnt vmcnt(0)
	v_mad_u64_u32 v[2:3], s[20:21], v2, 24, v[10:11]
	v_and_b32_e32 v5, v7, v9
	v_mov_b32_e32 v6, v3
	v_mad_u64_u32 v[6:7], s[20:21], v5, 24, v[6:7]
	v_mov_b32_e32 v3, v6
	global_load_dwordx2 v[6:7], v[2:3], off sc0 sc1
	s_waitcnt vmcnt(0)
	global_atomic_cmpswap_x2 v[2:3], v4, v[6:9], s[2:3] offset:24 sc0 sc1
	s_waitcnt vmcnt(0)
	buffer_inv sc0 sc1
	v_cmp_eq_u64_e32 vcc, v[2:3], v[8:9]
	s_or_b64 s[18:19], vcc, s[18:19]
	s_andn2_b64 exec, exec, s[18:19]
	s_cbranch_execnz .LBB7_388
; %bb.389:
	s_or_b64 exec, exec, s[18:19]
.LBB7_390:
	s_or_b64 exec, exec, s[16:17]
.LBB7_391:
	s_or_b64 exec, exec, s[10:11]
	v_mov_b32_e32 v29, 0
	global_load_dwordx2 v[8:9], v29, s[2:3] offset:40
	global_load_dwordx4 v[4:7], v29, s[2:3]
	v_readfirstlane_b32 s10, v2
	v_readfirstlane_b32 s11, v3
	s_mov_b64 s[16:17], exec
	s_waitcnt vmcnt(1)
	v_readfirstlane_b32 s18, v8
	v_readfirstlane_b32 s19, v9
	s_and_b64 s[18:19], s[10:11], s[18:19]
	s_mul_i32 s15, s19, 24
	s_mul_hi_u32 s20, s18, 24
	s_add_i32 s21, s20, s15
	s_mul_i32 s20, s18, 24
	s_waitcnt vmcnt(0)
	v_lshl_add_u64 v[8:9], v[4:5], 0, s[20:21]
	s_and_saveexec_b64 s[20:21], s[0:1]
	s_cbranch_execz .LBB7_393
; %bb.392:
	v_mov_b64_e32 v[10:11], s[16:17]
	v_mov_b32_e32 v12, 2
	v_mov_b32_e32 v13, 1
	global_store_dwordx4 v[8:9], v[10:13], off offset:8
.LBB7_393:
	s_or_b64 exec, exec, s[20:21]
	s_lshl_b64 s[16:17], s[18:19], 12
	v_lshl_add_u64 v[6:7], v[6:7], 0, s[16:17]
	s_movk_i32 s15, 0xff1f
	s_mov_b32 s16, 0
	v_and_or_b32 v0, v0, s15, 32
	v_mov_b32_e32 v2, v29
	v_mov_b32_e32 v3, v29
	v_readfirstlane_b32 s20, v6
	v_readfirstlane_b32 s21, v7
	s_mov_b32 s17, s16
	s_mov_b32 s18, s16
	s_mov_b32 s19, s16
	s_nop 1
	global_store_dwordx4 v28, v[0:3], s[20:21]
	s_nop 1
	v_mov_b64_e32 v[0:1], s[16:17]
	v_mov_b64_e32 v[2:3], s[18:19]
	global_store_dwordx4 v28, v[0:3], s[20:21] offset:16
	global_store_dwordx4 v28, v[0:3], s[20:21] offset:32
	;; [unrolled: 1-line block ×3, first 2 shown]
	s_and_saveexec_b64 s[16:17], s[0:1]
	s_cbranch_execz .LBB7_401
; %bb.394:
	v_mov_b32_e32 v10, 0
	global_load_dwordx2 v[14:15], v10, s[2:3] offset:32 sc0 sc1
	global_load_dwordx2 v[0:1], v10, s[2:3] offset:40
	v_mov_b32_e32 v12, s10
	v_mov_b32_e32 v13, s11
	s_waitcnt vmcnt(0)
	v_readfirstlane_b32 s18, v0
	v_readfirstlane_b32 s19, v1
	s_and_b64 s[18:19], s[18:19], s[10:11]
	s_mul_i32 s15, s19, 24
	s_mul_hi_u32 s19, s18, 24
	s_mul_i32 s18, s18, 24
	s_add_i32 s19, s19, s15
	v_lshl_add_u64 v[4:5], v[4:5], 0, s[18:19]
	global_store_dwordx2 v[4:5], v[14:15], off
	buffer_wbl2 sc0 sc1
	s_waitcnt vmcnt(0)
	global_atomic_cmpswap_x2 v[2:3], v10, v[12:15], s[2:3] offset:32 sc0 sc1
	s_waitcnt vmcnt(0)
	v_cmp_ne_u64_e32 vcc, v[2:3], v[14:15]
	s_and_saveexec_b64 s[18:19], vcc
	s_cbranch_execz .LBB7_397
; %bb.395:
	s_mov_b64 s[20:21], 0
.LBB7_396:                              ; =>This Inner Loop Header: Depth=1
	s_sleep 1
	global_store_dwordx2 v[4:5], v[2:3], off
	v_mov_b32_e32 v0, s10
	v_mov_b32_e32 v1, s11
	buffer_wbl2 sc0 sc1
	s_waitcnt vmcnt(0)
	global_atomic_cmpswap_x2 v[0:1], v10, v[0:3], s[2:3] offset:32 sc0 sc1
	s_waitcnt vmcnt(0)
	v_cmp_eq_u64_e32 vcc, v[0:1], v[2:3]
	s_or_b64 s[20:21], vcc, s[20:21]
	v_mov_b64_e32 v[2:3], v[0:1]
	s_andn2_b64 exec, exec, s[20:21]
	s_cbranch_execnz .LBB7_396
.LBB7_397:
	s_or_b64 exec, exec, s[18:19]
	v_mov_b32_e32 v3, 0
	global_load_dwordx2 v[0:1], v3, s[2:3] offset:16
	s_mov_b64 s[18:19], exec
	v_mbcnt_lo_u32_b32 v2, s18, 0
	v_mbcnt_hi_u32_b32 v2, s19, v2
	v_cmp_eq_u32_e32 vcc, 0, v2
	s_and_saveexec_b64 s[20:21], vcc
	s_cbranch_execz .LBB7_399
; %bb.398:
	s_bcnt1_i32_b64 s15, s[18:19]
	v_mov_b32_e32 v2, s15
	buffer_wbl2 sc0 sc1
	s_waitcnt vmcnt(0)
	global_atomic_add_x2 v[0:1], v[2:3], off offset:8 sc1
.LBB7_399:
	s_or_b64 exec, exec, s[20:21]
	s_waitcnt vmcnt(0)
	global_load_dwordx2 v[2:3], v[0:1], off offset:16
	s_waitcnt vmcnt(0)
	v_cmp_eq_u64_e32 vcc, 0, v[2:3]
	s_cbranch_vccnz .LBB7_401
; %bb.400:
	global_load_dword v0, v[0:1], off offset:24
	v_mov_b32_e32 v1, 0
	buffer_wbl2 sc0 sc1
	s_waitcnt vmcnt(0)
	global_store_dwordx2 v[2:3], v[0:1], off sc0 sc1
	v_and_b32_e32 v0, 0xffffff, v0
	s_nop 0
	v_readfirstlane_b32 m0, v0
	s_sendmsg sendmsg(MSG_INTERRUPT)
.LBB7_401:
	s_or_b64 exec, exec, s[16:17]
	v_lshl_add_u64 v[0:1], v[6:7], 0, v[28:29]
	s_branch .LBB7_405
.LBB7_402:                              ;   in Loop: Header=BB7_405 Depth=1
	s_or_b64 exec, exec, s[16:17]
	v_readfirstlane_b32 s15, v2
	s_cmp_eq_u32 s15, 0
	s_cbranch_scc1 .LBB7_404
; %bb.403:                              ;   in Loop: Header=BB7_405 Depth=1
	s_sleep 1
	s_cbranch_execnz .LBB7_405
	s_branch .LBB7_407
.LBB7_404:
	s_branch .LBB7_407
.LBB7_405:                              ; =>This Inner Loop Header: Depth=1
	v_mov_b32_e32 v2, 1
	s_and_saveexec_b64 s[16:17], s[0:1]
	s_cbranch_execz .LBB7_402
; %bb.406:                              ;   in Loop: Header=BB7_405 Depth=1
	global_load_dword v2, v[8:9], off offset:20 sc0 sc1
	s_waitcnt vmcnt(0)
	buffer_inv sc0 sc1
	v_and_b32_e32 v2, 1, v2
	s_branch .LBB7_402
.LBB7_407:
	global_load_dwordx2 v[2:3], v[0:1], off
	s_and_saveexec_b64 s[16:17], s[0:1]
	s_cbranch_execz .LBB7_410
; %bb.408:
	v_mov_b32_e32 v8, 0
	global_load_dwordx2 v[0:1], v8, s[2:3] offset:40
	global_load_dwordx2 v[10:11], v8, s[2:3] offset:24 sc0 sc1
	global_load_dwordx2 v[12:13], v8, s[2:3]
	s_mov_b64 s[0:1], 0
	s_waitcnt vmcnt(2)
	v_lshl_add_u64 v[4:5], v[0:1], 0, 1
	v_lshl_add_u64 v[14:15], v[4:5], 0, s[10:11]
	v_cmp_eq_u64_e32 vcc, 0, v[14:15]
	s_waitcnt vmcnt(1)
	v_mov_b32_e32 v6, v10
	v_cndmask_b32_e32 v5, v15, v5, vcc
	v_cndmask_b32_e32 v4, v14, v4, vcc
	v_and_b32_e32 v1, v5, v1
	v_and_b32_e32 v0, v4, v0
	v_mul_lo_u32 v1, v1, 24
	v_mul_hi_u32 v7, v0, 24
	v_mul_lo_u32 v0, v0, 24
	v_add_u32_e32 v1, v7, v1
	s_waitcnt vmcnt(0)
	v_lshl_add_u64 v[0:1], v[12:13], 0, v[0:1]
	global_store_dwordx2 v[0:1], v[10:11], off
	v_mov_b32_e32 v7, v11
	buffer_wbl2 sc0 sc1
	s_waitcnt vmcnt(0)
	global_atomic_cmpswap_x2 v[6:7], v8, v[4:7], s[2:3] offset:24 sc0 sc1
	s_waitcnt vmcnt(0)
	v_cmp_ne_u64_e32 vcc, v[6:7], v[10:11]
	s_and_b64 exec, exec, vcc
	s_cbranch_execz .LBB7_410
.LBB7_409:                              ; =>This Inner Loop Header: Depth=1
	s_sleep 1
	global_store_dwordx2 v[0:1], v[6:7], off
	buffer_wbl2 sc0 sc1
	s_waitcnt vmcnt(0)
	global_atomic_cmpswap_x2 v[10:11], v8, v[4:7], s[2:3] offset:24 sc0 sc1
	s_waitcnt vmcnt(0)
	v_cmp_eq_u64_e32 vcc, v[10:11], v[6:7]
	s_or_b64 s[0:1], vcc, s[0:1]
	v_mov_b64_e32 v[6:7], v[10:11]
	s_andn2_b64 exec, exec, s[0:1]
	s_cbranch_execnz .LBB7_409
.LBB7_410:
	s_or_b64 exec, exec, s[16:17]
.LBB7_411:
	v_readfirstlane_b32 s0, v36
	s_waitcnt vmcnt(0)
	v_mov_b64_e32 v[0:1], 0
	v_cmp_eq_u32_e64 s[0:1], s0, v36
	s_and_saveexec_b64 s[10:11], s[0:1]
	s_cbranch_execz .LBB7_417
; %bb.412:
	v_mov_b32_e32 v4, 0
	global_load_dwordx2 v[8:9], v4, s[2:3] offset:24 sc0 sc1
	s_waitcnt vmcnt(0)
	buffer_inv sc0 sc1
	global_load_dwordx2 v[0:1], v4, s[2:3] offset:40
	global_load_dwordx2 v[6:7], v4, s[2:3]
	s_waitcnt vmcnt(1)
	v_and_b32_e32 v0, v0, v8
	v_and_b32_e32 v1, v1, v9
	v_mul_lo_u32 v1, v1, 24
	v_mul_hi_u32 v5, v0, 24
	v_add_u32_e32 v1, v5, v1
	v_mul_lo_u32 v0, v0, 24
	s_waitcnt vmcnt(0)
	v_lshl_add_u64 v[0:1], v[6:7], 0, v[0:1]
	global_load_dwordx2 v[6:7], v[0:1], off sc0 sc1
	s_waitcnt vmcnt(0)
	global_atomic_cmpswap_x2 v[0:1], v4, v[6:9], s[2:3] offset:24 sc0 sc1
	s_waitcnt vmcnt(0)
	buffer_inv sc0 sc1
	v_cmp_ne_u64_e32 vcc, v[0:1], v[8:9]
	s_and_saveexec_b64 s[16:17], vcc
	s_cbranch_execz .LBB7_416
; %bb.413:
	s_mov_b64 s[18:19], 0
.LBB7_414:                              ; =>This Inner Loop Header: Depth=1
	s_sleep 1
	global_load_dwordx2 v[6:7], v4, s[2:3] offset:40
	global_load_dwordx2 v[10:11], v4, s[2:3]
	v_mov_b64_e32 v[8:9], v[0:1]
	s_waitcnt vmcnt(1)
	v_and_b32_e32 v0, v6, v8
	s_waitcnt vmcnt(0)
	v_mad_u64_u32 v[0:1], s[20:21], v0, 24, v[10:11]
	v_and_b32_e32 v5, v7, v9
	v_mov_b32_e32 v6, v1
	v_mad_u64_u32 v[6:7], s[20:21], v5, 24, v[6:7]
	v_mov_b32_e32 v1, v6
	global_load_dwordx2 v[6:7], v[0:1], off sc0 sc1
	s_waitcnt vmcnt(0)
	global_atomic_cmpswap_x2 v[0:1], v4, v[6:9], s[2:3] offset:24 sc0 sc1
	s_waitcnt vmcnt(0)
	buffer_inv sc0 sc1
	v_cmp_eq_u64_e32 vcc, v[0:1], v[8:9]
	s_or_b64 s[18:19], vcc, s[18:19]
	s_andn2_b64 exec, exec, s[18:19]
	s_cbranch_execnz .LBB7_414
; %bb.415:
	s_or_b64 exec, exec, s[18:19]
.LBB7_416:
	s_or_b64 exec, exec, s[16:17]
.LBB7_417:
	s_or_b64 exec, exec, s[10:11]
	v_mov_b32_e32 v5, 0
	global_load_dwordx2 v[10:11], v5, s[2:3] offset:40
	global_load_dwordx4 v[6:9], v5, s[2:3]
	v_readfirstlane_b32 s10, v0
	v_readfirstlane_b32 s11, v1
	s_mov_b64 s[16:17], exec
	s_waitcnt vmcnt(1)
	v_readfirstlane_b32 s18, v10
	v_readfirstlane_b32 s19, v11
	s_and_b64 s[18:19], s[10:11], s[18:19]
	s_mul_i32 s15, s19, 24
	s_mul_hi_u32 s20, s18, 24
	s_add_i32 s21, s20, s15
	s_mul_i32 s20, s18, 24
	s_waitcnt vmcnt(0)
	v_lshl_add_u64 v[10:11], v[6:7], 0, s[20:21]
	s_and_saveexec_b64 s[20:21], s[0:1]
	s_cbranch_execz .LBB7_419
; %bb.418:
	v_mov_b64_e32 v[12:13], s[16:17]
	v_mov_b32_e32 v14, 2
	v_mov_b32_e32 v15, 1
	global_store_dwordx4 v[10:11], v[12:15], off offset:8
.LBB7_419:
	s_or_b64 exec, exec, s[20:21]
	s_lshl_b64 s[16:17], s[18:19], 12
	v_lshl_add_u64 v[0:1], v[8:9], 0, s[16:17]
	s_movk_i32 s15, 0xff1d
	s_mov_b32 s16, 0
	v_and_or_b32 v2, v2, s15, 34
	v_mov_b32_e32 v4, 10
	v_readfirstlane_b32 s20, v0
	v_readfirstlane_b32 s21, v1
	s_mov_b32 s17, s16
	s_mov_b32 s18, s16
	;; [unrolled: 1-line block ×3, first 2 shown]
	s_nop 1
	global_store_dwordx4 v28, v[2:5], s[20:21]
	v_mov_b64_e32 v[0:1], s[16:17]
	s_nop 0
	v_mov_b64_e32 v[2:3], s[18:19]
	global_store_dwordx4 v28, v[0:3], s[20:21] offset:16
	global_store_dwordx4 v28, v[0:3], s[20:21] offset:32
	;; [unrolled: 1-line block ×3, first 2 shown]
	s_and_saveexec_b64 s[16:17], s[0:1]
	s_cbranch_execz .LBB7_427
; %bb.420:
	v_mov_b32_e32 v8, 0
	global_load_dwordx2 v[14:15], v8, s[2:3] offset:32 sc0 sc1
	global_load_dwordx2 v[0:1], v8, s[2:3] offset:40
	v_mov_b32_e32 v12, s10
	v_mov_b32_e32 v13, s11
	s_waitcnt vmcnt(0)
	v_readfirstlane_b32 s18, v0
	v_readfirstlane_b32 s19, v1
	s_and_b64 s[18:19], s[18:19], s[10:11]
	s_mul_i32 s15, s19, 24
	s_mul_hi_u32 s19, s18, 24
	s_mul_i32 s18, s18, 24
	s_add_i32 s19, s19, s15
	v_lshl_add_u64 v[4:5], v[6:7], 0, s[18:19]
	global_store_dwordx2 v[4:5], v[14:15], off
	buffer_wbl2 sc0 sc1
	s_waitcnt vmcnt(0)
	global_atomic_cmpswap_x2 v[2:3], v8, v[12:15], s[2:3] offset:32 sc0 sc1
	s_waitcnt vmcnt(0)
	v_cmp_ne_u64_e32 vcc, v[2:3], v[14:15]
	s_and_saveexec_b64 s[18:19], vcc
	s_cbranch_execz .LBB7_423
; %bb.421:
	s_mov_b64 s[20:21], 0
.LBB7_422:                              ; =>This Inner Loop Header: Depth=1
	s_sleep 1
	global_store_dwordx2 v[4:5], v[2:3], off
	v_mov_b32_e32 v0, s10
	v_mov_b32_e32 v1, s11
	buffer_wbl2 sc0 sc1
	s_waitcnt vmcnt(0)
	global_atomic_cmpswap_x2 v[0:1], v8, v[0:3], s[2:3] offset:32 sc0 sc1
	s_waitcnt vmcnt(0)
	v_cmp_eq_u64_e32 vcc, v[0:1], v[2:3]
	s_or_b64 s[20:21], vcc, s[20:21]
	v_mov_b64_e32 v[2:3], v[0:1]
	s_andn2_b64 exec, exec, s[20:21]
	s_cbranch_execnz .LBB7_422
.LBB7_423:
	s_or_b64 exec, exec, s[18:19]
	v_mov_b32_e32 v3, 0
	global_load_dwordx2 v[0:1], v3, s[2:3] offset:16
	s_mov_b64 s[18:19], exec
	v_mbcnt_lo_u32_b32 v2, s18, 0
	v_mbcnt_hi_u32_b32 v2, s19, v2
	v_cmp_eq_u32_e32 vcc, 0, v2
	s_and_saveexec_b64 s[20:21], vcc
	s_cbranch_execz .LBB7_425
; %bb.424:
	s_bcnt1_i32_b64 s15, s[18:19]
	v_mov_b32_e32 v2, s15
	buffer_wbl2 sc0 sc1
	s_waitcnt vmcnt(0)
	global_atomic_add_x2 v[0:1], v[2:3], off offset:8 sc1
.LBB7_425:
	s_or_b64 exec, exec, s[20:21]
	s_waitcnt vmcnt(0)
	global_load_dwordx2 v[2:3], v[0:1], off offset:16
	s_waitcnt vmcnt(0)
	v_cmp_eq_u64_e32 vcc, 0, v[2:3]
	s_cbranch_vccnz .LBB7_427
; %bb.426:
	global_load_dword v0, v[0:1], off offset:24
	v_mov_b32_e32 v1, 0
	buffer_wbl2 sc0 sc1
	s_waitcnt vmcnt(0)
	global_store_dwordx2 v[2:3], v[0:1], off sc0 sc1
	v_and_b32_e32 v0, 0xffffff, v0
	s_nop 0
	v_readfirstlane_b32 m0, v0
	s_sendmsg sendmsg(MSG_INTERRUPT)
.LBB7_427:
	s_or_b64 exec, exec, s[16:17]
	s_branch .LBB7_431
.LBB7_428:                              ;   in Loop: Header=BB7_431 Depth=1
	s_or_b64 exec, exec, s[16:17]
	v_readfirstlane_b32 s15, v0
	s_cmp_eq_u32 s15, 0
	s_cbranch_scc1 .LBB7_430
; %bb.429:                              ;   in Loop: Header=BB7_431 Depth=1
	s_sleep 1
	s_cbranch_execnz .LBB7_431
	s_branch .LBB7_433
.LBB7_430:
	s_branch .LBB7_433
.LBB7_431:                              ; =>This Inner Loop Header: Depth=1
	v_mov_b32_e32 v0, 1
	s_and_saveexec_b64 s[16:17], s[0:1]
	s_cbranch_execz .LBB7_428
; %bb.432:                              ;   in Loop: Header=BB7_431 Depth=1
	global_load_dword v0, v[10:11], off offset:20 sc0 sc1
	s_waitcnt vmcnt(0)
	buffer_inv sc0 sc1
	v_and_b32_e32 v0, 1, v0
	s_branch .LBB7_428
.LBB7_433:
	s_and_saveexec_b64 s[16:17], s[0:1]
	s_cbranch_execz .LBB7_436
; %bb.434:
	v_mov_b32_e32 v6, 0
	global_load_dwordx2 v[4:5], v6, s[2:3] offset:40
	global_load_dwordx2 v[8:9], v6, s[2:3] offset:24 sc0 sc1
	global_load_dwordx2 v[10:11], v6, s[2:3]
	s_mov_b64 s[0:1], 0
	s_waitcnt vmcnt(2)
	v_lshl_add_u64 v[0:1], v[4:5], 0, 1
	v_lshl_add_u64 v[12:13], v[0:1], 0, s[10:11]
	v_cmp_eq_u64_e32 vcc, 0, v[12:13]
	s_waitcnt vmcnt(1)
	v_mov_b32_e32 v2, v8
	v_cndmask_b32_e32 v1, v13, v1, vcc
	v_cndmask_b32_e32 v0, v12, v0, vcc
	v_and_b32_e32 v3, v1, v5
	v_and_b32_e32 v4, v0, v4
	v_mul_lo_u32 v3, v3, 24
	v_mul_hi_u32 v5, v4, 24
	v_mul_lo_u32 v4, v4, 24
	v_add_u32_e32 v5, v5, v3
	s_waitcnt vmcnt(0)
	v_lshl_add_u64 v[4:5], v[10:11], 0, v[4:5]
	global_store_dwordx2 v[4:5], v[8:9], off
	v_mov_b32_e32 v3, v9
	buffer_wbl2 sc0 sc1
	s_waitcnt vmcnt(0)
	global_atomic_cmpswap_x2 v[2:3], v6, v[0:3], s[2:3] offset:24 sc0 sc1
	s_waitcnt vmcnt(0)
	v_cmp_ne_u64_e32 vcc, v[2:3], v[8:9]
	s_and_b64 exec, exec, vcc
	s_cbranch_execz .LBB7_436
.LBB7_435:                              ; =>This Inner Loop Header: Depth=1
	s_sleep 1
	global_store_dwordx2 v[4:5], v[2:3], off
	buffer_wbl2 sc0 sc1
	s_waitcnt vmcnt(0)
	global_atomic_cmpswap_x2 v[8:9], v6, v[0:3], s[2:3] offset:24 sc0 sc1
	s_waitcnt vmcnt(0)
	v_cmp_eq_u64_e32 vcc, v[8:9], v[2:3]
	s_or_b64 s[0:1], vcc, s[0:1]
	v_mov_b64_e32 v[2:3], v[8:9]
	s_andn2_b64 exec, exec, s[0:1]
	s_cbranch_execnz .LBB7_435
.LBB7_436:
	s_or_b64 exec, exec, s[16:17]
	v_readfirstlane_b32 s0, v36
	v_mov_b64_e32 v[4:5], 0
	s_nop 0
	v_cmp_eq_u32_e64 s[0:1], s0, v36
	s_and_saveexec_b64 s[10:11], s[0:1]
	s_cbranch_execz .LBB7_442
; %bb.437:
	v_mov_b32_e32 v0, 0
	global_load_dwordx2 v[6:7], v0, s[2:3] offset:24 sc0 sc1
	s_waitcnt vmcnt(0)
	buffer_inv sc0 sc1
	global_load_dwordx2 v[2:3], v0, s[2:3] offset:40
	global_load_dwordx2 v[4:5], v0, s[2:3]
	s_waitcnt vmcnt(1)
	v_and_b32_e32 v1, v2, v6
	v_and_b32_e32 v2, v3, v7
	v_mul_lo_u32 v2, v2, 24
	v_mul_hi_u32 v3, v1, 24
	v_add_u32_e32 v3, v3, v2
	v_mul_lo_u32 v2, v1, 24
	s_waitcnt vmcnt(0)
	v_lshl_add_u64 v[2:3], v[4:5], 0, v[2:3]
	global_load_dwordx2 v[4:5], v[2:3], off sc0 sc1
	s_waitcnt vmcnt(0)
	global_atomic_cmpswap_x2 v[4:5], v0, v[4:7], s[2:3] offset:24 sc0 sc1
	s_waitcnt vmcnt(0)
	buffer_inv sc0 sc1
	v_cmp_ne_u64_e32 vcc, v[4:5], v[6:7]
	s_and_saveexec_b64 s[16:17], vcc
	s_cbranch_execz .LBB7_441
; %bb.438:
	s_mov_b64 s[18:19], 0
.LBB7_439:                              ; =>This Inner Loop Header: Depth=1
	s_sleep 1
	global_load_dwordx2 v[2:3], v0, s[2:3] offset:40
	global_load_dwordx2 v[8:9], v0, s[2:3]
	v_mov_b64_e32 v[6:7], v[4:5]
	s_waitcnt vmcnt(1)
	v_and_b32_e32 v2, v2, v6
	v_and_b32_e32 v1, v3, v7
	s_waitcnt vmcnt(0)
	v_mad_u64_u32 v[2:3], s[20:21], v2, 24, v[8:9]
	v_mov_b32_e32 v4, v3
	v_mad_u64_u32 v[4:5], s[20:21], v1, 24, v[4:5]
	v_mov_b32_e32 v3, v4
	global_load_dwordx2 v[4:5], v[2:3], off sc0 sc1
	s_waitcnt vmcnt(0)
	global_atomic_cmpswap_x2 v[4:5], v0, v[4:7], s[2:3] offset:24 sc0 sc1
	s_waitcnt vmcnt(0)
	buffer_inv sc0 sc1
	v_cmp_eq_u64_e32 vcc, v[4:5], v[6:7]
	s_or_b64 s[18:19], vcc, s[18:19]
	s_andn2_b64 exec, exec, s[18:19]
	s_cbranch_execnz .LBB7_439
; %bb.440:
	s_or_b64 exec, exec, s[18:19]
.LBB7_441:
	s_or_b64 exec, exec, s[16:17]
.LBB7_442:
	s_or_b64 exec, exec, s[10:11]
	v_mov_b32_e32 v29, 0
	global_load_dwordx2 v[6:7], v29, s[2:3] offset:40
	global_load_dwordx4 v[0:3], v29, s[2:3]
	v_readfirstlane_b32 s10, v4
	v_readfirstlane_b32 s11, v5
	s_mov_b64 s[16:17], exec
	s_waitcnt vmcnt(1)
	v_readfirstlane_b32 s18, v6
	v_readfirstlane_b32 s19, v7
	s_and_b64 s[18:19], s[10:11], s[18:19]
	s_mul_i32 s15, s19, 24
	s_mul_hi_u32 s20, s18, 24
	s_add_i32 s21, s20, s15
	s_mul_i32 s20, s18, 24
	s_waitcnt vmcnt(0)
	v_lshl_add_u64 v[4:5], v[0:1], 0, s[20:21]
	s_and_saveexec_b64 s[20:21], s[0:1]
	s_cbranch_execz .LBB7_444
; %bb.443:
	v_mov_b64_e32 v[6:7], s[16:17]
	v_mov_b32_e32 v8, 2
	v_mov_b32_e32 v9, 1
	global_store_dwordx4 v[4:5], v[6:9], off offset:8
.LBB7_444:
	s_or_b64 exec, exec, s[20:21]
	s_lshl_b64 s[16:17], s[18:19], 12
	v_lshl_add_u64 v[6:7], v[2:3], 0, s[16:17]
	s_mov_b32 s16, 0
	v_mov_b32_e32 v8, 33
	v_mov_b32_e32 v9, v29
	;; [unrolled: 1-line block ×4, first 2 shown]
	v_readfirstlane_b32 s20, v6
	v_readfirstlane_b32 s21, v7
	s_mov_b32 s17, s16
	s_mov_b32 s18, s16
	;; [unrolled: 1-line block ×3, first 2 shown]
	s_nop 1
	global_store_dwordx4 v28, v[8:11], s[20:21]
	s_nop 1
	v_mov_b64_e32 v[8:9], s[16:17]
	v_mov_b64_e32 v[10:11], s[18:19]
	global_store_dwordx4 v28, v[8:11], s[20:21] offset:16
	global_store_dwordx4 v28, v[8:11], s[20:21] offset:32
	;; [unrolled: 1-line block ×3, first 2 shown]
	s_and_saveexec_b64 s[16:17], s[0:1]
	s_cbranch_execz .LBB7_452
; %bb.445:
	v_mov_b32_e32 v10, 0
	global_load_dwordx2 v[14:15], v10, s[2:3] offset:32 sc0 sc1
	global_load_dwordx2 v[2:3], v10, s[2:3] offset:40
	v_mov_b32_e32 v12, s10
	v_mov_b32_e32 v13, s11
	s_waitcnt vmcnt(0)
	v_readfirstlane_b32 s18, v2
	v_readfirstlane_b32 s19, v3
	s_and_b64 s[18:19], s[18:19], s[10:11]
	s_mul_i32 s15, s19, 24
	s_mul_hi_u32 s19, s18, 24
	s_mul_i32 s18, s18, 24
	s_add_i32 s19, s19, s15
	v_lshl_add_u64 v[8:9], v[0:1], 0, s[18:19]
	global_store_dwordx2 v[8:9], v[14:15], off
	buffer_wbl2 sc0 sc1
	s_waitcnt vmcnt(0)
	global_atomic_cmpswap_x2 v[2:3], v10, v[12:15], s[2:3] offset:32 sc0 sc1
	s_waitcnt vmcnt(0)
	v_cmp_ne_u64_e32 vcc, v[2:3], v[14:15]
	s_and_saveexec_b64 s[18:19], vcc
	s_cbranch_execz .LBB7_448
; %bb.446:
	s_mov_b64 s[20:21], 0
.LBB7_447:                              ; =>This Inner Loop Header: Depth=1
	s_sleep 1
	global_store_dwordx2 v[8:9], v[2:3], off
	v_mov_b32_e32 v0, s10
	v_mov_b32_e32 v1, s11
	buffer_wbl2 sc0 sc1
	s_waitcnt vmcnt(0)
	global_atomic_cmpswap_x2 v[0:1], v10, v[0:3], s[2:3] offset:32 sc0 sc1
	s_waitcnt vmcnt(0)
	v_cmp_eq_u64_e32 vcc, v[0:1], v[2:3]
	s_or_b64 s[20:21], vcc, s[20:21]
	v_mov_b64_e32 v[2:3], v[0:1]
	s_andn2_b64 exec, exec, s[20:21]
	s_cbranch_execnz .LBB7_447
.LBB7_448:
	s_or_b64 exec, exec, s[18:19]
	v_mov_b32_e32 v3, 0
	global_load_dwordx2 v[0:1], v3, s[2:3] offset:16
	s_mov_b64 s[18:19], exec
	v_mbcnt_lo_u32_b32 v2, s18, 0
	v_mbcnt_hi_u32_b32 v2, s19, v2
	v_cmp_eq_u32_e32 vcc, 0, v2
	s_and_saveexec_b64 s[20:21], vcc
	s_cbranch_execz .LBB7_450
; %bb.449:
	s_bcnt1_i32_b64 s15, s[18:19]
	v_mov_b32_e32 v2, s15
	buffer_wbl2 sc0 sc1
	s_waitcnt vmcnt(0)
	global_atomic_add_x2 v[0:1], v[2:3], off offset:8 sc1
.LBB7_450:
	s_or_b64 exec, exec, s[20:21]
	s_waitcnt vmcnt(0)
	global_load_dwordx2 v[2:3], v[0:1], off offset:16
	s_waitcnt vmcnt(0)
	v_cmp_eq_u64_e32 vcc, 0, v[2:3]
	s_cbranch_vccnz .LBB7_452
; %bb.451:
	global_load_dword v0, v[0:1], off offset:24
	v_mov_b32_e32 v1, 0
	buffer_wbl2 sc0 sc1
	s_waitcnt vmcnt(0)
	global_store_dwordx2 v[2:3], v[0:1], off sc0 sc1
	v_and_b32_e32 v0, 0xffffff, v0
	s_nop 0
	v_readfirstlane_b32 m0, v0
	s_sendmsg sendmsg(MSG_INTERRUPT)
.LBB7_452:
	s_or_b64 exec, exec, s[16:17]
	v_lshl_add_u64 v[0:1], v[6:7], 0, v[28:29]
	s_branch .LBB7_456
.LBB7_453:                              ;   in Loop: Header=BB7_456 Depth=1
	s_or_b64 exec, exec, s[16:17]
	v_readfirstlane_b32 s15, v2
	s_cmp_eq_u32 s15, 0
	s_cbranch_scc1 .LBB7_455
; %bb.454:                              ;   in Loop: Header=BB7_456 Depth=1
	s_sleep 1
	s_cbranch_execnz .LBB7_456
	s_branch .LBB7_458
.LBB7_455:
	s_branch .LBB7_458
.LBB7_456:                              ; =>This Inner Loop Header: Depth=1
	v_mov_b32_e32 v2, 1
	s_and_saveexec_b64 s[16:17], s[0:1]
	s_cbranch_execz .LBB7_453
; %bb.457:                              ;   in Loop: Header=BB7_456 Depth=1
	global_load_dword v2, v[4:5], off offset:20 sc0 sc1
	s_waitcnt vmcnt(0)
	buffer_inv sc0 sc1
	v_and_b32_e32 v2, 1, v2
	s_branch .LBB7_453
.LBB7_458:
	global_load_dwordx2 v[4:5], v[0:1], off
	s_and_saveexec_b64 s[16:17], s[0:1]
	s_cbranch_execz .LBB7_461
; %bb.459:
	v_mov_b32_e32 v8, 0
	global_load_dwordx2 v[6:7], v8, s[2:3] offset:40
	global_load_dwordx2 v[10:11], v8, s[2:3] offset:24 sc0 sc1
	global_load_dwordx2 v[12:13], v8, s[2:3]
	s_mov_b64 s[0:1], 0
	s_waitcnt vmcnt(2)
	v_lshl_add_u64 v[0:1], v[6:7], 0, 1
	v_lshl_add_u64 v[14:15], v[0:1], 0, s[10:11]
	v_cmp_eq_u64_e32 vcc, 0, v[14:15]
	s_waitcnt vmcnt(1)
	v_mov_b32_e32 v2, v10
	v_cndmask_b32_e32 v1, v15, v1, vcc
	v_cndmask_b32_e32 v0, v14, v0, vcc
	v_and_b32_e32 v3, v1, v7
	v_and_b32_e32 v6, v0, v6
	v_mul_lo_u32 v3, v3, 24
	v_mul_hi_u32 v7, v6, 24
	v_mul_lo_u32 v6, v6, 24
	v_add_u32_e32 v7, v7, v3
	s_waitcnt vmcnt(0)
	v_lshl_add_u64 v[6:7], v[12:13], 0, v[6:7]
	global_store_dwordx2 v[6:7], v[10:11], off
	v_mov_b32_e32 v3, v11
	buffer_wbl2 sc0 sc1
	s_waitcnt vmcnt(0)
	global_atomic_cmpswap_x2 v[2:3], v8, v[0:3], s[2:3] offset:24 sc0 sc1
	s_waitcnt vmcnt(0)
	v_cmp_ne_u64_e32 vcc, v[2:3], v[10:11]
	s_and_b64 exec, exec, vcc
	s_cbranch_execz .LBB7_461
.LBB7_460:                              ; =>This Inner Loop Header: Depth=1
	s_sleep 1
	global_store_dwordx2 v[6:7], v[2:3], off
	buffer_wbl2 sc0 sc1
	s_waitcnt vmcnt(0)
	global_atomic_cmpswap_x2 v[10:11], v8, v[0:3], s[2:3] offset:24 sc0 sc1
	s_waitcnt vmcnt(0)
	v_cmp_eq_u64_e32 vcc, v[10:11], v[2:3]
	s_or_b64 s[0:1], vcc, s[0:1]
	v_mov_b64_e32 v[2:3], v[10:11]
	s_andn2_b64 exec, exec, s[0:1]
	s_cbranch_execnz .LBB7_460
.LBB7_461:
	s_or_b64 exec, exec, s[16:17]
	s_and_b64 vcc, exec, s[4:5]
	s_cbranch_vccz .LBB7_546
; %bb.462:
	s_waitcnt vmcnt(0)
	v_and_b32_e32 v26, 2, v4
	v_mov_b32_e32 v31, 0
	v_and_b32_e32 v0, -3, v4
	v_mov_b32_e32 v1, v5
	s_mov_b64 s[16:17], 3
	v_mov_b32_e32 v8, 2
	v_mov_b32_e32 v9, 1
	s_getpc_b64 s[10:11]
	s_add_u32 s10, s10, .str.5@rel32@lo+4
	s_addc_u32 s11, s11, .str.5@rel32@hi+12
	s_branch .LBB7_464
.LBB7_463:                              ;   in Loop: Header=BB7_464 Depth=1
	s_or_b64 exec, exec, s[22:23]
	s_sub_u32 s16, s16, s18
	s_subb_u32 s17, s17, s19
	s_add_u32 s10, s10, s18
	s_addc_u32 s11, s11, s19
	s_cmp_lg_u64 s[16:17], 0
	s_cbranch_scc0 .LBB7_545
.LBB7_464:                              ; =>This Loop Header: Depth=1
                                        ;     Child Loop BB7_467 Depth 2
                                        ;     Child Loop BB7_474 Depth 2
	;; [unrolled: 1-line block ×11, first 2 shown]
	v_cmp_lt_u64_e64 s[0:1], s[16:17], 56
	s_and_b64 s[0:1], s[0:1], exec
	v_cmp_gt_u64_e64 s[0:1], s[16:17], 7
	s_cselect_b32 s19, s17, 0
	s_cselect_b32 s18, s16, 56
	s_and_b64 vcc, exec, s[0:1]
	s_cbranch_vccnz .LBB7_469
; %bb.465:                              ;   in Loop: Header=BB7_464 Depth=1
	s_mov_b64 s[0:1], 0
	s_cmp_eq_u64 s[16:17], 0
	s_waitcnt vmcnt(0)
	v_mov_b64_e32 v[2:3], 0
	s_cbranch_scc1 .LBB7_468
; %bb.466:                              ;   in Loop: Header=BB7_464 Depth=1
	s_lshl_b64 s[20:21], s[18:19], 3
	s_mov_b64 s[22:23], 0
	v_mov_b64_e32 v[2:3], 0
	s_mov_b64 s[24:25], s[10:11]
.LBB7_467:                              ;   Parent Loop BB7_464 Depth=1
                                        ; =>  This Inner Loop Header: Depth=2
	global_load_ubyte v6, v31, s[24:25]
	s_waitcnt vmcnt(0)
	v_and_b32_e32 v30, 0xffff, v6
	v_lshlrev_b64 v[6:7], s22, v[30:31]
	s_add_u32 s22, s22, 8
	s_addc_u32 s23, s23, 0
	s_add_u32 s24, s24, 1
	s_addc_u32 s25, s25, 0
	v_or_b32_e32 v2, v6, v2
	s_cmp_lg_u32 s20, s22
	v_or_b32_e32 v3, v7, v3
	s_cbranch_scc1 .LBB7_467
.LBB7_468:                              ;   in Loop: Header=BB7_464 Depth=1
	s_mov_b32 s15, 0
	s_andn2_b64 vcc, exec, s[0:1]
	s_mov_b64 s[0:1], s[10:11]
	s_cbranch_vccz .LBB7_470
	s_branch .LBB7_471
.LBB7_469:                              ;   in Loop: Header=BB7_464 Depth=1
                                        ; implicit-def: $vgpr2_vgpr3
                                        ; implicit-def: $sgpr15
	s_mov_b64 s[0:1], s[10:11]
.LBB7_470:                              ;   in Loop: Header=BB7_464 Depth=1
	global_load_dwordx2 v[2:3], v31, s[10:11]
	s_add_i32 s15, s18, -8
	s_add_u32 s0, s10, 8
	s_addc_u32 s1, s11, 0
.LBB7_471:                              ;   in Loop: Header=BB7_464 Depth=1
	s_cmp_gt_u32 s15, 7
	s_cbranch_scc1 .LBB7_475
; %bb.472:                              ;   in Loop: Header=BB7_464 Depth=1
	s_cmp_eq_u32 s15, 0
	s_cbranch_scc1 .LBB7_476
; %bb.473:                              ;   in Loop: Header=BB7_464 Depth=1
	s_mov_b64 s[20:21], 0
	v_mov_b64_e32 v[10:11], 0
	s_mov_b64 s[22:23], 0
.LBB7_474:                              ;   Parent Loop BB7_464 Depth=1
                                        ; =>  This Inner Loop Header: Depth=2
	s_add_u32 s24, s0, s22
	s_addc_u32 s25, s1, s23
	global_load_ubyte v6, v31, s[24:25]
	s_add_u32 s22, s22, 1
	s_addc_u32 s23, s23, 0
	s_waitcnt vmcnt(0)
	v_and_b32_e32 v30, 0xffff, v6
	v_lshlrev_b64 v[6:7], s20, v[30:31]
	s_add_u32 s20, s20, 8
	s_addc_u32 s21, s21, 0
	v_or_b32_e32 v10, v6, v10
	s_cmp_lg_u32 s15, s22
	v_or_b32_e32 v11, v7, v11
	s_cbranch_scc1 .LBB7_474
	s_branch .LBB7_477
.LBB7_475:                              ;   in Loop: Header=BB7_464 Depth=1
                                        ; implicit-def: $vgpr10_vgpr11
                                        ; implicit-def: $sgpr24
	s_branch .LBB7_478
.LBB7_476:                              ;   in Loop: Header=BB7_464 Depth=1
	v_mov_b64_e32 v[10:11], 0
.LBB7_477:                              ;   in Loop: Header=BB7_464 Depth=1
	s_mov_b32 s24, 0
	s_cbranch_execnz .LBB7_479
.LBB7_478:                              ;   in Loop: Header=BB7_464 Depth=1
	global_load_dwordx2 v[10:11], v31, s[0:1]
	s_add_i32 s24, s15, -8
	s_add_u32 s0, s0, 8
	s_addc_u32 s1, s1, 0
.LBB7_479:                              ;   in Loop: Header=BB7_464 Depth=1
	s_cmp_gt_u32 s24, 7
	s_cbranch_scc1 .LBB7_483
; %bb.480:                              ;   in Loop: Header=BB7_464 Depth=1
	s_cmp_eq_u32 s24, 0
	s_cbranch_scc1 .LBB7_484
; %bb.481:                              ;   in Loop: Header=BB7_464 Depth=1
	s_mov_b64 s[20:21], 0
	v_mov_b64_e32 v[12:13], 0
	s_mov_b64 s[22:23], 0
.LBB7_482:                              ;   Parent Loop BB7_464 Depth=1
                                        ; =>  This Inner Loop Header: Depth=2
	s_add_u32 s26, s0, s22
	s_addc_u32 s27, s1, s23
	global_load_ubyte v6, v31, s[26:27]
	s_add_u32 s22, s22, 1
	s_addc_u32 s23, s23, 0
	s_waitcnt vmcnt(0)
	v_and_b32_e32 v30, 0xffff, v6
	v_lshlrev_b64 v[6:7], s20, v[30:31]
	s_add_u32 s20, s20, 8
	s_addc_u32 s21, s21, 0
	v_or_b32_e32 v12, v6, v12
	s_cmp_lg_u32 s24, s22
	v_or_b32_e32 v13, v7, v13
	s_cbranch_scc1 .LBB7_482
	s_branch .LBB7_485
.LBB7_483:                              ;   in Loop: Header=BB7_464 Depth=1
                                        ; implicit-def: $sgpr15
	s_branch .LBB7_486
.LBB7_484:                              ;   in Loop: Header=BB7_464 Depth=1
	v_mov_b64_e32 v[12:13], 0
.LBB7_485:                              ;   in Loop: Header=BB7_464 Depth=1
	s_mov_b32 s15, 0
	s_cbranch_execnz .LBB7_487
.LBB7_486:                              ;   in Loop: Header=BB7_464 Depth=1
	global_load_dwordx2 v[12:13], v31, s[0:1]
	s_add_i32 s15, s24, -8
	s_add_u32 s0, s0, 8
	s_addc_u32 s1, s1, 0
.LBB7_487:                              ;   in Loop: Header=BB7_464 Depth=1
	s_cmp_gt_u32 s15, 7
	s_cbranch_scc1 .LBB7_491
; %bb.488:                              ;   in Loop: Header=BB7_464 Depth=1
	s_cmp_eq_u32 s15, 0
	s_cbranch_scc1 .LBB7_492
; %bb.489:                              ;   in Loop: Header=BB7_464 Depth=1
	s_mov_b64 s[20:21], 0
	v_mov_b64_e32 v[14:15], 0
	s_mov_b64 s[22:23], 0
.LBB7_490:                              ;   Parent Loop BB7_464 Depth=1
                                        ; =>  This Inner Loop Header: Depth=2
	s_add_u32 s24, s0, s22
	s_addc_u32 s25, s1, s23
	global_load_ubyte v6, v31, s[24:25]
	s_add_u32 s22, s22, 1
	s_addc_u32 s23, s23, 0
	s_waitcnt vmcnt(0)
	v_and_b32_e32 v30, 0xffff, v6
	v_lshlrev_b64 v[6:7], s20, v[30:31]
	s_add_u32 s20, s20, 8
	s_addc_u32 s21, s21, 0
	v_or_b32_e32 v14, v6, v14
	s_cmp_lg_u32 s15, s22
	v_or_b32_e32 v15, v7, v15
	s_cbranch_scc1 .LBB7_490
	s_branch .LBB7_493
.LBB7_491:                              ;   in Loop: Header=BB7_464 Depth=1
                                        ; implicit-def: $vgpr14_vgpr15
                                        ; implicit-def: $sgpr24
	s_branch .LBB7_494
.LBB7_492:                              ;   in Loop: Header=BB7_464 Depth=1
	v_mov_b64_e32 v[14:15], 0
.LBB7_493:                              ;   in Loop: Header=BB7_464 Depth=1
	s_mov_b32 s24, 0
	s_cbranch_execnz .LBB7_495
.LBB7_494:                              ;   in Loop: Header=BB7_464 Depth=1
	global_load_dwordx2 v[14:15], v31, s[0:1]
	s_add_i32 s24, s15, -8
	s_add_u32 s0, s0, 8
	s_addc_u32 s1, s1, 0
.LBB7_495:                              ;   in Loop: Header=BB7_464 Depth=1
	s_cmp_gt_u32 s24, 7
	s_cbranch_scc1 .LBB7_499
; %bb.496:                              ;   in Loop: Header=BB7_464 Depth=1
	s_cmp_eq_u32 s24, 0
	s_cbranch_scc1 .LBB7_500
; %bb.497:                              ;   in Loop: Header=BB7_464 Depth=1
	s_mov_b64 s[20:21], 0
	v_mov_b64_e32 v[16:17], 0
	s_mov_b64 s[22:23], 0
.LBB7_498:                              ;   Parent Loop BB7_464 Depth=1
                                        ; =>  This Inner Loop Header: Depth=2
	s_add_u32 s26, s0, s22
	s_addc_u32 s27, s1, s23
	global_load_ubyte v6, v31, s[26:27]
	s_add_u32 s22, s22, 1
	s_addc_u32 s23, s23, 0
	s_waitcnt vmcnt(0)
	v_and_b32_e32 v30, 0xffff, v6
	v_lshlrev_b64 v[6:7], s20, v[30:31]
	s_add_u32 s20, s20, 8
	s_addc_u32 s21, s21, 0
	v_or_b32_e32 v16, v6, v16
	s_cmp_lg_u32 s24, s22
	v_or_b32_e32 v17, v7, v17
	s_cbranch_scc1 .LBB7_498
	s_branch .LBB7_501
.LBB7_499:                              ;   in Loop: Header=BB7_464 Depth=1
                                        ; implicit-def: $sgpr15
	s_branch .LBB7_502
.LBB7_500:                              ;   in Loop: Header=BB7_464 Depth=1
	v_mov_b64_e32 v[16:17], 0
.LBB7_501:                              ;   in Loop: Header=BB7_464 Depth=1
	s_mov_b32 s15, 0
	s_cbranch_execnz .LBB7_503
.LBB7_502:                              ;   in Loop: Header=BB7_464 Depth=1
	global_load_dwordx2 v[16:17], v31, s[0:1]
	s_add_i32 s15, s24, -8
	s_add_u32 s0, s0, 8
	s_addc_u32 s1, s1, 0
.LBB7_503:                              ;   in Loop: Header=BB7_464 Depth=1
	s_cmp_gt_u32 s15, 7
	s_cbranch_scc1 .LBB7_507
; %bb.504:                              ;   in Loop: Header=BB7_464 Depth=1
	s_cmp_eq_u32 s15, 0
	s_cbranch_scc1 .LBB7_508
; %bb.505:                              ;   in Loop: Header=BB7_464 Depth=1
	s_mov_b64 s[20:21], 0
	v_mov_b64_e32 v[18:19], 0
	s_mov_b64 s[22:23], 0
.LBB7_506:                              ;   Parent Loop BB7_464 Depth=1
                                        ; =>  This Inner Loop Header: Depth=2
	s_add_u32 s24, s0, s22
	s_addc_u32 s25, s1, s23
	global_load_ubyte v6, v31, s[24:25]
	s_add_u32 s22, s22, 1
	s_addc_u32 s23, s23, 0
	s_waitcnt vmcnt(0)
	v_and_b32_e32 v30, 0xffff, v6
	v_lshlrev_b64 v[6:7], s20, v[30:31]
	s_add_u32 s20, s20, 8
	s_addc_u32 s21, s21, 0
	v_or_b32_e32 v18, v6, v18
	s_cmp_lg_u32 s15, s22
	v_or_b32_e32 v19, v7, v19
	s_cbranch_scc1 .LBB7_506
	s_branch .LBB7_509
.LBB7_507:                              ;   in Loop: Header=BB7_464 Depth=1
                                        ; implicit-def: $vgpr18_vgpr19
                                        ; implicit-def: $sgpr24
	s_branch .LBB7_510
.LBB7_508:                              ;   in Loop: Header=BB7_464 Depth=1
	v_mov_b64_e32 v[18:19], 0
.LBB7_509:                              ;   in Loop: Header=BB7_464 Depth=1
	s_mov_b32 s24, 0
	s_cbranch_execnz .LBB7_511
.LBB7_510:                              ;   in Loop: Header=BB7_464 Depth=1
	global_load_dwordx2 v[18:19], v31, s[0:1]
	s_add_i32 s24, s15, -8
	s_add_u32 s0, s0, 8
	s_addc_u32 s1, s1, 0
.LBB7_511:                              ;   in Loop: Header=BB7_464 Depth=1
	s_cmp_gt_u32 s24, 7
	s_cbranch_scc1 .LBB7_515
; %bb.512:                              ;   in Loop: Header=BB7_464 Depth=1
	s_cmp_eq_u32 s24, 0
	s_cbranch_scc1 .LBB7_516
; %bb.513:                              ;   in Loop: Header=BB7_464 Depth=1
	s_mov_b64 s[20:21], 0
	v_mov_b64_e32 v[20:21], 0
	s_mov_b64 s[22:23], s[0:1]
.LBB7_514:                              ;   Parent Loop BB7_464 Depth=1
                                        ; =>  This Inner Loop Header: Depth=2
	global_load_ubyte v6, v31, s[22:23]
	s_add_i32 s24, s24, -1
	s_waitcnt vmcnt(0)
	v_and_b32_e32 v30, 0xffff, v6
	v_lshlrev_b64 v[6:7], s20, v[30:31]
	s_add_u32 s20, s20, 8
	s_addc_u32 s21, s21, 0
	s_add_u32 s22, s22, 1
	s_addc_u32 s23, s23, 0
	v_or_b32_e32 v20, v6, v20
	s_cmp_lg_u32 s24, 0
	v_or_b32_e32 v21, v7, v21
	s_cbranch_scc1 .LBB7_514
	s_branch .LBB7_517
.LBB7_515:                              ;   in Loop: Header=BB7_464 Depth=1
	s_branch .LBB7_518
.LBB7_516:                              ;   in Loop: Header=BB7_464 Depth=1
	v_mov_b64_e32 v[20:21], 0
.LBB7_517:                              ;   in Loop: Header=BB7_464 Depth=1
	s_cbranch_execnz .LBB7_519
.LBB7_518:                              ;   in Loop: Header=BB7_464 Depth=1
	global_load_dwordx2 v[20:21], v31, s[0:1]
.LBB7_519:                              ;   in Loop: Header=BB7_464 Depth=1
	v_readfirstlane_b32 s0, v36
	v_mov_b64_e32 v[6:7], 0
	s_nop 0
	v_cmp_eq_u32_e64 s[0:1], s0, v36
	s_and_saveexec_b64 s[20:21], s[0:1]
	s_cbranch_execz .LBB7_525
; %bb.520:                              ;   in Loop: Header=BB7_464 Depth=1
	global_load_dwordx2 v[24:25], v31, s[2:3] offset:24 sc0 sc1
	s_waitcnt vmcnt(0)
	buffer_inv sc0 sc1
	global_load_dwordx2 v[6:7], v31, s[2:3] offset:40
	global_load_dwordx2 v[22:23], v31, s[2:3]
	s_waitcnt vmcnt(1)
	v_and_b32_e32 v6, v6, v24
	v_and_b32_e32 v7, v7, v25
	v_mul_lo_u32 v7, v7, 24
	v_mul_hi_u32 v27, v6, 24
	v_add_u32_e32 v7, v27, v7
	v_mul_lo_u32 v6, v6, 24
	s_waitcnt vmcnt(0)
	v_lshl_add_u64 v[6:7], v[22:23], 0, v[6:7]
	global_load_dwordx2 v[22:23], v[6:7], off sc0 sc1
	s_waitcnt vmcnt(0)
	global_atomic_cmpswap_x2 v[6:7], v31, v[22:25], s[2:3] offset:24 sc0 sc1
	s_waitcnt vmcnt(0)
	buffer_inv sc0 sc1
	v_cmp_ne_u64_e32 vcc, v[6:7], v[24:25]
	s_and_saveexec_b64 s[22:23], vcc
	s_cbranch_execz .LBB7_524
; %bb.521:                              ;   in Loop: Header=BB7_464 Depth=1
	s_mov_b64 s[24:25], 0
.LBB7_522:                              ;   Parent Loop BB7_464 Depth=1
                                        ; =>  This Inner Loop Header: Depth=2
	s_sleep 1
	global_load_dwordx2 v[22:23], v31, s[2:3] offset:40
	global_load_dwordx2 v[32:33], v31, s[2:3]
	v_mov_b64_e32 v[24:25], v[6:7]
	s_waitcnt vmcnt(1)
	v_and_b32_e32 v6, v22, v24
	s_waitcnt vmcnt(0)
	v_mad_u64_u32 v[6:7], s[26:27], v6, 24, v[32:33]
	v_and_b32_e32 v23, v23, v25
	v_mov_b32_e32 v22, v7
	v_mad_u64_u32 v[22:23], s[26:27], v23, 24, v[22:23]
	v_mov_b32_e32 v7, v22
	global_load_dwordx2 v[22:23], v[6:7], off sc0 sc1
	s_waitcnt vmcnt(0)
	global_atomic_cmpswap_x2 v[6:7], v31, v[22:25], s[2:3] offset:24 sc0 sc1
	s_waitcnt vmcnt(0)
	buffer_inv sc0 sc1
	v_cmp_eq_u64_e32 vcc, v[6:7], v[24:25]
	s_or_b64 s[24:25], vcc, s[24:25]
	s_andn2_b64 exec, exec, s[24:25]
	s_cbranch_execnz .LBB7_522
; %bb.523:                              ;   in Loop: Header=BB7_464 Depth=1
	s_or_b64 exec, exec, s[24:25]
.LBB7_524:                              ;   in Loop: Header=BB7_464 Depth=1
	s_or_b64 exec, exec, s[22:23]
.LBB7_525:                              ;   in Loop: Header=BB7_464 Depth=1
	s_or_b64 exec, exec, s[20:21]
	global_load_dwordx2 v[32:33], v31, s[2:3] offset:40
	global_load_dwordx4 v[22:25], v31, s[2:3]
	v_readfirstlane_b32 s20, v6
	v_readfirstlane_b32 s21, v7
	s_mov_b64 s[22:23], exec
	s_waitcnt vmcnt(1)
	v_readfirstlane_b32 s24, v32
	v_readfirstlane_b32 s25, v33
	s_and_b64 s[24:25], s[20:21], s[24:25]
	s_mul_i32 s15, s25, 24
	s_mul_hi_u32 s26, s24, 24
	s_add_i32 s27, s26, s15
	s_mul_i32 s26, s24, 24
	s_waitcnt vmcnt(0)
	v_lshl_add_u64 v[32:33], v[22:23], 0, s[26:27]
	s_and_saveexec_b64 s[26:27], s[0:1]
	s_cbranch_execz .LBB7_527
; %bb.526:                              ;   in Loop: Header=BB7_464 Depth=1
	v_mov_b64_e32 v[6:7], s[22:23]
	global_store_dwordx4 v[32:33], v[6:9], off offset:8
.LBB7_527:                              ;   in Loop: Header=BB7_464 Depth=1
	s_or_b64 exec, exec, s[26:27]
	s_lshl_b64 s[22:23], s[24:25], 12
	v_lshl_add_u64 v[6:7], v[24:25], 0, s[22:23]
	v_or_b32_e32 v25, v0, v26
	v_cmp_gt_u64_e64 vcc, s[16:17], 56
	s_lshl_b32 s15, s18, 2
	s_add_i32 s15, s15, 28
	v_cndmask_b32_e32 v0, v25, v0, vcc
	v_or_b32_e32 v24, 0, v1
	s_and_b32 s15, s15, 0x1e0
	v_and_b32_e32 v0, 0xffffff1f, v0
	v_cndmask_b32_e32 v1, v24, v1, vcc
	v_or_b32_e32 v0, s15, v0
	v_readfirstlane_b32 s22, v6
	v_readfirstlane_b32 s23, v7
	s_nop 4
	global_store_dwordx4 v28, v[0:3], s[22:23]
	global_store_dwordx4 v28, v[10:13], s[22:23] offset:16
	global_store_dwordx4 v28, v[14:17], s[22:23] offset:32
	global_store_dwordx4 v28, v[18:21], s[22:23] offset:48
	s_and_saveexec_b64 s[22:23], s[0:1]
	s_cbranch_execz .LBB7_535
; %bb.528:                              ;   in Loop: Header=BB7_464 Depth=1
	global_load_dwordx2 v[14:15], v31, s[2:3] offset:32 sc0 sc1
	global_load_dwordx2 v[0:1], v31, s[2:3] offset:40
	v_mov_b32_e32 v12, s20
	v_mov_b32_e32 v13, s21
	s_waitcnt vmcnt(0)
	v_readfirstlane_b32 s24, v0
	v_readfirstlane_b32 s25, v1
	s_and_b64 s[24:25], s[24:25], s[20:21]
	s_mul_i32 s15, s25, 24
	s_mul_hi_u32 s25, s24, 24
	s_mul_i32 s24, s24, 24
	s_add_i32 s25, s25, s15
	v_lshl_add_u64 v[10:11], v[22:23], 0, s[24:25]
	global_store_dwordx2 v[10:11], v[14:15], off
	buffer_wbl2 sc0 sc1
	s_waitcnt vmcnt(0)
	global_atomic_cmpswap_x2 v[2:3], v31, v[12:15], s[2:3] offset:32 sc0 sc1
	s_waitcnt vmcnt(0)
	v_cmp_ne_u64_e32 vcc, v[2:3], v[14:15]
	s_and_saveexec_b64 s[24:25], vcc
	s_cbranch_execz .LBB7_531
; %bb.529:                              ;   in Loop: Header=BB7_464 Depth=1
	s_mov_b64 s[26:27], 0
.LBB7_530:                              ;   Parent Loop BB7_464 Depth=1
                                        ; =>  This Inner Loop Header: Depth=2
	s_sleep 1
	global_store_dwordx2 v[10:11], v[2:3], off
	v_mov_b32_e32 v0, s20
	v_mov_b32_e32 v1, s21
	buffer_wbl2 sc0 sc1
	s_waitcnt vmcnt(0)
	global_atomic_cmpswap_x2 v[0:1], v31, v[0:3], s[2:3] offset:32 sc0 sc1
	s_waitcnt vmcnt(0)
	v_cmp_eq_u64_e32 vcc, v[0:1], v[2:3]
	s_or_b64 s[26:27], vcc, s[26:27]
	v_mov_b64_e32 v[2:3], v[0:1]
	s_andn2_b64 exec, exec, s[26:27]
	s_cbranch_execnz .LBB7_530
.LBB7_531:                              ;   in Loop: Header=BB7_464 Depth=1
	s_or_b64 exec, exec, s[24:25]
	global_load_dwordx2 v[0:1], v31, s[2:3] offset:16
	s_mov_b64 s[26:27], exec
	v_mbcnt_lo_u32_b32 v2, s26, 0
	v_mbcnt_hi_u32_b32 v2, s27, v2
	v_cmp_eq_u32_e32 vcc, 0, v2
	s_and_saveexec_b64 s[24:25], vcc
	s_cbranch_execz .LBB7_533
; %bb.532:                              ;   in Loop: Header=BB7_464 Depth=1
	s_bcnt1_i32_b64 s15, s[26:27]
	v_mov_b32_e32 v30, s15
	buffer_wbl2 sc0 sc1
	s_waitcnt vmcnt(0)
	global_atomic_add_x2 v[0:1], v[30:31], off offset:8 sc1
.LBB7_533:                              ;   in Loop: Header=BB7_464 Depth=1
	s_or_b64 exec, exec, s[24:25]
	s_waitcnt vmcnt(0)
	global_load_dwordx2 v[2:3], v[0:1], off offset:16
	s_waitcnt vmcnt(0)
	v_cmp_eq_u64_e32 vcc, 0, v[2:3]
	s_cbranch_vccnz .LBB7_535
; %bb.534:                              ;   in Loop: Header=BB7_464 Depth=1
	global_load_dword v30, v[0:1], off offset:24
	s_waitcnt vmcnt(0)
	v_and_b32_e32 v0, 0xffffff, v30
	s_nop 0
	v_readfirstlane_b32 m0, v0
	buffer_wbl2 sc0 sc1
	global_store_dwordx2 v[2:3], v[30:31], off sc0 sc1
	s_sendmsg sendmsg(MSG_INTERRUPT)
.LBB7_535:                              ;   in Loop: Header=BB7_464 Depth=1
	s_or_b64 exec, exec, s[22:23]
	v_mov_b32_e32 v29, v31
	v_lshl_add_u64 v[0:1], v[6:7], 0, v[28:29]
	s_branch .LBB7_539
.LBB7_536:                              ;   in Loop: Header=BB7_539 Depth=2
	s_or_b64 exec, exec, s[22:23]
	v_readfirstlane_b32 s15, v2
	s_cmp_eq_u32 s15, 0
	s_cbranch_scc1 .LBB7_538
; %bb.537:                              ;   in Loop: Header=BB7_539 Depth=2
	s_sleep 1
	s_cbranch_execnz .LBB7_539
	s_branch .LBB7_541
.LBB7_538:                              ;   in Loop: Header=BB7_464 Depth=1
	s_branch .LBB7_541
.LBB7_539:                              ;   Parent Loop BB7_464 Depth=1
                                        ; =>  This Inner Loop Header: Depth=2
	v_mov_b32_e32 v2, 1
	s_and_saveexec_b64 s[22:23], s[0:1]
	s_cbranch_execz .LBB7_536
; %bb.540:                              ;   in Loop: Header=BB7_539 Depth=2
	global_load_dword v2, v[32:33], off offset:20 sc0 sc1
	s_waitcnt vmcnt(0)
	buffer_inv sc0 sc1
	v_and_b32_e32 v2, 1, v2
	s_branch .LBB7_536
.LBB7_541:                              ;   in Loop: Header=BB7_464 Depth=1
	global_load_dwordx4 v[0:3], v[0:1], off
	s_and_saveexec_b64 s[22:23], s[0:1]
	s_cbranch_execz .LBB7_463
; %bb.542:                              ;   in Loop: Header=BB7_464 Depth=1
	global_load_dwordx2 v[2:3], v31, s[2:3] offset:40
	global_load_dwordx2 v[6:7], v31, s[2:3] offset:24 sc0 sc1
	global_load_dwordx2 v[14:15], v31, s[2:3]
	s_waitcnt vmcnt(2)
	v_lshl_add_u64 v[10:11], v[2:3], 0, 1
	v_lshl_add_u64 v[16:17], v[10:11], 0, s[20:21]
	v_cmp_eq_u64_e32 vcc, 0, v[16:17]
	s_waitcnt vmcnt(1)
	v_mov_b32_e32 v12, v6
	v_cndmask_b32_e32 v11, v17, v11, vcc
	v_cndmask_b32_e32 v10, v16, v10, vcc
	v_and_b32_e32 v3, v11, v3
	v_and_b32_e32 v2, v10, v2
	v_mul_lo_u32 v3, v3, 24
	v_mul_hi_u32 v13, v2, 24
	v_mul_lo_u32 v2, v2, 24
	v_add_u32_e32 v3, v13, v3
	s_waitcnt vmcnt(0)
	v_lshl_add_u64 v[2:3], v[14:15], 0, v[2:3]
	global_store_dwordx2 v[2:3], v[6:7], off
	v_mov_b32_e32 v13, v7
	buffer_wbl2 sc0 sc1
	s_waitcnt vmcnt(0)
	global_atomic_cmpswap_x2 v[12:13], v31, v[10:13], s[2:3] offset:24 sc0 sc1
	s_waitcnt vmcnt(0)
	v_cmp_ne_u64_e32 vcc, v[12:13], v[6:7]
	s_and_b64 exec, exec, vcc
	s_cbranch_execz .LBB7_463
; %bb.543:                              ;   in Loop: Header=BB7_464 Depth=1
	s_mov_b64 s[0:1], 0
.LBB7_544:                              ;   Parent Loop BB7_464 Depth=1
                                        ; =>  This Inner Loop Header: Depth=2
	s_sleep 1
	global_store_dwordx2 v[2:3], v[12:13], off
	buffer_wbl2 sc0 sc1
	s_waitcnt vmcnt(0)
	global_atomic_cmpswap_x2 v[6:7], v31, v[10:13], s[2:3] offset:24 sc0 sc1
	s_waitcnt vmcnt(0)
	v_cmp_eq_u64_e32 vcc, v[6:7], v[12:13]
	s_or_b64 s[0:1], vcc, s[0:1]
	v_mov_b64_e32 v[12:13], v[6:7]
	s_andn2_b64 exec, exec, s[0:1]
	s_cbranch_execnz .LBB7_544
	s_branch .LBB7_463
.LBB7_545:
	s_branch .LBB7_573
.LBB7_546:
                                        ; implicit-def: $vgpr0_vgpr1
	s_cbranch_execz .LBB7_573
; %bb.547:
	v_readfirstlane_b32 s0, v36
	v_mov_b64_e32 v[6:7], 0
	s_nop 0
	v_cmp_eq_u32_e64 s[0:1], s0, v36
	s_and_saveexec_b64 s[10:11], s[0:1]
	s_cbranch_execz .LBB7_553
; %bb.548:
	s_waitcnt vmcnt(0)
	v_mov_b32_e32 v0, 0
	global_load_dwordx2 v[8:9], v0, s[2:3] offset:24 sc0 sc1
	s_waitcnt vmcnt(0)
	buffer_inv sc0 sc1
	global_load_dwordx2 v[2:3], v0, s[2:3] offset:40
	global_load_dwordx2 v[6:7], v0, s[2:3]
	s_waitcnt vmcnt(1)
	v_and_b32_e32 v1, v2, v8
	v_and_b32_e32 v2, v3, v9
	v_mul_lo_u32 v2, v2, 24
	v_mul_hi_u32 v3, v1, 24
	v_add_u32_e32 v3, v3, v2
	v_mul_lo_u32 v2, v1, 24
	s_waitcnt vmcnt(0)
	v_lshl_add_u64 v[2:3], v[6:7], 0, v[2:3]
	global_load_dwordx2 v[6:7], v[2:3], off sc0 sc1
	s_waitcnt vmcnt(0)
	global_atomic_cmpswap_x2 v[6:7], v0, v[6:9], s[2:3] offset:24 sc0 sc1
	s_waitcnt vmcnt(0)
	buffer_inv sc0 sc1
	v_cmp_ne_u64_e32 vcc, v[6:7], v[8:9]
	s_and_saveexec_b64 s[16:17], vcc
	s_cbranch_execz .LBB7_552
; %bb.549:
	s_mov_b64 s[18:19], 0
.LBB7_550:                              ; =>This Inner Loop Header: Depth=1
	s_sleep 1
	global_load_dwordx2 v[2:3], v0, s[2:3] offset:40
	global_load_dwordx2 v[10:11], v0, s[2:3]
	v_mov_b64_e32 v[8:9], v[6:7]
	s_waitcnt vmcnt(1)
	v_and_b32_e32 v2, v2, v8
	v_and_b32_e32 v1, v3, v9
	s_waitcnt vmcnt(0)
	v_mad_u64_u32 v[2:3], s[20:21], v2, 24, v[10:11]
	v_mov_b32_e32 v6, v3
	v_mad_u64_u32 v[6:7], s[20:21], v1, 24, v[6:7]
	v_mov_b32_e32 v3, v6
	global_load_dwordx2 v[6:7], v[2:3], off sc0 sc1
	s_waitcnt vmcnt(0)
	global_atomic_cmpswap_x2 v[6:7], v0, v[6:9], s[2:3] offset:24 sc0 sc1
	s_waitcnt vmcnt(0)
	buffer_inv sc0 sc1
	v_cmp_eq_u64_e32 vcc, v[6:7], v[8:9]
	s_or_b64 s[18:19], vcc, s[18:19]
	s_andn2_b64 exec, exec, s[18:19]
	s_cbranch_execnz .LBB7_550
; %bb.551:
	s_or_b64 exec, exec, s[18:19]
.LBB7_552:
	s_or_b64 exec, exec, s[16:17]
.LBB7_553:
	s_or_b64 exec, exec, s[10:11]
	v_mov_b32_e32 v29, 0
	global_load_dwordx2 v[8:9], v29, s[2:3] offset:40
	global_load_dwordx4 v[0:3], v29, s[2:3]
	v_readfirstlane_b32 s10, v6
	v_readfirstlane_b32 s11, v7
	s_mov_b64 s[16:17], exec
	s_waitcnt vmcnt(1)
	v_readfirstlane_b32 s18, v8
	v_readfirstlane_b32 s19, v9
	s_and_b64 s[18:19], s[10:11], s[18:19]
	s_mul_i32 s15, s19, 24
	s_mul_hi_u32 s20, s18, 24
	s_add_i32 s21, s20, s15
	s_mul_i32 s20, s18, 24
	s_waitcnt vmcnt(0)
	v_lshl_add_u64 v[8:9], v[0:1], 0, s[20:21]
	s_and_saveexec_b64 s[20:21], s[0:1]
	s_cbranch_execz .LBB7_555
; %bb.554:
	v_mov_b64_e32 v[10:11], s[16:17]
	v_mov_b32_e32 v12, 2
	v_mov_b32_e32 v13, 1
	global_store_dwordx4 v[8:9], v[10:13], off offset:8
.LBB7_555:
	s_or_b64 exec, exec, s[20:21]
	s_lshl_b64 s[16:17], s[18:19], 12
	v_lshl_add_u64 v[10:11], v[2:3], 0, s[16:17]
	s_movk_i32 s15, 0xff1f
	s_mov_b32 s16, 0
	v_and_or_b32 v4, v4, s15, 32
	v_mov_b32_e32 v6, v29
	v_mov_b32_e32 v7, v29
	v_readfirstlane_b32 s20, v10
	v_readfirstlane_b32 s21, v11
	s_mov_b32 s17, s16
	s_mov_b32 s18, s16
	;; [unrolled: 1-line block ×3, first 2 shown]
	s_nop 1
	global_store_dwordx4 v28, v[4:7], s[20:21]
	v_mov_b64_e32 v[2:3], s[16:17]
	s_nop 0
	v_mov_b64_e32 v[4:5], s[18:19]
	global_store_dwordx4 v28, v[2:5], s[20:21] offset:16
	global_store_dwordx4 v28, v[2:5], s[20:21] offset:32
	;; [unrolled: 1-line block ×3, first 2 shown]
	s_and_saveexec_b64 s[16:17], s[0:1]
	s_cbranch_execz .LBB7_563
; %bb.556:
	v_mov_b32_e32 v6, 0
	global_load_dwordx2 v[14:15], v6, s[2:3] offset:32 sc0 sc1
	global_load_dwordx2 v[2:3], v6, s[2:3] offset:40
	v_mov_b32_e32 v12, s10
	v_mov_b32_e32 v13, s11
	s_waitcnt vmcnt(0)
	v_readfirstlane_b32 s18, v2
	v_readfirstlane_b32 s19, v3
	s_and_b64 s[18:19], s[18:19], s[10:11]
	s_mul_i32 s15, s19, 24
	s_mul_hi_u32 s19, s18, 24
	s_mul_i32 s18, s18, 24
	s_add_i32 s19, s19, s15
	v_lshl_add_u64 v[4:5], v[0:1], 0, s[18:19]
	global_store_dwordx2 v[4:5], v[14:15], off
	buffer_wbl2 sc0 sc1
	s_waitcnt vmcnt(0)
	global_atomic_cmpswap_x2 v[2:3], v6, v[12:15], s[2:3] offset:32 sc0 sc1
	s_waitcnt vmcnt(0)
	v_cmp_ne_u64_e32 vcc, v[2:3], v[14:15]
	s_and_saveexec_b64 s[18:19], vcc
	s_cbranch_execz .LBB7_559
; %bb.557:
	s_mov_b64 s[20:21], 0
.LBB7_558:                              ; =>This Inner Loop Header: Depth=1
	s_sleep 1
	global_store_dwordx2 v[4:5], v[2:3], off
	v_mov_b32_e32 v0, s10
	v_mov_b32_e32 v1, s11
	buffer_wbl2 sc0 sc1
	s_waitcnt vmcnt(0)
	global_atomic_cmpswap_x2 v[0:1], v6, v[0:3], s[2:3] offset:32 sc0 sc1
	s_waitcnt vmcnt(0)
	v_cmp_eq_u64_e32 vcc, v[0:1], v[2:3]
	s_or_b64 s[20:21], vcc, s[20:21]
	v_mov_b64_e32 v[2:3], v[0:1]
	s_andn2_b64 exec, exec, s[20:21]
	s_cbranch_execnz .LBB7_558
.LBB7_559:
	s_or_b64 exec, exec, s[18:19]
	v_mov_b32_e32 v3, 0
	global_load_dwordx2 v[0:1], v3, s[2:3] offset:16
	s_mov_b64 s[18:19], exec
	v_mbcnt_lo_u32_b32 v2, s18, 0
	v_mbcnt_hi_u32_b32 v2, s19, v2
	v_cmp_eq_u32_e32 vcc, 0, v2
	s_and_saveexec_b64 s[20:21], vcc
	s_cbranch_execz .LBB7_561
; %bb.560:
	s_bcnt1_i32_b64 s15, s[18:19]
	v_mov_b32_e32 v2, s15
	buffer_wbl2 sc0 sc1
	s_waitcnt vmcnt(0)
	global_atomic_add_x2 v[0:1], v[2:3], off offset:8 sc1
.LBB7_561:
	s_or_b64 exec, exec, s[20:21]
	s_waitcnt vmcnt(0)
	global_load_dwordx2 v[2:3], v[0:1], off offset:16
	s_waitcnt vmcnt(0)
	v_cmp_eq_u64_e32 vcc, 0, v[2:3]
	s_cbranch_vccnz .LBB7_563
; %bb.562:
	global_load_dword v0, v[0:1], off offset:24
	v_mov_b32_e32 v1, 0
	buffer_wbl2 sc0 sc1
	s_waitcnt vmcnt(0)
	global_store_dwordx2 v[2:3], v[0:1], off sc0 sc1
	v_and_b32_e32 v0, 0xffffff, v0
	s_nop 0
	v_readfirstlane_b32 m0, v0
	s_sendmsg sendmsg(MSG_INTERRUPT)
.LBB7_563:
	s_or_b64 exec, exec, s[16:17]
	v_lshl_add_u64 v[0:1], v[10:11], 0, v[28:29]
	s_branch .LBB7_567
.LBB7_564:                              ;   in Loop: Header=BB7_567 Depth=1
	s_or_b64 exec, exec, s[16:17]
	v_readfirstlane_b32 s15, v2
	s_cmp_eq_u32 s15, 0
	s_cbranch_scc1 .LBB7_566
; %bb.565:                              ;   in Loop: Header=BB7_567 Depth=1
	s_sleep 1
	s_cbranch_execnz .LBB7_567
	s_branch .LBB7_569
.LBB7_566:
	s_branch .LBB7_569
.LBB7_567:                              ; =>This Inner Loop Header: Depth=1
	v_mov_b32_e32 v2, 1
	s_and_saveexec_b64 s[16:17], s[0:1]
	s_cbranch_execz .LBB7_564
; %bb.568:                              ;   in Loop: Header=BB7_567 Depth=1
	global_load_dword v2, v[8:9], off offset:20 sc0 sc1
	s_waitcnt vmcnt(0)
	buffer_inv sc0 sc1
	v_and_b32_e32 v2, 1, v2
	s_branch .LBB7_564
.LBB7_569:
	global_load_dwordx2 v[0:1], v[0:1], off
	s_and_saveexec_b64 s[16:17], s[0:1]
	s_cbranch_execz .LBB7_572
; %bb.570:
	v_mov_b32_e32 v8, 0
	global_load_dwordx2 v[6:7], v8, s[2:3] offset:40
	global_load_dwordx2 v[10:11], v8, s[2:3] offset:24 sc0 sc1
	global_load_dwordx2 v[12:13], v8, s[2:3]
	s_mov_b64 s[0:1], 0
	s_waitcnt vmcnt(2)
	v_lshl_add_u64 v[2:3], v[6:7], 0, 1
	v_lshl_add_u64 v[14:15], v[2:3], 0, s[10:11]
	v_cmp_eq_u64_e32 vcc, 0, v[14:15]
	s_waitcnt vmcnt(1)
	v_mov_b32_e32 v4, v10
	v_cndmask_b32_e32 v3, v15, v3, vcc
	v_cndmask_b32_e32 v2, v14, v2, vcc
	v_and_b32_e32 v5, v3, v7
	v_and_b32_e32 v6, v2, v6
	v_mul_lo_u32 v5, v5, 24
	v_mul_hi_u32 v7, v6, 24
	v_mul_lo_u32 v6, v6, 24
	v_add_u32_e32 v7, v7, v5
	s_waitcnt vmcnt(0)
	v_lshl_add_u64 v[6:7], v[12:13], 0, v[6:7]
	global_store_dwordx2 v[6:7], v[10:11], off
	v_mov_b32_e32 v5, v11
	buffer_wbl2 sc0 sc1
	s_waitcnt vmcnt(0)
	global_atomic_cmpswap_x2 v[4:5], v8, v[2:5], s[2:3] offset:24 sc0 sc1
	s_waitcnt vmcnt(0)
	v_cmp_ne_u64_e32 vcc, v[4:5], v[10:11]
	s_and_b64 exec, exec, vcc
	s_cbranch_execz .LBB7_572
.LBB7_571:                              ; =>This Inner Loop Header: Depth=1
	s_sleep 1
	global_store_dwordx2 v[6:7], v[4:5], off
	buffer_wbl2 sc0 sc1
	s_waitcnt vmcnt(0)
	global_atomic_cmpswap_x2 v[10:11], v8, v[2:5], s[2:3] offset:24 sc0 sc1
	s_waitcnt vmcnt(0)
	v_cmp_eq_u64_e32 vcc, v[10:11], v[4:5]
	s_or_b64 s[0:1], vcc, s[0:1]
	v_mov_b64_e32 v[4:5], v[10:11]
	s_andn2_b64 exec, exec, s[0:1]
	s_cbranch_execnz .LBB7_571
.LBB7_572:
	s_or_b64 exec, exec, s[16:17]
.LBB7_573:
	s_getpc_b64 s[10:11]
	s_add_u32 s10, s10, .str.1@rel32@lo+4
	s_addc_u32 s11, s11, .str.1@rel32@hi+12
	s_cmp_lg_u64 s[10:11], 0
	s_cbranch_scc0 .LBB7_658
; %bb.574:
	s_waitcnt vmcnt(0)
	v_and_b32_e32 v6, -3, v0
	v_mov_b32_e32 v7, v1
	s_mov_b64 s[16:17], 0x53
	v_mov_b32_e32 v27, 0
	v_mov_b32_e32 v4, 2
	;; [unrolled: 1-line block ×3, first 2 shown]
	s_branch .LBB7_576
.LBB7_575:                              ;   in Loop: Header=BB7_576 Depth=1
	s_or_b64 exec, exec, s[22:23]
	s_sub_u32 s16, s16, s18
	s_subb_u32 s17, s17, s19
	s_add_u32 s10, s10, s18
	s_addc_u32 s11, s11, s19
	s_cmp_lg_u64 s[16:17], 0
	s_cbranch_scc0 .LBB7_657
.LBB7_576:                              ; =>This Loop Header: Depth=1
                                        ;     Child Loop BB7_579 Depth 2
                                        ;     Child Loop BB7_586 Depth 2
	;; [unrolled: 1-line block ×11, first 2 shown]
	v_cmp_lt_u64_e64 s[0:1], s[16:17], 56
	s_and_b64 s[0:1], s[0:1], exec
	v_cmp_gt_u64_e64 s[0:1], s[16:17], 7
	s_cselect_b32 s19, s17, 0
	s_cselect_b32 s18, s16, 56
	s_and_b64 vcc, exec, s[0:1]
	s_cbranch_vccnz .LBB7_581
; %bb.577:                              ;   in Loop: Header=BB7_576 Depth=1
	s_mov_b64 s[0:1], 0
	s_cmp_eq_u64 s[16:17], 0
	s_waitcnt vmcnt(0)
	v_mov_b64_e32 v[8:9], 0
	s_cbranch_scc1 .LBB7_580
; %bb.578:                              ;   in Loop: Header=BB7_576 Depth=1
	s_lshl_b64 s[20:21], s[18:19], 3
	s_mov_b64 s[22:23], 0
	v_mov_b64_e32 v[8:9], 0
	s_mov_b64 s[24:25], s[10:11]
.LBB7_579:                              ;   Parent Loop BB7_576 Depth=1
                                        ; =>  This Inner Loop Header: Depth=2
	global_load_ubyte v2, v27, s[24:25]
	s_waitcnt vmcnt(0)
	v_and_b32_e32 v26, 0xffff, v2
	v_lshlrev_b64 v[2:3], s22, v[26:27]
	s_add_u32 s22, s22, 8
	s_addc_u32 s23, s23, 0
	s_add_u32 s24, s24, 1
	s_addc_u32 s25, s25, 0
	v_or_b32_e32 v8, v2, v8
	s_cmp_lg_u32 s20, s22
	v_or_b32_e32 v9, v3, v9
	s_cbranch_scc1 .LBB7_579
.LBB7_580:                              ;   in Loop: Header=BB7_576 Depth=1
	s_mov_b32 s15, 0
	s_andn2_b64 vcc, exec, s[0:1]
	s_mov_b64 s[0:1], s[10:11]
	s_cbranch_vccz .LBB7_582
	s_branch .LBB7_583
.LBB7_581:                              ;   in Loop: Header=BB7_576 Depth=1
                                        ; implicit-def: $sgpr15
	s_mov_b64 s[0:1], s[10:11]
.LBB7_582:                              ;   in Loop: Header=BB7_576 Depth=1
	global_load_dwordx2 v[8:9], v27, s[10:11]
	s_add_i32 s15, s18, -8
	s_add_u32 s0, s10, 8
	s_addc_u32 s1, s11, 0
.LBB7_583:                              ;   in Loop: Header=BB7_576 Depth=1
	s_cmp_gt_u32 s15, 7
	s_cbranch_scc1 .LBB7_587
; %bb.584:                              ;   in Loop: Header=BB7_576 Depth=1
	s_cmp_eq_u32 s15, 0
	s_cbranch_scc1 .LBB7_588
; %bb.585:                              ;   in Loop: Header=BB7_576 Depth=1
	s_mov_b64 s[20:21], 0
	v_mov_b64_e32 v[10:11], 0
	s_mov_b64 s[22:23], 0
.LBB7_586:                              ;   Parent Loop BB7_576 Depth=1
                                        ; =>  This Inner Loop Header: Depth=2
	s_add_u32 s24, s0, s22
	s_addc_u32 s25, s1, s23
	global_load_ubyte v2, v27, s[24:25]
	s_add_u32 s22, s22, 1
	s_addc_u32 s23, s23, 0
	s_waitcnt vmcnt(0)
	v_and_b32_e32 v26, 0xffff, v2
	v_lshlrev_b64 v[2:3], s20, v[26:27]
	s_add_u32 s20, s20, 8
	s_addc_u32 s21, s21, 0
	v_or_b32_e32 v10, v2, v10
	s_cmp_lg_u32 s15, s22
	v_or_b32_e32 v11, v3, v11
	s_cbranch_scc1 .LBB7_586
	s_branch .LBB7_589
.LBB7_587:                              ;   in Loop: Header=BB7_576 Depth=1
                                        ; implicit-def: $vgpr10_vgpr11
                                        ; implicit-def: $sgpr24
	s_branch .LBB7_590
.LBB7_588:                              ;   in Loop: Header=BB7_576 Depth=1
	v_mov_b64_e32 v[10:11], 0
.LBB7_589:                              ;   in Loop: Header=BB7_576 Depth=1
	s_mov_b32 s24, 0
	s_cbranch_execnz .LBB7_591
.LBB7_590:                              ;   in Loop: Header=BB7_576 Depth=1
	global_load_dwordx2 v[10:11], v27, s[0:1]
	s_add_i32 s24, s15, -8
	s_add_u32 s0, s0, 8
	s_addc_u32 s1, s1, 0
.LBB7_591:                              ;   in Loop: Header=BB7_576 Depth=1
	s_cmp_gt_u32 s24, 7
	s_cbranch_scc1 .LBB7_595
; %bb.592:                              ;   in Loop: Header=BB7_576 Depth=1
	s_cmp_eq_u32 s24, 0
	s_cbranch_scc1 .LBB7_596
; %bb.593:                              ;   in Loop: Header=BB7_576 Depth=1
	s_mov_b64 s[20:21], 0
	v_mov_b64_e32 v[12:13], 0
	s_mov_b64 s[22:23], 0
.LBB7_594:                              ;   Parent Loop BB7_576 Depth=1
                                        ; =>  This Inner Loop Header: Depth=2
	s_add_u32 s26, s0, s22
	s_addc_u32 s27, s1, s23
	global_load_ubyte v2, v27, s[26:27]
	s_add_u32 s22, s22, 1
	s_addc_u32 s23, s23, 0
	s_waitcnt vmcnt(0)
	v_and_b32_e32 v26, 0xffff, v2
	v_lshlrev_b64 v[2:3], s20, v[26:27]
	s_add_u32 s20, s20, 8
	s_addc_u32 s21, s21, 0
	v_or_b32_e32 v12, v2, v12
	s_cmp_lg_u32 s24, s22
	v_or_b32_e32 v13, v3, v13
	s_cbranch_scc1 .LBB7_594
	s_branch .LBB7_597
.LBB7_595:                              ;   in Loop: Header=BB7_576 Depth=1
                                        ; implicit-def: $sgpr15
	s_branch .LBB7_598
.LBB7_596:                              ;   in Loop: Header=BB7_576 Depth=1
	v_mov_b64_e32 v[12:13], 0
.LBB7_597:                              ;   in Loop: Header=BB7_576 Depth=1
	s_mov_b32 s15, 0
	s_cbranch_execnz .LBB7_599
.LBB7_598:                              ;   in Loop: Header=BB7_576 Depth=1
	global_load_dwordx2 v[12:13], v27, s[0:1]
	s_add_i32 s15, s24, -8
	s_add_u32 s0, s0, 8
	s_addc_u32 s1, s1, 0
.LBB7_599:                              ;   in Loop: Header=BB7_576 Depth=1
	s_cmp_gt_u32 s15, 7
	s_cbranch_scc1 .LBB7_603
; %bb.600:                              ;   in Loop: Header=BB7_576 Depth=1
	s_cmp_eq_u32 s15, 0
	s_cbranch_scc1 .LBB7_604
; %bb.601:                              ;   in Loop: Header=BB7_576 Depth=1
	s_mov_b64 s[20:21], 0
	v_mov_b64_e32 v[14:15], 0
	s_mov_b64 s[22:23], 0
.LBB7_602:                              ;   Parent Loop BB7_576 Depth=1
                                        ; =>  This Inner Loop Header: Depth=2
	s_add_u32 s24, s0, s22
	s_addc_u32 s25, s1, s23
	global_load_ubyte v2, v27, s[24:25]
	s_add_u32 s22, s22, 1
	s_addc_u32 s23, s23, 0
	s_waitcnt vmcnt(0)
	v_and_b32_e32 v26, 0xffff, v2
	v_lshlrev_b64 v[2:3], s20, v[26:27]
	s_add_u32 s20, s20, 8
	s_addc_u32 s21, s21, 0
	v_or_b32_e32 v14, v2, v14
	s_cmp_lg_u32 s15, s22
	v_or_b32_e32 v15, v3, v15
	s_cbranch_scc1 .LBB7_602
	s_branch .LBB7_605
.LBB7_603:                              ;   in Loop: Header=BB7_576 Depth=1
                                        ; implicit-def: $vgpr14_vgpr15
                                        ; implicit-def: $sgpr24
	s_branch .LBB7_606
.LBB7_604:                              ;   in Loop: Header=BB7_576 Depth=1
	v_mov_b64_e32 v[14:15], 0
.LBB7_605:                              ;   in Loop: Header=BB7_576 Depth=1
	s_mov_b32 s24, 0
	s_cbranch_execnz .LBB7_607
.LBB7_606:                              ;   in Loop: Header=BB7_576 Depth=1
	global_load_dwordx2 v[14:15], v27, s[0:1]
	s_add_i32 s24, s15, -8
	s_add_u32 s0, s0, 8
	s_addc_u32 s1, s1, 0
.LBB7_607:                              ;   in Loop: Header=BB7_576 Depth=1
	s_cmp_gt_u32 s24, 7
	s_cbranch_scc1 .LBB7_611
; %bb.608:                              ;   in Loop: Header=BB7_576 Depth=1
	s_cmp_eq_u32 s24, 0
	s_cbranch_scc1 .LBB7_612
; %bb.609:                              ;   in Loop: Header=BB7_576 Depth=1
	s_mov_b64 s[20:21], 0
	v_mov_b64_e32 v[16:17], 0
	s_mov_b64 s[22:23], 0
.LBB7_610:                              ;   Parent Loop BB7_576 Depth=1
                                        ; =>  This Inner Loop Header: Depth=2
	s_add_u32 s26, s0, s22
	s_addc_u32 s27, s1, s23
	global_load_ubyte v2, v27, s[26:27]
	s_add_u32 s22, s22, 1
	s_addc_u32 s23, s23, 0
	s_waitcnt vmcnt(0)
	v_and_b32_e32 v26, 0xffff, v2
	v_lshlrev_b64 v[2:3], s20, v[26:27]
	s_add_u32 s20, s20, 8
	s_addc_u32 s21, s21, 0
	v_or_b32_e32 v16, v2, v16
	s_cmp_lg_u32 s24, s22
	v_or_b32_e32 v17, v3, v17
	s_cbranch_scc1 .LBB7_610
	s_branch .LBB7_613
.LBB7_611:                              ;   in Loop: Header=BB7_576 Depth=1
                                        ; implicit-def: $sgpr15
	s_branch .LBB7_614
.LBB7_612:                              ;   in Loop: Header=BB7_576 Depth=1
	v_mov_b64_e32 v[16:17], 0
.LBB7_613:                              ;   in Loop: Header=BB7_576 Depth=1
	s_mov_b32 s15, 0
	s_cbranch_execnz .LBB7_615
.LBB7_614:                              ;   in Loop: Header=BB7_576 Depth=1
	global_load_dwordx2 v[16:17], v27, s[0:1]
	s_add_i32 s15, s24, -8
	s_add_u32 s0, s0, 8
	s_addc_u32 s1, s1, 0
.LBB7_615:                              ;   in Loop: Header=BB7_576 Depth=1
	s_cmp_gt_u32 s15, 7
	s_cbranch_scc1 .LBB7_619
; %bb.616:                              ;   in Loop: Header=BB7_576 Depth=1
	s_cmp_eq_u32 s15, 0
	s_cbranch_scc1 .LBB7_620
; %bb.617:                              ;   in Loop: Header=BB7_576 Depth=1
	s_mov_b64 s[20:21], 0
	v_mov_b64_e32 v[18:19], 0
	s_mov_b64 s[22:23], 0
.LBB7_618:                              ;   Parent Loop BB7_576 Depth=1
                                        ; =>  This Inner Loop Header: Depth=2
	s_add_u32 s24, s0, s22
	s_addc_u32 s25, s1, s23
	global_load_ubyte v2, v27, s[24:25]
	s_add_u32 s22, s22, 1
	s_addc_u32 s23, s23, 0
	s_waitcnt vmcnt(0)
	v_and_b32_e32 v26, 0xffff, v2
	v_lshlrev_b64 v[2:3], s20, v[26:27]
	s_add_u32 s20, s20, 8
	s_addc_u32 s21, s21, 0
	v_or_b32_e32 v18, v2, v18
	s_cmp_lg_u32 s15, s22
	v_or_b32_e32 v19, v3, v19
	s_cbranch_scc1 .LBB7_618
	s_branch .LBB7_621
.LBB7_619:                              ;   in Loop: Header=BB7_576 Depth=1
                                        ; implicit-def: $vgpr18_vgpr19
                                        ; implicit-def: $sgpr24
	s_branch .LBB7_622
.LBB7_620:                              ;   in Loop: Header=BB7_576 Depth=1
	v_mov_b64_e32 v[18:19], 0
.LBB7_621:                              ;   in Loop: Header=BB7_576 Depth=1
	s_mov_b32 s24, 0
	s_cbranch_execnz .LBB7_623
.LBB7_622:                              ;   in Loop: Header=BB7_576 Depth=1
	global_load_dwordx2 v[18:19], v27, s[0:1]
	s_add_i32 s24, s15, -8
	s_add_u32 s0, s0, 8
	s_addc_u32 s1, s1, 0
.LBB7_623:                              ;   in Loop: Header=BB7_576 Depth=1
	s_cmp_gt_u32 s24, 7
	s_cbranch_scc1 .LBB7_627
; %bb.624:                              ;   in Loop: Header=BB7_576 Depth=1
	s_cmp_eq_u32 s24, 0
	s_cbranch_scc1 .LBB7_628
; %bb.625:                              ;   in Loop: Header=BB7_576 Depth=1
	s_mov_b64 s[20:21], 0
	v_mov_b64_e32 v[20:21], 0
	s_mov_b64 s[22:23], s[0:1]
.LBB7_626:                              ;   Parent Loop BB7_576 Depth=1
                                        ; =>  This Inner Loop Header: Depth=2
	global_load_ubyte v2, v27, s[22:23]
	s_add_i32 s24, s24, -1
	s_waitcnt vmcnt(0)
	v_and_b32_e32 v26, 0xffff, v2
	v_lshlrev_b64 v[2:3], s20, v[26:27]
	s_add_u32 s20, s20, 8
	s_addc_u32 s21, s21, 0
	s_add_u32 s22, s22, 1
	s_addc_u32 s23, s23, 0
	v_or_b32_e32 v20, v2, v20
	s_cmp_lg_u32 s24, 0
	v_or_b32_e32 v21, v3, v21
	s_cbranch_scc1 .LBB7_626
	s_branch .LBB7_629
.LBB7_627:                              ;   in Loop: Header=BB7_576 Depth=1
	s_branch .LBB7_630
.LBB7_628:                              ;   in Loop: Header=BB7_576 Depth=1
	v_mov_b64_e32 v[20:21], 0
.LBB7_629:                              ;   in Loop: Header=BB7_576 Depth=1
	s_cbranch_execnz .LBB7_631
.LBB7_630:                              ;   in Loop: Header=BB7_576 Depth=1
	global_load_dwordx2 v[20:21], v27, s[0:1]
.LBB7_631:                              ;   in Loop: Header=BB7_576 Depth=1
	v_readfirstlane_b32 s0, v36
	v_mov_b64_e32 v[2:3], 0
	s_nop 0
	v_cmp_eq_u32_e64 s[0:1], s0, v36
	s_and_saveexec_b64 s[20:21], s[0:1]
	s_cbranch_execz .LBB7_637
; %bb.632:                              ;   in Loop: Header=BB7_576 Depth=1
	global_load_dwordx2 v[24:25], v27, s[2:3] offset:24 sc0 sc1
	s_waitcnt vmcnt(0)
	buffer_inv sc0 sc1
	global_load_dwordx2 v[2:3], v27, s[2:3] offset:40
	global_load_dwordx2 v[22:23], v27, s[2:3]
	s_waitcnt vmcnt(1)
	v_and_b32_e32 v2, v2, v24
	v_and_b32_e32 v3, v3, v25
	v_mul_lo_u32 v3, v3, 24
	v_mul_hi_u32 v26, v2, 24
	v_add_u32_e32 v3, v26, v3
	v_mul_lo_u32 v2, v2, 24
	s_waitcnt vmcnt(0)
	v_lshl_add_u64 v[2:3], v[22:23], 0, v[2:3]
	global_load_dwordx2 v[22:23], v[2:3], off sc0 sc1
	s_waitcnt vmcnt(0)
	global_atomic_cmpswap_x2 v[2:3], v27, v[22:25], s[2:3] offset:24 sc0 sc1
	s_waitcnt vmcnt(0)
	buffer_inv sc0 sc1
	v_cmp_ne_u64_e32 vcc, v[2:3], v[24:25]
	s_and_saveexec_b64 s[22:23], vcc
	s_cbranch_execz .LBB7_636
; %bb.633:                              ;   in Loop: Header=BB7_576 Depth=1
	s_mov_b64 s[24:25], 0
.LBB7_634:                              ;   Parent Loop BB7_576 Depth=1
                                        ; =>  This Inner Loop Header: Depth=2
	s_sleep 1
	global_load_dwordx2 v[22:23], v27, s[2:3] offset:40
	global_load_dwordx2 v[30:31], v27, s[2:3]
	v_mov_b64_e32 v[24:25], v[2:3]
	s_waitcnt vmcnt(1)
	v_and_b32_e32 v2, v22, v24
	s_waitcnt vmcnt(0)
	v_mad_u64_u32 v[2:3], s[26:27], v2, 24, v[30:31]
	v_and_b32_e32 v23, v23, v25
	v_mov_b32_e32 v22, v3
	v_mad_u64_u32 v[22:23], s[26:27], v23, 24, v[22:23]
	v_mov_b32_e32 v3, v22
	global_load_dwordx2 v[22:23], v[2:3], off sc0 sc1
	s_waitcnt vmcnt(0)
	global_atomic_cmpswap_x2 v[2:3], v27, v[22:25], s[2:3] offset:24 sc0 sc1
	s_waitcnt vmcnt(0)
	buffer_inv sc0 sc1
	v_cmp_eq_u64_e32 vcc, v[2:3], v[24:25]
	s_or_b64 s[24:25], vcc, s[24:25]
	s_andn2_b64 exec, exec, s[24:25]
	s_cbranch_execnz .LBB7_634
; %bb.635:                              ;   in Loop: Header=BB7_576 Depth=1
	s_or_b64 exec, exec, s[24:25]
.LBB7_636:                              ;   in Loop: Header=BB7_576 Depth=1
	s_or_b64 exec, exec, s[22:23]
.LBB7_637:                              ;   in Loop: Header=BB7_576 Depth=1
	s_or_b64 exec, exec, s[20:21]
	global_load_dwordx2 v[30:31], v27, s[2:3] offset:40
	global_load_dwordx4 v[22:25], v27, s[2:3]
	v_readfirstlane_b32 s20, v2
	v_readfirstlane_b32 s21, v3
	s_mov_b64 s[22:23], exec
	s_waitcnt vmcnt(1)
	v_readfirstlane_b32 s24, v30
	v_readfirstlane_b32 s25, v31
	s_and_b64 s[24:25], s[20:21], s[24:25]
	s_mul_i32 s15, s25, 24
	s_mul_hi_u32 s26, s24, 24
	s_add_i32 s27, s26, s15
	s_mul_i32 s26, s24, 24
	s_waitcnt vmcnt(0)
	v_lshl_add_u64 v[30:31], v[22:23], 0, s[26:27]
	s_and_saveexec_b64 s[26:27], s[0:1]
	s_cbranch_execz .LBB7_639
; %bb.638:                              ;   in Loop: Header=BB7_576 Depth=1
	v_mov_b64_e32 v[2:3], s[22:23]
	global_store_dwordx4 v[30:31], v[2:5], off offset:8
.LBB7_639:                              ;   in Loop: Header=BB7_576 Depth=1
	s_or_b64 exec, exec, s[26:27]
	s_lshl_b64 s[22:23], s[24:25], 12
	v_lshl_add_u64 v[2:3], v[24:25], 0, s[22:23]
	v_or_b32_e32 v24, 2, v6
	v_cmp_gt_u64_e64 vcc, s[16:17], 56
	s_lshl_b32 s15, s18, 2
	s_add_i32 s15, s15, 28
	v_cndmask_b32_e32 v6, v24, v6, vcc
	s_and_b32 s15, s15, 0x1e0
	v_and_b32_e32 v6, 0xffffff1f, v6
	v_or_b32_e32 v6, s15, v6
	v_readfirstlane_b32 s22, v2
	v_readfirstlane_b32 s23, v3
	s_nop 4
	global_store_dwordx4 v28, v[6:9], s[22:23]
	global_store_dwordx4 v28, v[10:13], s[22:23] offset:16
	global_store_dwordx4 v28, v[14:17], s[22:23] offset:32
	;; [unrolled: 1-line block ×3, first 2 shown]
	s_and_saveexec_b64 s[22:23], s[0:1]
	s_cbranch_execz .LBB7_647
; %bb.640:                              ;   in Loop: Header=BB7_576 Depth=1
	global_load_dwordx2 v[14:15], v27, s[2:3] offset:32 sc0 sc1
	global_load_dwordx2 v[6:7], v27, s[2:3] offset:40
	v_mov_b32_e32 v12, s20
	v_mov_b32_e32 v13, s21
	s_waitcnt vmcnt(0)
	v_readfirstlane_b32 s24, v6
	v_readfirstlane_b32 s25, v7
	s_and_b64 s[24:25], s[24:25], s[20:21]
	s_mul_i32 s15, s25, 24
	s_mul_hi_u32 s25, s24, 24
	s_mul_i32 s24, s24, 24
	s_add_i32 s25, s25, s15
	v_lshl_add_u64 v[10:11], v[22:23], 0, s[24:25]
	global_store_dwordx2 v[10:11], v[14:15], off
	buffer_wbl2 sc0 sc1
	s_waitcnt vmcnt(0)
	global_atomic_cmpswap_x2 v[8:9], v27, v[12:15], s[2:3] offset:32 sc0 sc1
	s_waitcnt vmcnt(0)
	v_cmp_ne_u64_e32 vcc, v[8:9], v[14:15]
	s_and_saveexec_b64 s[24:25], vcc
	s_cbranch_execz .LBB7_643
; %bb.641:                              ;   in Loop: Header=BB7_576 Depth=1
	s_mov_b64 s[26:27], 0
.LBB7_642:                              ;   Parent Loop BB7_576 Depth=1
                                        ; =>  This Inner Loop Header: Depth=2
	s_sleep 1
	global_store_dwordx2 v[10:11], v[8:9], off
	v_mov_b32_e32 v6, s20
	v_mov_b32_e32 v7, s21
	buffer_wbl2 sc0 sc1
	s_waitcnt vmcnt(0)
	global_atomic_cmpswap_x2 v[6:7], v27, v[6:9], s[2:3] offset:32 sc0 sc1
	s_waitcnt vmcnt(0)
	v_cmp_eq_u64_e32 vcc, v[6:7], v[8:9]
	s_or_b64 s[26:27], vcc, s[26:27]
	v_mov_b64_e32 v[8:9], v[6:7]
	s_andn2_b64 exec, exec, s[26:27]
	s_cbranch_execnz .LBB7_642
.LBB7_643:                              ;   in Loop: Header=BB7_576 Depth=1
	s_or_b64 exec, exec, s[24:25]
	global_load_dwordx2 v[6:7], v27, s[2:3] offset:16
	s_mov_b64 s[26:27], exec
	v_mbcnt_lo_u32_b32 v8, s26, 0
	v_mbcnt_hi_u32_b32 v8, s27, v8
	v_cmp_eq_u32_e32 vcc, 0, v8
	s_and_saveexec_b64 s[24:25], vcc
	s_cbranch_execz .LBB7_645
; %bb.644:                              ;   in Loop: Header=BB7_576 Depth=1
	s_bcnt1_i32_b64 s15, s[26:27]
	v_mov_b32_e32 v26, s15
	buffer_wbl2 sc0 sc1
	s_waitcnt vmcnt(0)
	global_atomic_add_x2 v[6:7], v[26:27], off offset:8 sc1
.LBB7_645:                              ;   in Loop: Header=BB7_576 Depth=1
	s_or_b64 exec, exec, s[24:25]
	s_waitcnt vmcnt(0)
	global_load_dwordx2 v[8:9], v[6:7], off offset:16
	s_waitcnt vmcnt(0)
	v_cmp_eq_u64_e32 vcc, 0, v[8:9]
	s_cbranch_vccnz .LBB7_647
; %bb.646:                              ;   in Loop: Header=BB7_576 Depth=1
	global_load_dword v26, v[6:7], off offset:24
	s_waitcnt vmcnt(0)
	v_and_b32_e32 v6, 0xffffff, v26
	s_nop 0
	v_readfirstlane_b32 m0, v6
	buffer_wbl2 sc0 sc1
	global_store_dwordx2 v[8:9], v[26:27], off sc0 sc1
	s_sendmsg sendmsg(MSG_INTERRUPT)
.LBB7_647:                              ;   in Loop: Header=BB7_576 Depth=1
	s_or_b64 exec, exec, s[22:23]
	v_mov_b32_e32 v29, v27
	v_lshl_add_u64 v[2:3], v[2:3], 0, v[28:29]
	s_branch .LBB7_651
.LBB7_648:                              ;   in Loop: Header=BB7_651 Depth=2
	s_or_b64 exec, exec, s[22:23]
	v_readfirstlane_b32 s15, v6
	s_cmp_eq_u32 s15, 0
	s_cbranch_scc1 .LBB7_650
; %bb.649:                              ;   in Loop: Header=BB7_651 Depth=2
	s_sleep 1
	s_cbranch_execnz .LBB7_651
	s_branch .LBB7_653
.LBB7_650:                              ;   in Loop: Header=BB7_576 Depth=1
	s_branch .LBB7_653
.LBB7_651:                              ;   Parent Loop BB7_576 Depth=1
                                        ; =>  This Inner Loop Header: Depth=2
	v_mov_b32_e32 v6, 1
	s_and_saveexec_b64 s[22:23], s[0:1]
	s_cbranch_execz .LBB7_648
; %bb.652:                              ;   in Loop: Header=BB7_651 Depth=2
	global_load_dword v6, v[30:31], off offset:20 sc0 sc1
	s_waitcnt vmcnt(0)
	buffer_inv sc0 sc1
	v_and_b32_e32 v6, 1, v6
	s_branch .LBB7_648
.LBB7_653:                              ;   in Loop: Header=BB7_576 Depth=1
	global_load_dwordx4 v[6:9], v[2:3], off
	s_and_saveexec_b64 s[22:23], s[0:1]
	s_cbranch_execz .LBB7_575
; %bb.654:                              ;   in Loop: Header=BB7_576 Depth=1
	global_load_dwordx2 v[2:3], v27, s[2:3] offset:40
	global_load_dwordx2 v[12:13], v27, s[2:3] offset:24 sc0 sc1
	global_load_dwordx2 v[14:15], v27, s[2:3]
	s_waitcnt vmcnt(2)
	v_lshl_add_u64 v[8:9], v[2:3], 0, 1
	v_lshl_add_u64 v[16:17], v[8:9], 0, s[20:21]
	v_cmp_eq_u64_e32 vcc, 0, v[16:17]
	s_waitcnt vmcnt(1)
	v_mov_b32_e32 v10, v12
	v_cndmask_b32_e32 v9, v17, v9, vcc
	v_cndmask_b32_e32 v8, v16, v8, vcc
	v_and_b32_e32 v3, v9, v3
	v_and_b32_e32 v2, v8, v2
	v_mul_lo_u32 v3, v3, 24
	v_mul_hi_u32 v11, v2, 24
	v_mul_lo_u32 v2, v2, 24
	v_add_u32_e32 v3, v11, v3
	s_waitcnt vmcnt(0)
	v_lshl_add_u64 v[2:3], v[14:15], 0, v[2:3]
	global_store_dwordx2 v[2:3], v[12:13], off
	v_mov_b32_e32 v11, v13
	buffer_wbl2 sc0 sc1
	s_waitcnt vmcnt(0)
	global_atomic_cmpswap_x2 v[10:11], v27, v[8:11], s[2:3] offset:24 sc0 sc1
	s_waitcnt vmcnt(0)
	v_cmp_ne_u64_e32 vcc, v[10:11], v[12:13]
	s_and_b64 exec, exec, vcc
	s_cbranch_execz .LBB7_575
; %bb.655:                              ;   in Loop: Header=BB7_576 Depth=1
	s_mov_b64 s[0:1], 0
.LBB7_656:                              ;   Parent Loop BB7_576 Depth=1
                                        ; =>  This Inner Loop Header: Depth=2
	s_sleep 1
	global_store_dwordx2 v[2:3], v[10:11], off
	buffer_wbl2 sc0 sc1
	s_waitcnt vmcnt(0)
	global_atomic_cmpswap_x2 v[12:13], v27, v[8:11], s[2:3] offset:24 sc0 sc1
	s_waitcnt vmcnt(0)
	v_cmp_eq_u64_e32 vcc, v[12:13], v[10:11]
	s_or_b64 s[0:1], vcc, s[0:1]
	v_mov_b64_e32 v[10:11], v[12:13]
	s_andn2_b64 exec, exec, s[0:1]
	s_cbranch_execnz .LBB7_656
	s_branch .LBB7_575
.LBB7_657:
	s_branch .LBB7_685
.LBB7_658:
	s_cbranch_execz .LBB7_685
; %bb.659:
	v_readfirstlane_b32 s0, v36
	s_waitcnt vmcnt(0)
	v_mov_b64_e32 v[8:9], 0
	v_cmp_eq_u32_e64 s[0:1], s0, v36
	s_and_saveexec_b64 s[10:11], s[0:1]
	s_cbranch_execz .LBB7_665
; %bb.660:
	v_mov_b32_e32 v2, 0
	global_load_dwordx2 v[6:7], v2, s[2:3] offset:24 sc0 sc1
	s_waitcnt vmcnt(0)
	buffer_inv sc0 sc1
	global_load_dwordx2 v[4:5], v2, s[2:3] offset:40
	global_load_dwordx2 v[8:9], v2, s[2:3]
	s_waitcnt vmcnt(1)
	v_and_b32_e32 v3, v4, v6
	v_and_b32_e32 v4, v5, v7
	v_mul_lo_u32 v4, v4, 24
	v_mul_hi_u32 v5, v3, 24
	v_add_u32_e32 v5, v5, v4
	v_mul_lo_u32 v4, v3, 24
	s_waitcnt vmcnt(0)
	v_lshl_add_u64 v[4:5], v[8:9], 0, v[4:5]
	global_load_dwordx2 v[4:5], v[4:5], off sc0 sc1
	s_waitcnt vmcnt(0)
	global_atomic_cmpswap_x2 v[8:9], v2, v[4:7], s[2:3] offset:24 sc0 sc1
	s_waitcnt vmcnt(0)
	buffer_inv sc0 sc1
	v_cmp_ne_u64_e32 vcc, v[8:9], v[6:7]
	s_and_saveexec_b64 s[16:17], vcc
	s_cbranch_execz .LBB7_664
; %bb.661:
	s_mov_b64 s[18:19], 0
.LBB7_662:                              ; =>This Inner Loop Header: Depth=1
	s_sleep 1
	global_load_dwordx2 v[4:5], v2, s[2:3] offset:40
	global_load_dwordx2 v[10:11], v2, s[2:3]
	v_mov_b64_e32 v[6:7], v[8:9]
	s_waitcnt vmcnt(1)
	v_and_b32_e32 v4, v4, v6
	v_and_b32_e32 v3, v5, v7
	s_waitcnt vmcnt(0)
	v_mad_u64_u32 v[4:5], s[20:21], v4, 24, v[10:11]
	v_mov_b32_e32 v8, v5
	v_mad_u64_u32 v[8:9], s[20:21], v3, 24, v[8:9]
	v_mov_b32_e32 v5, v8
	global_load_dwordx2 v[4:5], v[4:5], off sc0 sc1
	s_waitcnt vmcnt(0)
	global_atomic_cmpswap_x2 v[8:9], v2, v[4:7], s[2:3] offset:24 sc0 sc1
	s_waitcnt vmcnt(0)
	buffer_inv sc0 sc1
	v_cmp_eq_u64_e32 vcc, v[8:9], v[6:7]
	s_or_b64 s[18:19], vcc, s[18:19]
	s_andn2_b64 exec, exec, s[18:19]
	s_cbranch_execnz .LBB7_662
; %bb.663:
	s_or_b64 exec, exec, s[18:19]
.LBB7_664:
	s_or_b64 exec, exec, s[16:17]
.LBB7_665:
	s_or_b64 exec, exec, s[10:11]
	v_mov_b32_e32 v2, 0
	global_load_dwordx2 v[10:11], v2, s[2:3] offset:40
	global_load_dwordx4 v[4:7], v2, s[2:3]
	v_readfirstlane_b32 s10, v8
	v_readfirstlane_b32 s11, v9
	s_mov_b64 s[16:17], exec
	s_waitcnt vmcnt(1)
	v_readfirstlane_b32 s18, v10
	v_readfirstlane_b32 s19, v11
	s_and_b64 s[18:19], s[10:11], s[18:19]
	s_mul_i32 s15, s19, 24
	s_mul_hi_u32 s20, s18, 24
	s_add_i32 s21, s20, s15
	s_mul_i32 s20, s18, 24
	s_waitcnt vmcnt(0)
	v_lshl_add_u64 v[8:9], v[4:5], 0, s[20:21]
	s_and_saveexec_b64 s[20:21], s[0:1]
	s_cbranch_execz .LBB7_667
; %bb.666:
	v_mov_b64_e32 v[10:11], s[16:17]
	v_mov_b32_e32 v12, 2
	v_mov_b32_e32 v13, 1
	global_store_dwordx4 v[8:9], v[10:13], off offset:8
.LBB7_667:
	s_or_b64 exec, exec, s[20:21]
	s_lshl_b64 s[16:17], s[18:19], 12
	v_lshl_add_u64 v[6:7], v[6:7], 0, s[16:17]
	s_movk_i32 s15, 0xff1d
	s_mov_b32 s16, 0
	v_and_or_b32 v0, v0, s15, 34
	v_mov_b32_e32 v3, v2
	v_readfirstlane_b32 s20, v6
	v_readfirstlane_b32 s21, v7
	s_mov_b32 s17, s16
	s_mov_b32 s18, s16
	;; [unrolled: 1-line block ×3, first 2 shown]
	s_nop 1
	global_store_dwordx4 v28, v[0:3], s[20:21]
	s_nop 1
	v_mov_b64_e32 v[0:1], s[16:17]
	v_mov_b64_e32 v[2:3], s[18:19]
	global_store_dwordx4 v28, v[0:3], s[20:21] offset:16
	global_store_dwordx4 v28, v[0:3], s[20:21] offset:32
	;; [unrolled: 1-line block ×3, first 2 shown]
	s_and_saveexec_b64 s[16:17], s[0:1]
	s_cbranch_execz .LBB7_675
; %bb.668:
	v_mov_b32_e32 v6, 0
	global_load_dwordx2 v[12:13], v6, s[2:3] offset:32 sc0 sc1
	global_load_dwordx2 v[0:1], v6, s[2:3] offset:40
	v_mov_b32_e32 v10, s10
	v_mov_b32_e32 v11, s11
	s_waitcnt vmcnt(0)
	v_readfirstlane_b32 s18, v0
	v_readfirstlane_b32 s19, v1
	s_and_b64 s[18:19], s[18:19], s[10:11]
	s_mul_i32 s15, s19, 24
	s_mul_hi_u32 s19, s18, 24
	s_mul_i32 s18, s18, 24
	s_add_i32 s19, s19, s15
	v_lshl_add_u64 v[4:5], v[4:5], 0, s[18:19]
	global_store_dwordx2 v[4:5], v[12:13], off
	buffer_wbl2 sc0 sc1
	s_waitcnt vmcnt(0)
	global_atomic_cmpswap_x2 v[2:3], v6, v[10:13], s[2:3] offset:32 sc0 sc1
	s_waitcnt vmcnt(0)
	v_cmp_ne_u64_e32 vcc, v[2:3], v[12:13]
	s_and_saveexec_b64 s[18:19], vcc
	s_cbranch_execz .LBB7_671
; %bb.669:
	s_mov_b64 s[20:21], 0
.LBB7_670:                              ; =>This Inner Loop Header: Depth=1
	s_sleep 1
	global_store_dwordx2 v[4:5], v[2:3], off
	v_mov_b32_e32 v0, s10
	v_mov_b32_e32 v1, s11
	buffer_wbl2 sc0 sc1
	s_waitcnt vmcnt(0)
	global_atomic_cmpswap_x2 v[0:1], v6, v[0:3], s[2:3] offset:32 sc0 sc1
	s_waitcnt vmcnt(0)
	v_cmp_eq_u64_e32 vcc, v[0:1], v[2:3]
	s_or_b64 s[20:21], vcc, s[20:21]
	v_mov_b64_e32 v[2:3], v[0:1]
	s_andn2_b64 exec, exec, s[20:21]
	s_cbranch_execnz .LBB7_670
.LBB7_671:
	s_or_b64 exec, exec, s[18:19]
	v_mov_b32_e32 v3, 0
	global_load_dwordx2 v[0:1], v3, s[2:3] offset:16
	s_mov_b64 s[18:19], exec
	v_mbcnt_lo_u32_b32 v2, s18, 0
	v_mbcnt_hi_u32_b32 v2, s19, v2
	v_cmp_eq_u32_e32 vcc, 0, v2
	s_and_saveexec_b64 s[20:21], vcc
	s_cbranch_execz .LBB7_673
; %bb.672:
	s_bcnt1_i32_b64 s15, s[18:19]
	v_mov_b32_e32 v2, s15
	buffer_wbl2 sc0 sc1
	s_waitcnt vmcnt(0)
	global_atomic_add_x2 v[0:1], v[2:3], off offset:8 sc1
.LBB7_673:
	s_or_b64 exec, exec, s[20:21]
	s_waitcnt vmcnt(0)
	global_load_dwordx2 v[2:3], v[0:1], off offset:16
	s_waitcnt vmcnt(0)
	v_cmp_eq_u64_e32 vcc, 0, v[2:3]
	s_cbranch_vccnz .LBB7_675
; %bb.674:
	global_load_dword v0, v[0:1], off offset:24
	v_mov_b32_e32 v1, 0
	buffer_wbl2 sc0 sc1
	s_waitcnt vmcnt(0)
	global_store_dwordx2 v[2:3], v[0:1], off sc0 sc1
	v_and_b32_e32 v0, 0xffffff, v0
	s_nop 0
	v_readfirstlane_b32 m0, v0
	s_sendmsg sendmsg(MSG_INTERRUPT)
.LBB7_675:
	s_or_b64 exec, exec, s[16:17]
	s_branch .LBB7_679
.LBB7_676:                              ;   in Loop: Header=BB7_679 Depth=1
	s_or_b64 exec, exec, s[16:17]
	v_readfirstlane_b32 s15, v0
	s_cmp_eq_u32 s15, 0
	s_cbranch_scc1 .LBB7_678
; %bb.677:                              ;   in Loop: Header=BB7_679 Depth=1
	s_sleep 1
	s_cbranch_execnz .LBB7_679
	s_branch .LBB7_681
.LBB7_678:
	s_branch .LBB7_681
.LBB7_679:                              ; =>This Inner Loop Header: Depth=1
	v_mov_b32_e32 v0, 1
	s_and_saveexec_b64 s[16:17], s[0:1]
	s_cbranch_execz .LBB7_676
; %bb.680:                              ;   in Loop: Header=BB7_679 Depth=1
	global_load_dword v0, v[8:9], off offset:20 sc0 sc1
	s_waitcnt vmcnt(0)
	buffer_inv sc0 sc1
	v_and_b32_e32 v0, 1, v0
	s_branch .LBB7_676
.LBB7_681:
	s_and_saveexec_b64 s[16:17], s[0:1]
	s_cbranch_execz .LBB7_684
; %bb.682:
	v_mov_b32_e32 v6, 0
	global_load_dwordx2 v[4:5], v6, s[2:3] offset:40
	global_load_dwordx2 v[8:9], v6, s[2:3] offset:24 sc0 sc1
	global_load_dwordx2 v[10:11], v6, s[2:3]
	s_mov_b64 s[0:1], 0
	s_waitcnt vmcnt(2)
	v_lshl_add_u64 v[0:1], v[4:5], 0, 1
	v_lshl_add_u64 v[12:13], v[0:1], 0, s[10:11]
	v_cmp_eq_u64_e32 vcc, 0, v[12:13]
	s_waitcnt vmcnt(1)
	v_mov_b32_e32 v2, v8
	v_cndmask_b32_e32 v1, v13, v1, vcc
	v_cndmask_b32_e32 v0, v12, v0, vcc
	v_and_b32_e32 v3, v1, v5
	v_and_b32_e32 v4, v0, v4
	v_mul_lo_u32 v3, v3, 24
	v_mul_hi_u32 v5, v4, 24
	v_mul_lo_u32 v4, v4, 24
	v_add_u32_e32 v5, v5, v3
	s_waitcnt vmcnt(0)
	v_lshl_add_u64 v[4:5], v[10:11], 0, v[4:5]
	global_store_dwordx2 v[4:5], v[8:9], off
	v_mov_b32_e32 v3, v9
	buffer_wbl2 sc0 sc1
	s_waitcnt vmcnt(0)
	global_atomic_cmpswap_x2 v[2:3], v6, v[0:3], s[2:3] offset:24 sc0 sc1
	s_waitcnt vmcnt(0)
	v_cmp_ne_u64_e32 vcc, v[2:3], v[8:9]
	s_and_b64 exec, exec, vcc
	s_cbranch_execz .LBB7_684
.LBB7_683:                              ; =>This Inner Loop Header: Depth=1
	s_sleep 1
	global_store_dwordx2 v[4:5], v[2:3], off
	buffer_wbl2 sc0 sc1
	s_waitcnt vmcnt(0)
	global_atomic_cmpswap_x2 v[8:9], v6, v[0:3], s[2:3] offset:24 sc0 sc1
	s_waitcnt vmcnt(0)
	v_cmp_eq_u64_e32 vcc, v[8:9], v[2:3]
	s_or_b64 s[0:1], vcc, s[0:1]
	v_mov_b64_e32 v[2:3], v[8:9]
	s_andn2_b64 exec, exec, s[0:1]
	s_cbranch_execnz .LBB7_683
.LBB7_684:
	s_or_b64 exec, exec, s[16:17]
.LBB7_685:
	v_readfirstlane_b32 s0, v36
	s_waitcnt vmcnt(0)
	v_mov_b64_e32 v[4:5], 0
	v_cmp_eq_u32_e64 s[0:1], s0, v36
	s_and_saveexec_b64 s[10:11], s[0:1]
	s_cbranch_execz .LBB7_691
; %bb.686:
	v_mov_b32_e32 v0, 0
	global_load_dwordx2 v[6:7], v0, s[2:3] offset:24 sc0 sc1
	s_waitcnt vmcnt(0)
	buffer_inv sc0 sc1
	global_load_dwordx2 v[2:3], v0, s[2:3] offset:40
	global_load_dwordx2 v[4:5], v0, s[2:3]
	s_waitcnt vmcnt(1)
	v_and_b32_e32 v1, v2, v6
	v_and_b32_e32 v2, v3, v7
	v_mul_lo_u32 v2, v2, 24
	v_mul_hi_u32 v3, v1, 24
	v_add_u32_e32 v3, v3, v2
	v_mul_lo_u32 v2, v1, 24
	s_waitcnt vmcnt(0)
	v_lshl_add_u64 v[2:3], v[4:5], 0, v[2:3]
	global_load_dwordx2 v[4:5], v[2:3], off sc0 sc1
	s_waitcnt vmcnt(0)
	global_atomic_cmpswap_x2 v[4:5], v0, v[4:7], s[2:3] offset:24 sc0 sc1
	s_waitcnt vmcnt(0)
	buffer_inv sc0 sc1
	v_cmp_ne_u64_e32 vcc, v[4:5], v[6:7]
	s_and_saveexec_b64 s[16:17], vcc
	s_cbranch_execz .LBB7_690
; %bb.687:
	s_mov_b64 s[18:19], 0
.LBB7_688:                              ; =>This Inner Loop Header: Depth=1
	s_sleep 1
	global_load_dwordx2 v[2:3], v0, s[2:3] offset:40
	global_load_dwordx2 v[8:9], v0, s[2:3]
	v_mov_b64_e32 v[6:7], v[4:5]
	s_waitcnt vmcnt(1)
	v_and_b32_e32 v2, v2, v6
	v_and_b32_e32 v1, v3, v7
	s_waitcnt vmcnt(0)
	v_mad_u64_u32 v[2:3], s[20:21], v2, 24, v[8:9]
	v_mov_b32_e32 v4, v3
	v_mad_u64_u32 v[4:5], s[20:21], v1, 24, v[4:5]
	v_mov_b32_e32 v3, v4
	global_load_dwordx2 v[4:5], v[2:3], off sc0 sc1
	s_waitcnt vmcnt(0)
	global_atomic_cmpswap_x2 v[4:5], v0, v[4:7], s[2:3] offset:24 sc0 sc1
	s_waitcnt vmcnt(0)
	buffer_inv sc0 sc1
	v_cmp_eq_u64_e32 vcc, v[4:5], v[6:7]
	s_or_b64 s[18:19], vcc, s[18:19]
	s_andn2_b64 exec, exec, s[18:19]
	s_cbranch_execnz .LBB7_688
; %bb.689:
	s_or_b64 exec, exec, s[18:19]
.LBB7_690:
	s_or_b64 exec, exec, s[16:17]
.LBB7_691:
	s_or_b64 exec, exec, s[10:11]
	v_mov_b32_e32 v29, 0
	global_load_dwordx2 v[6:7], v29, s[2:3] offset:40
	global_load_dwordx4 v[0:3], v29, s[2:3]
	v_readfirstlane_b32 s10, v4
	v_readfirstlane_b32 s11, v5
	s_mov_b64 s[16:17], exec
	s_waitcnt vmcnt(1)
	v_readfirstlane_b32 s18, v6
	v_readfirstlane_b32 s19, v7
	s_and_b64 s[18:19], s[10:11], s[18:19]
	s_mul_i32 s15, s19, 24
	s_mul_hi_u32 s20, s18, 24
	s_add_i32 s21, s20, s15
	s_mul_i32 s20, s18, 24
	s_waitcnt vmcnt(0)
	v_lshl_add_u64 v[4:5], v[0:1], 0, s[20:21]
	s_and_saveexec_b64 s[20:21], s[0:1]
	s_cbranch_execz .LBB7_693
; %bb.692:
	v_mov_b64_e32 v[6:7], s[16:17]
	v_mov_b32_e32 v8, 2
	v_mov_b32_e32 v9, 1
	global_store_dwordx4 v[4:5], v[6:9], off offset:8
.LBB7_693:
	s_or_b64 exec, exec, s[20:21]
	s_lshl_b64 s[16:17], s[18:19], 12
	v_lshl_add_u64 v[6:7], v[2:3], 0, s[16:17]
	s_mov_b32 s16, 0
	v_mov_b32_e32 v8, 33
	v_mov_b32_e32 v9, v29
	;; [unrolled: 1-line block ×4, first 2 shown]
	v_readfirstlane_b32 s20, v6
	v_readfirstlane_b32 s21, v7
	s_mov_b32 s17, s16
	s_mov_b32 s18, s16
	;; [unrolled: 1-line block ×3, first 2 shown]
	s_nop 1
	global_store_dwordx4 v28, v[8:11], s[20:21]
	s_nop 1
	v_mov_b64_e32 v[8:9], s[16:17]
	v_mov_b64_e32 v[10:11], s[18:19]
	global_store_dwordx4 v28, v[8:11], s[20:21] offset:16
	global_store_dwordx4 v28, v[8:11], s[20:21] offset:32
	global_store_dwordx4 v28, v[8:11], s[20:21] offset:48
	s_and_saveexec_b64 s[16:17], s[0:1]
	s_cbranch_execz .LBB7_701
; %bb.694:
	v_mov_b32_e32 v10, 0
	global_load_dwordx2 v[14:15], v10, s[2:3] offset:32 sc0 sc1
	global_load_dwordx2 v[2:3], v10, s[2:3] offset:40
	v_mov_b32_e32 v12, s10
	v_mov_b32_e32 v13, s11
	s_waitcnt vmcnt(0)
	v_readfirstlane_b32 s18, v2
	v_readfirstlane_b32 s19, v3
	s_and_b64 s[18:19], s[18:19], s[10:11]
	s_mul_i32 s15, s19, 24
	s_mul_hi_u32 s19, s18, 24
	s_mul_i32 s18, s18, 24
	s_add_i32 s19, s19, s15
	v_lshl_add_u64 v[8:9], v[0:1], 0, s[18:19]
	global_store_dwordx2 v[8:9], v[14:15], off
	buffer_wbl2 sc0 sc1
	s_waitcnt vmcnt(0)
	global_atomic_cmpswap_x2 v[2:3], v10, v[12:15], s[2:3] offset:32 sc0 sc1
	s_waitcnt vmcnt(0)
	v_cmp_ne_u64_e32 vcc, v[2:3], v[14:15]
	s_and_saveexec_b64 s[18:19], vcc
	s_cbranch_execz .LBB7_697
; %bb.695:
	s_mov_b64 s[20:21], 0
.LBB7_696:                              ; =>This Inner Loop Header: Depth=1
	s_sleep 1
	global_store_dwordx2 v[8:9], v[2:3], off
	v_mov_b32_e32 v0, s10
	v_mov_b32_e32 v1, s11
	buffer_wbl2 sc0 sc1
	s_waitcnt vmcnt(0)
	global_atomic_cmpswap_x2 v[0:1], v10, v[0:3], s[2:3] offset:32 sc0 sc1
	s_waitcnt vmcnt(0)
	v_cmp_eq_u64_e32 vcc, v[0:1], v[2:3]
	s_or_b64 s[20:21], vcc, s[20:21]
	v_mov_b64_e32 v[2:3], v[0:1]
	s_andn2_b64 exec, exec, s[20:21]
	s_cbranch_execnz .LBB7_696
.LBB7_697:
	s_or_b64 exec, exec, s[18:19]
	v_mov_b32_e32 v3, 0
	global_load_dwordx2 v[0:1], v3, s[2:3] offset:16
	s_mov_b64 s[18:19], exec
	v_mbcnt_lo_u32_b32 v2, s18, 0
	v_mbcnt_hi_u32_b32 v2, s19, v2
	v_cmp_eq_u32_e32 vcc, 0, v2
	s_and_saveexec_b64 s[20:21], vcc
	s_cbranch_execz .LBB7_699
; %bb.698:
	s_bcnt1_i32_b64 s15, s[18:19]
	v_mov_b32_e32 v2, s15
	buffer_wbl2 sc0 sc1
	s_waitcnt vmcnt(0)
	global_atomic_add_x2 v[0:1], v[2:3], off offset:8 sc1
.LBB7_699:
	s_or_b64 exec, exec, s[20:21]
	s_waitcnt vmcnt(0)
	global_load_dwordx2 v[2:3], v[0:1], off offset:16
	s_waitcnt vmcnt(0)
	v_cmp_eq_u64_e32 vcc, 0, v[2:3]
	s_cbranch_vccnz .LBB7_701
; %bb.700:
	global_load_dword v0, v[0:1], off offset:24
	v_mov_b32_e32 v1, 0
	buffer_wbl2 sc0 sc1
	s_waitcnt vmcnt(0)
	global_store_dwordx2 v[2:3], v[0:1], off sc0 sc1
	v_and_b32_e32 v0, 0xffffff, v0
	s_nop 0
	v_readfirstlane_b32 m0, v0
	s_sendmsg sendmsg(MSG_INTERRUPT)
.LBB7_701:
	s_or_b64 exec, exec, s[16:17]
	v_lshl_add_u64 v[0:1], v[6:7], 0, v[28:29]
	s_branch .LBB7_705
.LBB7_702:                              ;   in Loop: Header=BB7_705 Depth=1
	s_or_b64 exec, exec, s[16:17]
	v_readfirstlane_b32 s15, v2
	s_cmp_eq_u32 s15, 0
	s_cbranch_scc1 .LBB7_704
; %bb.703:                              ;   in Loop: Header=BB7_705 Depth=1
	s_sleep 1
	s_cbranch_execnz .LBB7_705
	s_branch .LBB7_707
.LBB7_704:
	s_branch .LBB7_707
.LBB7_705:                              ; =>This Inner Loop Header: Depth=1
	v_mov_b32_e32 v2, 1
	s_and_saveexec_b64 s[16:17], s[0:1]
	s_cbranch_execz .LBB7_702
; %bb.706:                              ;   in Loop: Header=BB7_705 Depth=1
	global_load_dword v2, v[4:5], off offset:20 sc0 sc1
	s_waitcnt vmcnt(0)
	buffer_inv sc0 sc1
	v_and_b32_e32 v2, 1, v2
	s_branch .LBB7_702
.LBB7_707:
	global_load_dwordx2 v[0:1], v[0:1], off
	s_and_saveexec_b64 s[16:17], s[0:1]
	s_cbranch_execz .LBB7_710
; %bb.708:
	v_mov_b32_e32 v8, 0
	global_load_dwordx2 v[6:7], v8, s[2:3] offset:40
	global_load_dwordx2 v[10:11], v8, s[2:3] offset:24 sc0 sc1
	global_load_dwordx2 v[12:13], v8, s[2:3]
	s_mov_b64 s[0:1], 0
	s_waitcnt vmcnt(2)
	v_lshl_add_u64 v[2:3], v[6:7], 0, 1
	v_lshl_add_u64 v[14:15], v[2:3], 0, s[10:11]
	v_cmp_eq_u64_e32 vcc, 0, v[14:15]
	s_waitcnt vmcnt(1)
	v_mov_b32_e32 v4, v10
	v_cndmask_b32_e32 v3, v15, v3, vcc
	v_cndmask_b32_e32 v2, v14, v2, vcc
	v_and_b32_e32 v5, v3, v7
	v_and_b32_e32 v6, v2, v6
	v_mul_lo_u32 v5, v5, 24
	v_mul_hi_u32 v7, v6, 24
	v_mul_lo_u32 v6, v6, 24
	v_add_u32_e32 v7, v7, v5
	s_waitcnt vmcnt(0)
	v_lshl_add_u64 v[6:7], v[12:13], 0, v[6:7]
	global_store_dwordx2 v[6:7], v[10:11], off
	v_mov_b32_e32 v5, v11
	buffer_wbl2 sc0 sc1
	s_waitcnt vmcnt(0)
	global_atomic_cmpswap_x2 v[4:5], v8, v[2:5], s[2:3] offset:24 sc0 sc1
	s_waitcnt vmcnt(0)
	v_cmp_ne_u64_e32 vcc, v[4:5], v[10:11]
	s_and_b64 exec, exec, vcc
	s_cbranch_execz .LBB7_710
.LBB7_709:                              ; =>This Inner Loop Header: Depth=1
	s_sleep 1
	global_store_dwordx2 v[6:7], v[4:5], off
	buffer_wbl2 sc0 sc1
	s_waitcnt vmcnt(0)
	global_atomic_cmpswap_x2 v[10:11], v8, v[2:5], s[2:3] offset:24 sc0 sc1
	s_waitcnt vmcnt(0)
	v_cmp_eq_u64_e32 vcc, v[10:11], v[4:5]
	s_or_b64 s[0:1], vcc, s[0:1]
	v_mov_b64_e32 v[4:5], v[10:11]
	s_andn2_b64 exec, exec, s[0:1]
	s_cbranch_execnz .LBB7_709
.LBB7_710:
	s_or_b64 exec, exec, s[16:17]
	s_and_b64 vcc, exec, s[6:7]
	s_cbranch_vccz .LBB7_795
; %bb.711:
	s_waitcnt vmcnt(0)
	v_and_b32_e32 v30, 2, v0
	v_mov_b32_e32 v33, 0
	v_and_b32_e32 v2, -3, v0
	v_mov_b32_e32 v3, v1
	s_mov_b64 s[16:17], 3
	v_mov_b32_e32 v6, 2
	v_mov_b32_e32 v7, 1
	s_getpc_b64 s[10:11]
	s_add_u32 s10, s10, .str.6@rel32@lo+4
	s_addc_u32 s11, s11, .str.6@rel32@hi+12
	s_branch .LBB7_713
.LBB7_712:                              ;   in Loop: Header=BB7_713 Depth=1
	s_or_b64 exec, exec, s[22:23]
	s_sub_u32 s16, s16, s18
	s_subb_u32 s17, s17, s19
	s_add_u32 s10, s10, s18
	s_addc_u32 s11, s11, s19
	s_cmp_lg_u64 s[16:17], 0
	s_cbranch_scc0 .LBB7_794
.LBB7_713:                              ; =>This Loop Header: Depth=1
                                        ;     Child Loop BB7_716 Depth 2
                                        ;     Child Loop BB7_723 Depth 2
	;; [unrolled: 1-line block ×11, first 2 shown]
	v_cmp_lt_u64_e64 s[0:1], s[16:17], 56
	s_and_b64 s[0:1], s[0:1], exec
	v_cmp_gt_u64_e64 s[0:1], s[16:17], 7
	s_cselect_b32 s19, s17, 0
	s_cselect_b32 s18, s16, 56
	s_and_b64 vcc, exec, s[0:1]
	s_cbranch_vccnz .LBB7_718
; %bb.714:                              ;   in Loop: Header=BB7_713 Depth=1
	s_mov_b64 s[0:1], 0
	s_cmp_eq_u64 s[16:17], 0
	v_mov_b64_e32 v[10:11], 0
	s_cbranch_scc1 .LBB7_717
; %bb.715:                              ;   in Loop: Header=BB7_713 Depth=1
	s_lshl_b64 s[20:21], s[18:19], 3
	s_mov_b64 s[22:23], 0
	v_mov_b64_e32 v[10:11], 0
	s_mov_b64 s[24:25], s[10:11]
.LBB7_716:                              ;   Parent Loop BB7_713 Depth=1
                                        ; =>  This Inner Loop Header: Depth=2
	global_load_ubyte v4, v33, s[24:25]
	s_waitcnt vmcnt(0)
	v_and_b32_e32 v32, 0xffff, v4
	v_lshlrev_b64 v[4:5], s22, v[32:33]
	s_add_u32 s22, s22, 8
	s_addc_u32 s23, s23, 0
	s_add_u32 s24, s24, 1
	s_addc_u32 s25, s25, 0
	v_or_b32_e32 v10, v4, v10
	s_cmp_lg_u32 s20, s22
	v_or_b32_e32 v11, v5, v11
	s_cbranch_scc1 .LBB7_716
.LBB7_717:                              ;   in Loop: Header=BB7_713 Depth=1
	s_mov_b32 s15, 0
	s_andn2_b64 vcc, exec, s[0:1]
	s_mov_b64 s[0:1], s[10:11]
	s_cbranch_vccz .LBB7_719
	s_branch .LBB7_720
.LBB7_718:                              ;   in Loop: Header=BB7_713 Depth=1
                                        ; implicit-def: $vgpr10_vgpr11
                                        ; implicit-def: $sgpr15
	s_mov_b64 s[0:1], s[10:11]
.LBB7_719:                              ;   in Loop: Header=BB7_713 Depth=1
	global_load_dwordx2 v[10:11], v33, s[10:11]
	s_add_i32 s15, s18, -8
	s_add_u32 s0, s10, 8
	s_addc_u32 s1, s11, 0
.LBB7_720:                              ;   in Loop: Header=BB7_713 Depth=1
	s_cmp_gt_u32 s15, 7
	s_cbranch_scc1 .LBB7_724
; %bb.721:                              ;   in Loop: Header=BB7_713 Depth=1
	s_cmp_eq_u32 s15, 0
	s_cbranch_scc1 .LBB7_725
; %bb.722:                              ;   in Loop: Header=BB7_713 Depth=1
	s_mov_b64 s[20:21], 0
	v_mov_b64_e32 v[12:13], 0
	s_mov_b64 s[22:23], 0
.LBB7_723:                              ;   Parent Loop BB7_713 Depth=1
                                        ; =>  This Inner Loop Header: Depth=2
	s_add_u32 s24, s0, s22
	s_addc_u32 s25, s1, s23
	global_load_ubyte v4, v33, s[24:25]
	s_add_u32 s22, s22, 1
	s_addc_u32 s23, s23, 0
	s_waitcnt vmcnt(0)
	v_and_b32_e32 v32, 0xffff, v4
	v_lshlrev_b64 v[4:5], s20, v[32:33]
	s_add_u32 s20, s20, 8
	s_addc_u32 s21, s21, 0
	v_or_b32_e32 v12, v4, v12
	s_cmp_lg_u32 s15, s22
	v_or_b32_e32 v13, v5, v13
	s_cbranch_scc1 .LBB7_723
	s_branch .LBB7_726
.LBB7_724:                              ;   in Loop: Header=BB7_713 Depth=1
                                        ; implicit-def: $vgpr12_vgpr13
                                        ; implicit-def: $sgpr24
	s_branch .LBB7_727
.LBB7_725:                              ;   in Loop: Header=BB7_713 Depth=1
	v_mov_b64_e32 v[12:13], 0
.LBB7_726:                              ;   in Loop: Header=BB7_713 Depth=1
	s_mov_b32 s24, 0
	s_cbranch_execnz .LBB7_728
.LBB7_727:                              ;   in Loop: Header=BB7_713 Depth=1
	global_load_dwordx2 v[12:13], v33, s[0:1]
	s_add_i32 s24, s15, -8
	s_add_u32 s0, s0, 8
	s_addc_u32 s1, s1, 0
.LBB7_728:                              ;   in Loop: Header=BB7_713 Depth=1
	s_cmp_gt_u32 s24, 7
	s_cbranch_scc1 .LBB7_732
; %bb.729:                              ;   in Loop: Header=BB7_713 Depth=1
	s_cmp_eq_u32 s24, 0
	s_cbranch_scc1 .LBB7_733
; %bb.730:                              ;   in Loop: Header=BB7_713 Depth=1
	s_mov_b64 s[20:21], 0
	v_mov_b64_e32 v[14:15], 0
	s_mov_b64 s[22:23], 0
.LBB7_731:                              ;   Parent Loop BB7_713 Depth=1
                                        ; =>  This Inner Loop Header: Depth=2
	s_add_u32 s26, s0, s22
	s_addc_u32 s27, s1, s23
	global_load_ubyte v4, v33, s[26:27]
	s_add_u32 s22, s22, 1
	s_addc_u32 s23, s23, 0
	s_waitcnt vmcnt(0)
	v_and_b32_e32 v32, 0xffff, v4
	v_lshlrev_b64 v[4:5], s20, v[32:33]
	s_add_u32 s20, s20, 8
	s_addc_u32 s21, s21, 0
	v_or_b32_e32 v14, v4, v14
	s_cmp_lg_u32 s24, s22
	v_or_b32_e32 v15, v5, v15
	s_cbranch_scc1 .LBB7_731
	s_branch .LBB7_734
.LBB7_732:                              ;   in Loop: Header=BB7_713 Depth=1
                                        ; implicit-def: $sgpr15
	s_branch .LBB7_735
.LBB7_733:                              ;   in Loop: Header=BB7_713 Depth=1
	v_mov_b64_e32 v[14:15], 0
.LBB7_734:                              ;   in Loop: Header=BB7_713 Depth=1
	s_mov_b32 s15, 0
	s_cbranch_execnz .LBB7_736
.LBB7_735:                              ;   in Loop: Header=BB7_713 Depth=1
	global_load_dwordx2 v[14:15], v33, s[0:1]
	s_add_i32 s15, s24, -8
	s_add_u32 s0, s0, 8
	s_addc_u32 s1, s1, 0
.LBB7_736:                              ;   in Loop: Header=BB7_713 Depth=1
	s_cmp_gt_u32 s15, 7
	s_cbranch_scc1 .LBB7_740
; %bb.737:                              ;   in Loop: Header=BB7_713 Depth=1
	s_cmp_eq_u32 s15, 0
	s_cbranch_scc1 .LBB7_741
; %bb.738:                              ;   in Loop: Header=BB7_713 Depth=1
	s_mov_b64 s[20:21], 0
	v_mov_b64_e32 v[16:17], 0
	s_mov_b64 s[22:23], 0
.LBB7_739:                              ;   Parent Loop BB7_713 Depth=1
                                        ; =>  This Inner Loop Header: Depth=2
	s_add_u32 s24, s0, s22
	s_addc_u32 s25, s1, s23
	global_load_ubyte v4, v33, s[24:25]
	s_add_u32 s22, s22, 1
	s_addc_u32 s23, s23, 0
	s_waitcnt vmcnt(0)
	v_and_b32_e32 v32, 0xffff, v4
	v_lshlrev_b64 v[4:5], s20, v[32:33]
	s_add_u32 s20, s20, 8
	s_addc_u32 s21, s21, 0
	v_or_b32_e32 v16, v4, v16
	s_cmp_lg_u32 s15, s22
	v_or_b32_e32 v17, v5, v17
	s_cbranch_scc1 .LBB7_739
	s_branch .LBB7_742
.LBB7_740:                              ;   in Loop: Header=BB7_713 Depth=1
                                        ; implicit-def: $vgpr16_vgpr17
                                        ; implicit-def: $sgpr24
	s_branch .LBB7_743
.LBB7_741:                              ;   in Loop: Header=BB7_713 Depth=1
	v_mov_b64_e32 v[16:17], 0
.LBB7_742:                              ;   in Loop: Header=BB7_713 Depth=1
	s_mov_b32 s24, 0
	s_cbranch_execnz .LBB7_744
.LBB7_743:                              ;   in Loop: Header=BB7_713 Depth=1
	global_load_dwordx2 v[16:17], v33, s[0:1]
	s_add_i32 s24, s15, -8
	s_add_u32 s0, s0, 8
	s_addc_u32 s1, s1, 0
.LBB7_744:                              ;   in Loop: Header=BB7_713 Depth=1
	s_cmp_gt_u32 s24, 7
	s_cbranch_scc1 .LBB7_748
; %bb.745:                              ;   in Loop: Header=BB7_713 Depth=1
	s_cmp_eq_u32 s24, 0
	s_cbranch_scc1 .LBB7_749
; %bb.746:                              ;   in Loop: Header=BB7_713 Depth=1
	s_mov_b64 s[20:21], 0
	v_mov_b64_e32 v[18:19], 0
	s_mov_b64 s[22:23], 0
.LBB7_747:                              ;   Parent Loop BB7_713 Depth=1
                                        ; =>  This Inner Loop Header: Depth=2
	s_add_u32 s26, s0, s22
	s_addc_u32 s27, s1, s23
	global_load_ubyte v4, v33, s[26:27]
	s_add_u32 s22, s22, 1
	s_addc_u32 s23, s23, 0
	s_waitcnt vmcnt(0)
	v_and_b32_e32 v32, 0xffff, v4
	v_lshlrev_b64 v[4:5], s20, v[32:33]
	s_add_u32 s20, s20, 8
	s_addc_u32 s21, s21, 0
	v_or_b32_e32 v18, v4, v18
	s_cmp_lg_u32 s24, s22
	v_or_b32_e32 v19, v5, v19
	s_cbranch_scc1 .LBB7_747
	s_branch .LBB7_750
.LBB7_748:                              ;   in Loop: Header=BB7_713 Depth=1
                                        ; implicit-def: $sgpr15
	s_branch .LBB7_751
.LBB7_749:                              ;   in Loop: Header=BB7_713 Depth=1
	v_mov_b64_e32 v[18:19], 0
.LBB7_750:                              ;   in Loop: Header=BB7_713 Depth=1
	s_mov_b32 s15, 0
	s_cbranch_execnz .LBB7_752
.LBB7_751:                              ;   in Loop: Header=BB7_713 Depth=1
	global_load_dwordx2 v[18:19], v33, s[0:1]
	s_add_i32 s15, s24, -8
	s_add_u32 s0, s0, 8
	s_addc_u32 s1, s1, 0
.LBB7_752:                              ;   in Loop: Header=BB7_713 Depth=1
	s_cmp_gt_u32 s15, 7
	s_cbranch_scc1 .LBB7_756
; %bb.753:                              ;   in Loop: Header=BB7_713 Depth=1
	s_cmp_eq_u32 s15, 0
	s_cbranch_scc1 .LBB7_757
; %bb.754:                              ;   in Loop: Header=BB7_713 Depth=1
	s_mov_b64 s[20:21], 0
	v_mov_b64_e32 v[20:21], 0
	s_mov_b64 s[22:23], 0
.LBB7_755:                              ;   Parent Loop BB7_713 Depth=1
                                        ; =>  This Inner Loop Header: Depth=2
	s_add_u32 s24, s0, s22
	s_addc_u32 s25, s1, s23
	global_load_ubyte v4, v33, s[24:25]
	s_add_u32 s22, s22, 1
	s_addc_u32 s23, s23, 0
	s_waitcnt vmcnt(0)
	v_and_b32_e32 v32, 0xffff, v4
	v_lshlrev_b64 v[4:5], s20, v[32:33]
	s_add_u32 s20, s20, 8
	s_addc_u32 s21, s21, 0
	v_or_b32_e32 v20, v4, v20
	s_cmp_lg_u32 s15, s22
	v_or_b32_e32 v21, v5, v21
	s_cbranch_scc1 .LBB7_755
	s_branch .LBB7_758
.LBB7_756:                              ;   in Loop: Header=BB7_713 Depth=1
                                        ; implicit-def: $vgpr20_vgpr21
                                        ; implicit-def: $sgpr24
	s_branch .LBB7_759
.LBB7_757:                              ;   in Loop: Header=BB7_713 Depth=1
	v_mov_b64_e32 v[20:21], 0
.LBB7_758:                              ;   in Loop: Header=BB7_713 Depth=1
	s_mov_b32 s24, 0
	s_cbranch_execnz .LBB7_760
.LBB7_759:                              ;   in Loop: Header=BB7_713 Depth=1
	global_load_dwordx2 v[20:21], v33, s[0:1]
	s_add_i32 s24, s15, -8
	s_add_u32 s0, s0, 8
	s_addc_u32 s1, s1, 0
.LBB7_760:                              ;   in Loop: Header=BB7_713 Depth=1
	s_cmp_gt_u32 s24, 7
	s_cbranch_scc1 .LBB7_764
; %bb.761:                              ;   in Loop: Header=BB7_713 Depth=1
	s_cmp_eq_u32 s24, 0
	s_cbranch_scc1 .LBB7_765
; %bb.762:                              ;   in Loop: Header=BB7_713 Depth=1
	s_mov_b64 s[20:21], 0
	v_mov_b64_e32 v[22:23], 0
	s_mov_b64 s[22:23], s[0:1]
.LBB7_763:                              ;   Parent Loop BB7_713 Depth=1
                                        ; =>  This Inner Loop Header: Depth=2
	global_load_ubyte v4, v33, s[22:23]
	s_add_i32 s24, s24, -1
	s_waitcnt vmcnt(0)
	v_and_b32_e32 v32, 0xffff, v4
	v_lshlrev_b64 v[4:5], s20, v[32:33]
	s_add_u32 s20, s20, 8
	s_addc_u32 s21, s21, 0
	s_add_u32 s22, s22, 1
	s_addc_u32 s23, s23, 0
	v_or_b32_e32 v22, v4, v22
	s_cmp_lg_u32 s24, 0
	v_or_b32_e32 v23, v5, v23
	s_cbranch_scc1 .LBB7_763
	s_branch .LBB7_766
.LBB7_764:                              ;   in Loop: Header=BB7_713 Depth=1
	s_branch .LBB7_767
.LBB7_765:                              ;   in Loop: Header=BB7_713 Depth=1
	v_mov_b64_e32 v[22:23], 0
.LBB7_766:                              ;   in Loop: Header=BB7_713 Depth=1
	s_cbranch_execnz .LBB7_768
.LBB7_767:                              ;   in Loop: Header=BB7_713 Depth=1
	global_load_dwordx2 v[22:23], v33, s[0:1]
.LBB7_768:                              ;   in Loop: Header=BB7_713 Depth=1
	v_readfirstlane_b32 s0, v36
	s_waitcnt vmcnt(0)
	v_mov_b64_e32 v[4:5], 0
	v_cmp_eq_u32_e64 s[0:1], s0, v36
	s_and_saveexec_b64 s[20:21], s[0:1]
	s_cbranch_execz .LBB7_774
; %bb.769:                              ;   in Loop: Header=BB7_713 Depth=1
	global_load_dwordx2 v[26:27], v33, s[2:3] offset:24 sc0 sc1
	s_waitcnt vmcnt(0)
	buffer_inv sc0 sc1
	global_load_dwordx2 v[4:5], v33, s[2:3] offset:40
	global_load_dwordx2 v[8:9], v33, s[2:3]
	s_waitcnt vmcnt(1)
	v_and_b32_e32 v4, v4, v26
	v_and_b32_e32 v5, v5, v27
	v_mul_lo_u32 v5, v5, 24
	v_mul_hi_u32 v24, v4, 24
	v_add_u32_e32 v5, v24, v5
	v_mul_lo_u32 v4, v4, 24
	s_waitcnt vmcnt(0)
	v_lshl_add_u64 v[4:5], v[8:9], 0, v[4:5]
	global_load_dwordx2 v[24:25], v[4:5], off sc0 sc1
	s_waitcnt vmcnt(0)
	global_atomic_cmpswap_x2 v[4:5], v33, v[24:27], s[2:3] offset:24 sc0 sc1
	s_waitcnt vmcnt(0)
	buffer_inv sc0 sc1
	v_cmp_ne_u64_e32 vcc, v[4:5], v[26:27]
	s_and_saveexec_b64 s[22:23], vcc
	s_cbranch_execz .LBB7_773
; %bb.770:                              ;   in Loop: Header=BB7_713 Depth=1
	s_mov_b64 s[24:25], 0
.LBB7_771:                              ;   Parent Loop BB7_713 Depth=1
                                        ; =>  This Inner Loop Header: Depth=2
	s_sleep 1
	global_load_dwordx2 v[8:9], v33, s[2:3] offset:40
	global_load_dwordx2 v[24:25], v33, s[2:3]
	v_mov_b64_e32 v[26:27], v[4:5]
	s_waitcnt vmcnt(1)
	v_and_b32_e32 v4, v8, v26
	s_waitcnt vmcnt(0)
	v_mad_u64_u32 v[4:5], s[26:27], v4, 24, v[24:25]
	v_and_b32_e32 v9, v9, v27
	v_mov_b32_e32 v8, v5
	v_mad_u64_u32 v[8:9], s[26:27], v9, 24, v[8:9]
	v_mov_b32_e32 v5, v8
	global_load_dwordx2 v[24:25], v[4:5], off sc0 sc1
	s_waitcnt vmcnt(0)
	global_atomic_cmpswap_x2 v[4:5], v33, v[24:27], s[2:3] offset:24 sc0 sc1
	s_waitcnt vmcnt(0)
	buffer_inv sc0 sc1
	v_cmp_eq_u64_e32 vcc, v[4:5], v[26:27]
	s_or_b64 s[24:25], vcc, s[24:25]
	s_andn2_b64 exec, exec, s[24:25]
	s_cbranch_execnz .LBB7_771
; %bb.772:                              ;   in Loop: Header=BB7_713 Depth=1
	s_or_b64 exec, exec, s[24:25]
.LBB7_773:                              ;   in Loop: Header=BB7_713 Depth=1
	s_or_b64 exec, exec, s[22:23]
.LBB7_774:                              ;   in Loop: Header=BB7_713 Depth=1
	s_or_b64 exec, exec, s[20:21]
	global_load_dwordx2 v[8:9], v33, s[2:3] offset:40
	global_load_dwordx4 v[24:27], v33, s[2:3]
	v_readfirstlane_b32 s20, v4
	v_readfirstlane_b32 s21, v5
	s_mov_b64 s[22:23], exec
	s_waitcnt vmcnt(1)
	v_readfirstlane_b32 s24, v8
	v_readfirstlane_b32 s25, v9
	s_and_b64 s[24:25], s[20:21], s[24:25]
	s_mul_i32 s15, s25, 24
	s_mul_hi_u32 s26, s24, 24
	s_add_i32 s27, s26, s15
	s_mul_i32 s26, s24, 24
	s_waitcnt vmcnt(0)
	v_lshl_add_u64 v[34:35], v[24:25], 0, s[26:27]
	s_and_saveexec_b64 s[26:27], s[0:1]
	s_cbranch_execz .LBB7_776
; %bb.775:                              ;   in Loop: Header=BB7_713 Depth=1
	v_mov_b64_e32 v[4:5], s[22:23]
	global_store_dwordx4 v[34:35], v[4:7], off offset:8
.LBB7_776:                              ;   in Loop: Header=BB7_713 Depth=1
	s_or_b64 exec, exec, s[26:27]
	s_nop 0
	v_or_b32_e32 v5, v2, v30
	v_cmp_gt_u64_e64 vcc, s[16:17], 56
	s_lshl_b32 s15, s18, 2
	s_lshl_b64 s[22:23], s[24:25], 12
	v_cndmask_b32_e32 v2, v5, v2, vcc
	s_add_i32 s15, s15, 28
	v_lshl_add_u64 v[26:27], v[26:27], 0, s[22:23]
	v_or_b32_e32 v4, 0, v3
	s_and_b32 s15, s15, 0x1e0
	v_and_b32_e32 v2, 0xffffff1f, v2
	v_cndmask_b32_e32 v9, v4, v3, vcc
	v_or_b32_e32 v8, s15, v2
	v_readfirstlane_b32 s22, v26
	v_readfirstlane_b32 s23, v27
	s_nop 4
	global_store_dwordx4 v28, v[8:11], s[22:23]
	global_store_dwordx4 v28, v[12:15], s[22:23] offset:16
	global_store_dwordx4 v28, v[16:19], s[22:23] offset:32
	;; [unrolled: 1-line block ×3, first 2 shown]
	s_and_saveexec_b64 s[22:23], s[0:1]
	s_cbranch_execz .LBB7_784
; %bb.777:                              ;   in Loop: Header=BB7_713 Depth=1
	global_load_dwordx2 v[12:13], v33, s[2:3] offset:32 sc0 sc1
	global_load_dwordx2 v[2:3], v33, s[2:3] offset:40
	v_mov_b32_e32 v10, s20
	v_mov_b32_e32 v11, s21
	s_waitcnt vmcnt(0)
	v_readfirstlane_b32 s24, v2
	v_readfirstlane_b32 s25, v3
	s_and_b64 s[24:25], s[24:25], s[20:21]
	s_mul_i32 s15, s25, 24
	s_mul_hi_u32 s25, s24, 24
	s_mul_i32 s24, s24, 24
	s_add_i32 s25, s25, s15
	v_lshl_add_u64 v[8:9], v[24:25], 0, s[24:25]
	global_store_dwordx2 v[8:9], v[12:13], off
	buffer_wbl2 sc0 sc1
	s_waitcnt vmcnt(0)
	global_atomic_cmpswap_x2 v[4:5], v33, v[10:13], s[2:3] offset:32 sc0 sc1
	s_waitcnt vmcnt(0)
	v_cmp_ne_u64_e32 vcc, v[4:5], v[12:13]
	s_and_saveexec_b64 s[24:25], vcc
	s_cbranch_execz .LBB7_780
; %bb.778:                              ;   in Loop: Header=BB7_713 Depth=1
	s_mov_b64 s[26:27], 0
.LBB7_779:                              ;   Parent Loop BB7_713 Depth=1
                                        ; =>  This Inner Loop Header: Depth=2
	s_sleep 1
	global_store_dwordx2 v[8:9], v[4:5], off
	v_mov_b32_e32 v2, s20
	v_mov_b32_e32 v3, s21
	buffer_wbl2 sc0 sc1
	s_waitcnt vmcnt(0)
	global_atomic_cmpswap_x2 v[2:3], v33, v[2:5], s[2:3] offset:32 sc0 sc1
	s_waitcnt vmcnt(0)
	v_cmp_eq_u64_e32 vcc, v[2:3], v[4:5]
	s_or_b64 s[26:27], vcc, s[26:27]
	v_mov_b64_e32 v[4:5], v[2:3]
	s_andn2_b64 exec, exec, s[26:27]
	s_cbranch_execnz .LBB7_779
.LBB7_780:                              ;   in Loop: Header=BB7_713 Depth=1
	s_or_b64 exec, exec, s[24:25]
	global_load_dwordx2 v[2:3], v33, s[2:3] offset:16
	s_mov_b64 s[26:27], exec
	v_mbcnt_lo_u32_b32 v4, s26, 0
	v_mbcnt_hi_u32_b32 v4, s27, v4
	v_cmp_eq_u32_e32 vcc, 0, v4
	s_and_saveexec_b64 s[24:25], vcc
	s_cbranch_execz .LBB7_782
; %bb.781:                              ;   in Loop: Header=BB7_713 Depth=1
	s_bcnt1_i32_b64 s15, s[26:27]
	v_mov_b32_e32 v32, s15
	buffer_wbl2 sc0 sc1
	s_waitcnt vmcnt(0)
	global_atomic_add_x2 v[2:3], v[32:33], off offset:8 sc1
.LBB7_782:                              ;   in Loop: Header=BB7_713 Depth=1
	s_or_b64 exec, exec, s[24:25]
	s_waitcnt vmcnt(0)
	global_load_dwordx2 v[4:5], v[2:3], off offset:16
	s_waitcnt vmcnt(0)
	v_cmp_eq_u64_e32 vcc, 0, v[4:5]
	s_cbranch_vccnz .LBB7_784
; %bb.783:                              ;   in Loop: Header=BB7_713 Depth=1
	global_load_dword v32, v[2:3], off offset:24
	s_waitcnt vmcnt(0)
	v_and_b32_e32 v2, 0xffffff, v32
	s_nop 0
	v_readfirstlane_b32 m0, v2
	buffer_wbl2 sc0 sc1
	global_store_dwordx2 v[4:5], v[32:33], off sc0 sc1
	s_sendmsg sendmsg(MSG_INTERRUPT)
.LBB7_784:                              ;   in Loop: Header=BB7_713 Depth=1
	s_or_b64 exec, exec, s[22:23]
	v_mov_b32_e32 v29, v33
	v_lshl_add_u64 v[2:3], v[26:27], 0, v[28:29]
	s_branch .LBB7_788
.LBB7_785:                              ;   in Loop: Header=BB7_788 Depth=2
	s_or_b64 exec, exec, s[22:23]
	v_readfirstlane_b32 s15, v4
	s_cmp_eq_u32 s15, 0
	s_cbranch_scc1 .LBB7_787
; %bb.786:                              ;   in Loop: Header=BB7_788 Depth=2
	s_sleep 1
	s_cbranch_execnz .LBB7_788
	s_branch .LBB7_790
.LBB7_787:                              ;   in Loop: Header=BB7_713 Depth=1
	s_branch .LBB7_790
.LBB7_788:                              ;   Parent Loop BB7_713 Depth=1
                                        ; =>  This Inner Loop Header: Depth=2
	v_mov_b32_e32 v4, 1
	s_and_saveexec_b64 s[22:23], s[0:1]
	s_cbranch_execz .LBB7_785
; %bb.789:                              ;   in Loop: Header=BB7_788 Depth=2
	global_load_dword v4, v[34:35], off offset:20 sc0 sc1
	s_waitcnt vmcnt(0)
	buffer_inv sc0 sc1
	v_and_b32_e32 v4, 1, v4
	s_branch .LBB7_785
.LBB7_790:                              ;   in Loop: Header=BB7_713 Depth=1
	global_load_dwordx4 v[2:5], v[2:3], off
	s_and_saveexec_b64 s[22:23], s[0:1]
	s_cbranch_execz .LBB7_712
; %bb.791:                              ;   in Loop: Header=BB7_713 Depth=1
	global_load_dwordx2 v[4:5], v33, s[2:3] offset:40
	global_load_dwordx2 v[12:13], v33, s[2:3] offset:24 sc0 sc1
	global_load_dwordx2 v[14:15], v33, s[2:3]
	s_waitcnt vmcnt(2)
	v_lshl_add_u64 v[8:9], v[4:5], 0, 1
	v_lshl_add_u64 v[16:17], v[8:9], 0, s[20:21]
	v_cmp_eq_u64_e32 vcc, 0, v[16:17]
	s_waitcnt vmcnt(1)
	v_mov_b32_e32 v10, v12
	v_cndmask_b32_e32 v9, v17, v9, vcc
	v_cndmask_b32_e32 v8, v16, v8, vcc
	v_and_b32_e32 v5, v9, v5
	v_and_b32_e32 v4, v8, v4
	v_mul_lo_u32 v5, v5, 24
	v_mul_hi_u32 v11, v4, 24
	v_mul_lo_u32 v4, v4, 24
	v_add_u32_e32 v5, v11, v5
	s_waitcnt vmcnt(0)
	v_lshl_add_u64 v[4:5], v[14:15], 0, v[4:5]
	global_store_dwordx2 v[4:5], v[12:13], off
	v_mov_b32_e32 v11, v13
	buffer_wbl2 sc0 sc1
	s_waitcnt vmcnt(0)
	global_atomic_cmpswap_x2 v[10:11], v33, v[8:11], s[2:3] offset:24 sc0 sc1
	s_waitcnt vmcnt(0)
	v_cmp_ne_u64_e32 vcc, v[10:11], v[12:13]
	s_and_b64 exec, exec, vcc
	s_cbranch_execz .LBB7_712
; %bb.792:                              ;   in Loop: Header=BB7_713 Depth=1
	s_mov_b64 s[0:1], 0
.LBB7_793:                              ;   Parent Loop BB7_713 Depth=1
                                        ; =>  This Inner Loop Header: Depth=2
	s_sleep 1
	global_store_dwordx2 v[4:5], v[10:11], off
	buffer_wbl2 sc0 sc1
	s_waitcnt vmcnt(0)
	global_atomic_cmpswap_x2 v[12:13], v33, v[8:11], s[2:3] offset:24 sc0 sc1
	s_waitcnt vmcnt(0)
	v_cmp_eq_u64_e32 vcc, v[12:13], v[10:11]
	s_or_b64 s[0:1], vcc, s[0:1]
	v_mov_b64_e32 v[10:11], v[12:13]
	s_andn2_b64 exec, exec, s[0:1]
	s_cbranch_execnz .LBB7_793
	s_branch .LBB7_712
.LBB7_794:
	s_branch .LBB7_822
.LBB7_795:
                                        ; implicit-def: $vgpr2_vgpr3
	s_cbranch_execz .LBB7_822
; %bb.796:
	v_readfirstlane_b32 s0, v36
	s_waitcnt vmcnt(0)
	v_mov_b64_e32 v[2:3], 0
	v_cmp_eq_u32_e64 s[0:1], s0, v36
	s_and_saveexec_b64 s[10:11], s[0:1]
	s_cbranch_execz .LBB7_802
; %bb.797:
	v_mov_b32_e32 v4, 0
	global_load_dwordx2 v[8:9], v4, s[2:3] offset:24 sc0 sc1
	s_waitcnt vmcnt(0)
	buffer_inv sc0 sc1
	global_load_dwordx2 v[2:3], v4, s[2:3] offset:40
	global_load_dwordx2 v[6:7], v4, s[2:3]
	s_waitcnt vmcnt(1)
	v_and_b32_e32 v2, v2, v8
	v_and_b32_e32 v3, v3, v9
	v_mul_lo_u32 v3, v3, 24
	v_mul_hi_u32 v5, v2, 24
	v_add_u32_e32 v3, v5, v3
	v_mul_lo_u32 v2, v2, 24
	s_waitcnt vmcnt(0)
	v_lshl_add_u64 v[2:3], v[6:7], 0, v[2:3]
	global_load_dwordx2 v[6:7], v[2:3], off sc0 sc1
	s_waitcnt vmcnt(0)
	global_atomic_cmpswap_x2 v[2:3], v4, v[6:9], s[2:3] offset:24 sc0 sc1
	s_waitcnt vmcnt(0)
	buffer_inv sc0 sc1
	v_cmp_ne_u64_e32 vcc, v[2:3], v[8:9]
	s_and_saveexec_b64 s[16:17], vcc
	s_cbranch_execz .LBB7_801
; %bb.798:
	s_mov_b64 s[18:19], 0
.LBB7_799:                              ; =>This Inner Loop Header: Depth=1
	s_sleep 1
	global_load_dwordx2 v[6:7], v4, s[2:3] offset:40
	global_load_dwordx2 v[10:11], v4, s[2:3]
	v_mov_b64_e32 v[8:9], v[2:3]
	s_waitcnt vmcnt(1)
	v_and_b32_e32 v2, v6, v8
	s_waitcnt vmcnt(0)
	v_mad_u64_u32 v[2:3], s[20:21], v2, 24, v[10:11]
	v_and_b32_e32 v5, v7, v9
	v_mov_b32_e32 v6, v3
	v_mad_u64_u32 v[6:7], s[20:21], v5, 24, v[6:7]
	v_mov_b32_e32 v3, v6
	global_load_dwordx2 v[6:7], v[2:3], off sc0 sc1
	s_waitcnt vmcnt(0)
	global_atomic_cmpswap_x2 v[2:3], v4, v[6:9], s[2:3] offset:24 sc0 sc1
	s_waitcnt vmcnt(0)
	buffer_inv sc0 sc1
	v_cmp_eq_u64_e32 vcc, v[2:3], v[8:9]
	s_or_b64 s[18:19], vcc, s[18:19]
	s_andn2_b64 exec, exec, s[18:19]
	s_cbranch_execnz .LBB7_799
; %bb.800:
	s_or_b64 exec, exec, s[18:19]
.LBB7_801:
	s_or_b64 exec, exec, s[16:17]
.LBB7_802:
	s_or_b64 exec, exec, s[10:11]
	v_mov_b32_e32 v29, 0
	global_load_dwordx2 v[8:9], v29, s[2:3] offset:40
	global_load_dwordx4 v[4:7], v29, s[2:3]
	v_readfirstlane_b32 s10, v2
	v_readfirstlane_b32 s11, v3
	s_mov_b64 s[16:17], exec
	s_waitcnt vmcnt(1)
	v_readfirstlane_b32 s18, v8
	v_readfirstlane_b32 s19, v9
	s_and_b64 s[18:19], s[10:11], s[18:19]
	s_mul_i32 s15, s19, 24
	s_mul_hi_u32 s20, s18, 24
	s_add_i32 s21, s20, s15
	s_mul_i32 s20, s18, 24
	s_waitcnt vmcnt(0)
	v_lshl_add_u64 v[8:9], v[4:5], 0, s[20:21]
	s_and_saveexec_b64 s[20:21], s[0:1]
	s_cbranch_execz .LBB7_804
; %bb.803:
	v_mov_b64_e32 v[10:11], s[16:17]
	v_mov_b32_e32 v12, 2
	v_mov_b32_e32 v13, 1
	global_store_dwordx4 v[8:9], v[10:13], off offset:8
.LBB7_804:
	s_or_b64 exec, exec, s[20:21]
	s_lshl_b64 s[16:17], s[18:19], 12
	v_lshl_add_u64 v[6:7], v[6:7], 0, s[16:17]
	s_movk_i32 s15, 0xff1f
	s_mov_b32 s16, 0
	v_and_or_b32 v0, v0, s15, 32
	v_mov_b32_e32 v2, v29
	v_mov_b32_e32 v3, v29
	v_readfirstlane_b32 s20, v6
	v_readfirstlane_b32 s21, v7
	s_mov_b32 s17, s16
	s_mov_b32 s18, s16
	;; [unrolled: 1-line block ×3, first 2 shown]
	s_nop 1
	global_store_dwordx4 v28, v[0:3], s[20:21]
	s_nop 1
	v_mov_b64_e32 v[0:1], s[16:17]
	v_mov_b64_e32 v[2:3], s[18:19]
	global_store_dwordx4 v28, v[0:3], s[20:21] offset:16
	global_store_dwordx4 v28, v[0:3], s[20:21] offset:32
	;; [unrolled: 1-line block ×3, first 2 shown]
	s_and_saveexec_b64 s[16:17], s[0:1]
	s_cbranch_execz .LBB7_812
; %bb.805:
	v_mov_b32_e32 v10, 0
	global_load_dwordx2 v[14:15], v10, s[2:3] offset:32 sc0 sc1
	global_load_dwordx2 v[0:1], v10, s[2:3] offset:40
	v_mov_b32_e32 v12, s10
	v_mov_b32_e32 v13, s11
	s_waitcnt vmcnt(0)
	v_readfirstlane_b32 s18, v0
	v_readfirstlane_b32 s19, v1
	s_and_b64 s[18:19], s[18:19], s[10:11]
	s_mul_i32 s15, s19, 24
	s_mul_hi_u32 s19, s18, 24
	s_mul_i32 s18, s18, 24
	s_add_i32 s19, s19, s15
	v_lshl_add_u64 v[4:5], v[4:5], 0, s[18:19]
	global_store_dwordx2 v[4:5], v[14:15], off
	buffer_wbl2 sc0 sc1
	s_waitcnt vmcnt(0)
	global_atomic_cmpswap_x2 v[2:3], v10, v[12:15], s[2:3] offset:32 sc0 sc1
	s_waitcnt vmcnt(0)
	v_cmp_ne_u64_e32 vcc, v[2:3], v[14:15]
	s_and_saveexec_b64 s[18:19], vcc
	s_cbranch_execz .LBB7_808
; %bb.806:
	s_mov_b64 s[20:21], 0
.LBB7_807:                              ; =>This Inner Loop Header: Depth=1
	s_sleep 1
	global_store_dwordx2 v[4:5], v[2:3], off
	v_mov_b32_e32 v0, s10
	v_mov_b32_e32 v1, s11
	buffer_wbl2 sc0 sc1
	s_waitcnt vmcnt(0)
	global_atomic_cmpswap_x2 v[0:1], v10, v[0:3], s[2:3] offset:32 sc0 sc1
	s_waitcnt vmcnt(0)
	v_cmp_eq_u64_e32 vcc, v[0:1], v[2:3]
	s_or_b64 s[20:21], vcc, s[20:21]
	v_mov_b64_e32 v[2:3], v[0:1]
	s_andn2_b64 exec, exec, s[20:21]
	s_cbranch_execnz .LBB7_807
.LBB7_808:
	s_or_b64 exec, exec, s[18:19]
	v_mov_b32_e32 v3, 0
	global_load_dwordx2 v[0:1], v3, s[2:3] offset:16
	s_mov_b64 s[18:19], exec
	v_mbcnt_lo_u32_b32 v2, s18, 0
	v_mbcnt_hi_u32_b32 v2, s19, v2
	v_cmp_eq_u32_e32 vcc, 0, v2
	s_and_saveexec_b64 s[20:21], vcc
	s_cbranch_execz .LBB7_810
; %bb.809:
	s_bcnt1_i32_b64 s15, s[18:19]
	v_mov_b32_e32 v2, s15
	buffer_wbl2 sc0 sc1
	s_waitcnt vmcnt(0)
	global_atomic_add_x2 v[0:1], v[2:3], off offset:8 sc1
.LBB7_810:
	s_or_b64 exec, exec, s[20:21]
	s_waitcnt vmcnt(0)
	global_load_dwordx2 v[2:3], v[0:1], off offset:16
	s_waitcnt vmcnt(0)
	v_cmp_eq_u64_e32 vcc, 0, v[2:3]
	s_cbranch_vccnz .LBB7_812
; %bb.811:
	global_load_dword v0, v[0:1], off offset:24
	v_mov_b32_e32 v1, 0
	buffer_wbl2 sc0 sc1
	s_waitcnt vmcnt(0)
	global_store_dwordx2 v[2:3], v[0:1], off sc0 sc1
	v_and_b32_e32 v0, 0xffffff, v0
	s_nop 0
	v_readfirstlane_b32 m0, v0
	s_sendmsg sendmsg(MSG_INTERRUPT)
.LBB7_812:
	s_or_b64 exec, exec, s[16:17]
	v_lshl_add_u64 v[0:1], v[6:7], 0, v[28:29]
	s_branch .LBB7_816
.LBB7_813:                              ;   in Loop: Header=BB7_816 Depth=1
	s_or_b64 exec, exec, s[16:17]
	v_readfirstlane_b32 s15, v2
	s_cmp_eq_u32 s15, 0
	s_cbranch_scc1 .LBB7_815
; %bb.814:                              ;   in Loop: Header=BB7_816 Depth=1
	s_sleep 1
	s_cbranch_execnz .LBB7_816
	s_branch .LBB7_818
.LBB7_815:
	s_branch .LBB7_818
.LBB7_816:                              ; =>This Inner Loop Header: Depth=1
	v_mov_b32_e32 v2, 1
	s_and_saveexec_b64 s[16:17], s[0:1]
	s_cbranch_execz .LBB7_813
; %bb.817:                              ;   in Loop: Header=BB7_816 Depth=1
	global_load_dword v2, v[8:9], off offset:20 sc0 sc1
	s_waitcnt vmcnt(0)
	buffer_inv sc0 sc1
	v_and_b32_e32 v2, 1, v2
	s_branch .LBB7_813
.LBB7_818:
	global_load_dwordx2 v[2:3], v[0:1], off
	s_and_saveexec_b64 s[16:17], s[0:1]
	s_cbranch_execz .LBB7_821
; %bb.819:
	v_mov_b32_e32 v8, 0
	global_load_dwordx2 v[0:1], v8, s[2:3] offset:40
	global_load_dwordx2 v[10:11], v8, s[2:3] offset:24 sc0 sc1
	global_load_dwordx2 v[12:13], v8, s[2:3]
	s_mov_b64 s[0:1], 0
	s_waitcnt vmcnt(2)
	v_lshl_add_u64 v[4:5], v[0:1], 0, 1
	v_lshl_add_u64 v[14:15], v[4:5], 0, s[10:11]
	v_cmp_eq_u64_e32 vcc, 0, v[14:15]
	s_waitcnt vmcnt(1)
	v_mov_b32_e32 v6, v10
	v_cndmask_b32_e32 v5, v15, v5, vcc
	v_cndmask_b32_e32 v4, v14, v4, vcc
	v_and_b32_e32 v1, v5, v1
	v_and_b32_e32 v0, v4, v0
	v_mul_lo_u32 v1, v1, 24
	v_mul_hi_u32 v7, v0, 24
	v_mul_lo_u32 v0, v0, 24
	v_add_u32_e32 v1, v7, v1
	s_waitcnt vmcnt(0)
	v_lshl_add_u64 v[0:1], v[12:13], 0, v[0:1]
	global_store_dwordx2 v[0:1], v[10:11], off
	v_mov_b32_e32 v7, v11
	buffer_wbl2 sc0 sc1
	s_waitcnt vmcnt(0)
	global_atomic_cmpswap_x2 v[6:7], v8, v[4:7], s[2:3] offset:24 sc0 sc1
	s_waitcnt vmcnt(0)
	v_cmp_ne_u64_e32 vcc, v[6:7], v[10:11]
	s_and_b64 exec, exec, vcc
	s_cbranch_execz .LBB7_821
.LBB7_820:                              ; =>This Inner Loop Header: Depth=1
	s_sleep 1
	global_store_dwordx2 v[0:1], v[6:7], off
	buffer_wbl2 sc0 sc1
	s_waitcnt vmcnt(0)
	global_atomic_cmpswap_x2 v[10:11], v8, v[4:7], s[2:3] offset:24 sc0 sc1
	s_waitcnt vmcnt(0)
	v_cmp_eq_u64_e32 vcc, v[10:11], v[6:7]
	s_or_b64 s[0:1], vcc, s[0:1]
	v_mov_b64_e32 v[6:7], v[10:11]
	s_andn2_b64 exec, exec, s[0:1]
	s_cbranch_execnz .LBB7_820
.LBB7_821:
	s_or_b64 exec, exec, s[16:17]
.LBB7_822:
	v_readfirstlane_b32 s0, v36
	s_waitcnt vmcnt(0)
	v_mov_b64_e32 v[0:1], 0
	v_cmp_eq_u32_e64 s[0:1], s0, v36
	s_and_saveexec_b64 s[10:11], s[0:1]
	s_cbranch_execz .LBB7_828
; %bb.823:
	v_mov_b32_e32 v4, 0
	global_load_dwordx2 v[8:9], v4, s[2:3] offset:24 sc0 sc1
	s_waitcnt vmcnt(0)
	buffer_inv sc0 sc1
	global_load_dwordx2 v[0:1], v4, s[2:3] offset:40
	global_load_dwordx2 v[6:7], v4, s[2:3]
	s_waitcnt vmcnt(1)
	v_and_b32_e32 v0, v0, v8
	v_and_b32_e32 v1, v1, v9
	v_mul_lo_u32 v1, v1, 24
	v_mul_hi_u32 v5, v0, 24
	v_add_u32_e32 v1, v5, v1
	v_mul_lo_u32 v0, v0, 24
	s_waitcnt vmcnt(0)
	v_lshl_add_u64 v[0:1], v[6:7], 0, v[0:1]
	global_load_dwordx2 v[6:7], v[0:1], off sc0 sc1
	s_waitcnt vmcnt(0)
	global_atomic_cmpswap_x2 v[0:1], v4, v[6:9], s[2:3] offset:24 sc0 sc1
	s_waitcnt vmcnt(0)
	buffer_inv sc0 sc1
	v_cmp_ne_u64_e32 vcc, v[0:1], v[8:9]
	s_and_saveexec_b64 s[16:17], vcc
	s_cbranch_execz .LBB7_827
; %bb.824:
	s_mov_b64 s[18:19], 0
.LBB7_825:                              ; =>This Inner Loop Header: Depth=1
	s_sleep 1
	global_load_dwordx2 v[6:7], v4, s[2:3] offset:40
	global_load_dwordx2 v[10:11], v4, s[2:3]
	v_mov_b64_e32 v[8:9], v[0:1]
	s_waitcnt vmcnt(1)
	v_and_b32_e32 v0, v6, v8
	s_waitcnt vmcnt(0)
	v_mad_u64_u32 v[0:1], s[20:21], v0, 24, v[10:11]
	v_and_b32_e32 v5, v7, v9
	v_mov_b32_e32 v6, v1
	v_mad_u64_u32 v[6:7], s[20:21], v5, 24, v[6:7]
	v_mov_b32_e32 v1, v6
	global_load_dwordx2 v[6:7], v[0:1], off sc0 sc1
	s_waitcnt vmcnt(0)
	global_atomic_cmpswap_x2 v[0:1], v4, v[6:9], s[2:3] offset:24 sc0 sc1
	s_waitcnt vmcnt(0)
	buffer_inv sc0 sc1
	v_cmp_eq_u64_e32 vcc, v[0:1], v[8:9]
	s_or_b64 s[18:19], vcc, s[18:19]
	s_andn2_b64 exec, exec, s[18:19]
	s_cbranch_execnz .LBB7_825
; %bb.826:
	s_or_b64 exec, exec, s[18:19]
.LBB7_827:
	s_or_b64 exec, exec, s[16:17]
.LBB7_828:
	s_or_b64 exec, exec, s[10:11]
	v_mov_b32_e32 v5, 0
	global_load_dwordx2 v[10:11], v5, s[2:3] offset:40
	global_load_dwordx4 v[6:9], v5, s[2:3]
	v_readfirstlane_b32 s10, v0
	v_readfirstlane_b32 s11, v1
	s_mov_b64 s[16:17], exec
	s_waitcnt vmcnt(1)
	v_readfirstlane_b32 s18, v10
	v_readfirstlane_b32 s19, v11
	s_and_b64 s[18:19], s[10:11], s[18:19]
	s_mul_i32 s15, s19, 24
	s_mul_hi_u32 s20, s18, 24
	s_add_i32 s21, s20, s15
	s_mul_i32 s20, s18, 24
	s_waitcnt vmcnt(0)
	v_lshl_add_u64 v[10:11], v[6:7], 0, s[20:21]
	s_and_saveexec_b64 s[20:21], s[0:1]
	s_cbranch_execz .LBB7_830
; %bb.829:
	v_mov_b64_e32 v[12:13], s[16:17]
	v_mov_b32_e32 v14, 2
	v_mov_b32_e32 v15, 1
	global_store_dwordx4 v[10:11], v[12:15], off offset:8
.LBB7_830:
	s_or_b64 exec, exec, s[20:21]
	s_lshl_b64 s[16:17], s[18:19], 12
	v_lshl_add_u64 v[0:1], v[8:9], 0, s[16:17]
	s_movk_i32 s15, 0xff1d
	s_mov_b32 s16, 0
	v_and_or_b32 v2, v2, s15, 34
	v_mov_b32_e32 v4, 58
	v_readfirstlane_b32 s20, v0
	v_readfirstlane_b32 s21, v1
	s_mov_b32 s17, s16
	s_mov_b32 s18, s16
	;; [unrolled: 1-line block ×3, first 2 shown]
	s_nop 1
	global_store_dwordx4 v28, v[2:5], s[20:21]
	v_mov_b64_e32 v[0:1], s[16:17]
	s_nop 0
	v_mov_b64_e32 v[2:3], s[18:19]
	global_store_dwordx4 v28, v[0:3], s[20:21] offset:16
	global_store_dwordx4 v28, v[0:3], s[20:21] offset:32
	;; [unrolled: 1-line block ×3, first 2 shown]
	s_and_saveexec_b64 s[16:17], s[0:1]
	s_cbranch_execz .LBB7_838
; %bb.831:
	v_mov_b32_e32 v8, 0
	global_load_dwordx2 v[14:15], v8, s[2:3] offset:32 sc0 sc1
	global_load_dwordx2 v[0:1], v8, s[2:3] offset:40
	v_mov_b32_e32 v12, s10
	v_mov_b32_e32 v13, s11
	s_waitcnt vmcnt(0)
	v_readfirstlane_b32 s18, v0
	v_readfirstlane_b32 s19, v1
	s_and_b64 s[18:19], s[18:19], s[10:11]
	s_mul_i32 s15, s19, 24
	s_mul_hi_u32 s19, s18, 24
	s_mul_i32 s18, s18, 24
	s_add_i32 s19, s19, s15
	v_lshl_add_u64 v[4:5], v[6:7], 0, s[18:19]
	global_store_dwordx2 v[4:5], v[14:15], off
	buffer_wbl2 sc0 sc1
	s_waitcnt vmcnt(0)
	global_atomic_cmpswap_x2 v[2:3], v8, v[12:15], s[2:3] offset:32 sc0 sc1
	s_waitcnt vmcnt(0)
	v_cmp_ne_u64_e32 vcc, v[2:3], v[14:15]
	s_and_saveexec_b64 s[18:19], vcc
	s_cbranch_execz .LBB7_834
; %bb.832:
	s_mov_b64 s[20:21], 0
.LBB7_833:                              ; =>This Inner Loop Header: Depth=1
	s_sleep 1
	global_store_dwordx2 v[4:5], v[2:3], off
	v_mov_b32_e32 v0, s10
	v_mov_b32_e32 v1, s11
	buffer_wbl2 sc0 sc1
	s_waitcnt vmcnt(0)
	global_atomic_cmpswap_x2 v[0:1], v8, v[0:3], s[2:3] offset:32 sc0 sc1
	s_waitcnt vmcnt(0)
	v_cmp_eq_u64_e32 vcc, v[0:1], v[2:3]
	s_or_b64 s[20:21], vcc, s[20:21]
	v_mov_b64_e32 v[2:3], v[0:1]
	s_andn2_b64 exec, exec, s[20:21]
	s_cbranch_execnz .LBB7_833
.LBB7_834:
	s_or_b64 exec, exec, s[18:19]
	v_mov_b32_e32 v3, 0
	global_load_dwordx2 v[0:1], v3, s[2:3] offset:16
	s_mov_b64 s[18:19], exec
	v_mbcnt_lo_u32_b32 v2, s18, 0
	v_mbcnt_hi_u32_b32 v2, s19, v2
	v_cmp_eq_u32_e32 vcc, 0, v2
	s_and_saveexec_b64 s[20:21], vcc
	s_cbranch_execz .LBB7_836
; %bb.835:
	s_bcnt1_i32_b64 s15, s[18:19]
	v_mov_b32_e32 v2, s15
	buffer_wbl2 sc0 sc1
	s_waitcnt vmcnt(0)
	global_atomic_add_x2 v[0:1], v[2:3], off offset:8 sc1
.LBB7_836:
	s_or_b64 exec, exec, s[20:21]
	s_waitcnt vmcnt(0)
	global_load_dwordx2 v[2:3], v[0:1], off offset:16
	s_waitcnt vmcnt(0)
	v_cmp_eq_u64_e32 vcc, 0, v[2:3]
	s_cbranch_vccnz .LBB7_838
; %bb.837:
	global_load_dword v0, v[0:1], off offset:24
	v_mov_b32_e32 v1, 0
	buffer_wbl2 sc0 sc1
	s_waitcnt vmcnt(0)
	global_store_dwordx2 v[2:3], v[0:1], off sc0 sc1
	v_and_b32_e32 v0, 0xffffff, v0
	s_nop 0
	v_readfirstlane_b32 m0, v0
	s_sendmsg sendmsg(MSG_INTERRUPT)
.LBB7_838:
	s_or_b64 exec, exec, s[16:17]
	s_branch .LBB7_842
.LBB7_839:                              ;   in Loop: Header=BB7_842 Depth=1
	s_or_b64 exec, exec, s[16:17]
	v_readfirstlane_b32 s15, v0
	s_cmp_eq_u32 s15, 0
	s_cbranch_scc1 .LBB7_841
; %bb.840:                              ;   in Loop: Header=BB7_842 Depth=1
	s_sleep 1
	s_cbranch_execnz .LBB7_842
	s_branch .LBB7_844
.LBB7_841:
	s_branch .LBB7_844
.LBB7_842:                              ; =>This Inner Loop Header: Depth=1
	v_mov_b32_e32 v0, 1
	s_and_saveexec_b64 s[16:17], s[0:1]
	s_cbranch_execz .LBB7_839
; %bb.843:                              ;   in Loop: Header=BB7_842 Depth=1
	global_load_dword v0, v[10:11], off offset:20 sc0 sc1
	s_waitcnt vmcnt(0)
	buffer_inv sc0 sc1
	v_and_b32_e32 v0, 1, v0
	s_branch .LBB7_839
.LBB7_844:
	s_and_saveexec_b64 s[16:17], s[0:1]
	s_cbranch_execz .LBB7_847
; %bb.845:
	v_mov_b32_e32 v6, 0
	global_load_dwordx2 v[4:5], v6, s[2:3] offset:40
	global_load_dwordx2 v[8:9], v6, s[2:3] offset:24 sc0 sc1
	global_load_dwordx2 v[10:11], v6, s[2:3]
	s_mov_b64 s[0:1], 0
	s_waitcnt vmcnt(2)
	v_lshl_add_u64 v[0:1], v[4:5], 0, 1
	v_lshl_add_u64 v[12:13], v[0:1], 0, s[10:11]
	v_cmp_eq_u64_e32 vcc, 0, v[12:13]
	s_waitcnt vmcnt(1)
	v_mov_b32_e32 v2, v8
	v_cndmask_b32_e32 v1, v13, v1, vcc
	v_cndmask_b32_e32 v0, v12, v0, vcc
	v_and_b32_e32 v3, v1, v5
	v_and_b32_e32 v4, v0, v4
	v_mul_lo_u32 v3, v3, 24
	v_mul_hi_u32 v5, v4, 24
	v_mul_lo_u32 v4, v4, 24
	v_add_u32_e32 v5, v5, v3
	s_waitcnt vmcnt(0)
	v_lshl_add_u64 v[4:5], v[10:11], 0, v[4:5]
	global_store_dwordx2 v[4:5], v[8:9], off
	v_mov_b32_e32 v3, v9
	buffer_wbl2 sc0 sc1
	s_waitcnt vmcnt(0)
	global_atomic_cmpswap_x2 v[2:3], v6, v[0:3], s[2:3] offset:24 sc0 sc1
	s_waitcnt vmcnt(0)
	v_cmp_ne_u64_e32 vcc, v[2:3], v[8:9]
	s_and_b64 exec, exec, vcc
	s_cbranch_execz .LBB7_847
.LBB7_846:                              ; =>This Inner Loop Header: Depth=1
	s_sleep 1
	global_store_dwordx2 v[4:5], v[2:3], off
	buffer_wbl2 sc0 sc1
	s_waitcnt vmcnt(0)
	global_atomic_cmpswap_x2 v[8:9], v6, v[0:3], s[2:3] offset:24 sc0 sc1
	s_waitcnt vmcnt(0)
	v_cmp_eq_u64_e32 vcc, v[8:9], v[2:3]
	s_or_b64 s[0:1], vcc, s[0:1]
	v_mov_b64_e32 v[2:3], v[8:9]
	s_andn2_b64 exec, exec, s[0:1]
	s_cbranch_execnz .LBB7_846
.LBB7_847:
	s_or_b64 exec, exec, s[16:17]
	v_readfirstlane_b32 s0, v36
	v_mov_b64_e32 v[4:5], 0
	s_nop 0
	v_cmp_eq_u32_e64 s[0:1], s0, v36
	s_and_saveexec_b64 s[10:11], s[0:1]
	s_cbranch_execz .LBB7_853
; %bb.848:
	v_mov_b32_e32 v0, 0
	global_load_dwordx2 v[6:7], v0, s[2:3] offset:24 sc0 sc1
	s_waitcnt vmcnt(0)
	buffer_inv sc0 sc1
	global_load_dwordx2 v[2:3], v0, s[2:3] offset:40
	global_load_dwordx2 v[4:5], v0, s[2:3]
	s_waitcnt vmcnt(1)
	v_and_b32_e32 v1, v2, v6
	v_and_b32_e32 v2, v3, v7
	v_mul_lo_u32 v2, v2, 24
	v_mul_hi_u32 v3, v1, 24
	v_add_u32_e32 v3, v3, v2
	v_mul_lo_u32 v2, v1, 24
	s_waitcnt vmcnt(0)
	v_lshl_add_u64 v[2:3], v[4:5], 0, v[2:3]
	global_load_dwordx2 v[4:5], v[2:3], off sc0 sc1
	s_waitcnt vmcnt(0)
	global_atomic_cmpswap_x2 v[4:5], v0, v[4:7], s[2:3] offset:24 sc0 sc1
	s_waitcnt vmcnt(0)
	buffer_inv sc0 sc1
	v_cmp_ne_u64_e32 vcc, v[4:5], v[6:7]
	s_and_saveexec_b64 s[16:17], vcc
	s_cbranch_execz .LBB7_852
; %bb.849:
	s_mov_b64 s[18:19], 0
.LBB7_850:                              ; =>This Inner Loop Header: Depth=1
	s_sleep 1
	global_load_dwordx2 v[2:3], v0, s[2:3] offset:40
	global_load_dwordx2 v[8:9], v0, s[2:3]
	v_mov_b64_e32 v[6:7], v[4:5]
	s_waitcnt vmcnt(1)
	v_and_b32_e32 v2, v2, v6
	v_and_b32_e32 v1, v3, v7
	s_waitcnt vmcnt(0)
	v_mad_u64_u32 v[2:3], s[20:21], v2, 24, v[8:9]
	v_mov_b32_e32 v4, v3
	v_mad_u64_u32 v[4:5], s[20:21], v1, 24, v[4:5]
	v_mov_b32_e32 v3, v4
	global_load_dwordx2 v[4:5], v[2:3], off sc0 sc1
	s_waitcnt vmcnt(0)
	global_atomic_cmpswap_x2 v[4:5], v0, v[4:7], s[2:3] offset:24 sc0 sc1
	s_waitcnt vmcnt(0)
	buffer_inv sc0 sc1
	v_cmp_eq_u64_e32 vcc, v[4:5], v[6:7]
	s_or_b64 s[18:19], vcc, s[18:19]
	s_andn2_b64 exec, exec, s[18:19]
	s_cbranch_execnz .LBB7_850
; %bb.851:
	s_or_b64 exec, exec, s[18:19]
.LBB7_852:
	s_or_b64 exec, exec, s[16:17]
.LBB7_853:
	s_or_b64 exec, exec, s[10:11]
	v_mov_b32_e32 v29, 0
	global_load_dwordx2 v[6:7], v29, s[2:3] offset:40
	global_load_dwordx4 v[0:3], v29, s[2:3]
	v_readfirstlane_b32 s10, v4
	v_readfirstlane_b32 s11, v5
	s_mov_b64 s[16:17], exec
	s_waitcnt vmcnt(1)
	v_readfirstlane_b32 s18, v6
	v_readfirstlane_b32 s19, v7
	s_and_b64 s[18:19], s[10:11], s[18:19]
	s_mul_i32 s15, s19, 24
	s_mul_hi_u32 s20, s18, 24
	s_add_i32 s21, s20, s15
	s_mul_i32 s20, s18, 24
	s_waitcnt vmcnt(0)
	v_lshl_add_u64 v[4:5], v[0:1], 0, s[20:21]
	s_and_saveexec_b64 s[20:21], s[0:1]
	s_cbranch_execz .LBB7_855
; %bb.854:
	v_mov_b64_e32 v[6:7], s[16:17]
	v_mov_b32_e32 v8, 2
	v_mov_b32_e32 v9, 1
	global_store_dwordx4 v[4:5], v[6:9], off offset:8
.LBB7_855:
	s_or_b64 exec, exec, s[20:21]
	s_lshl_b64 s[16:17], s[18:19], 12
	v_lshl_add_u64 v[6:7], v[2:3], 0, s[16:17]
	s_mov_b32 s16, 0
	v_mov_b32_e32 v8, 33
	v_mov_b32_e32 v9, v29
	;; [unrolled: 1-line block ×4, first 2 shown]
	v_readfirstlane_b32 s20, v6
	v_readfirstlane_b32 s21, v7
	s_mov_b32 s17, s16
	s_mov_b32 s18, s16
	;; [unrolled: 1-line block ×3, first 2 shown]
	s_nop 1
	global_store_dwordx4 v28, v[8:11], s[20:21]
	s_nop 1
	v_mov_b64_e32 v[8:9], s[16:17]
	v_mov_b64_e32 v[10:11], s[18:19]
	global_store_dwordx4 v28, v[8:11], s[20:21] offset:16
	global_store_dwordx4 v28, v[8:11], s[20:21] offset:32
	global_store_dwordx4 v28, v[8:11], s[20:21] offset:48
	s_and_saveexec_b64 s[16:17], s[0:1]
	s_cbranch_execz .LBB7_863
; %bb.856:
	v_mov_b32_e32 v10, 0
	global_load_dwordx2 v[14:15], v10, s[2:3] offset:32 sc0 sc1
	global_load_dwordx2 v[2:3], v10, s[2:3] offset:40
	v_mov_b32_e32 v12, s10
	v_mov_b32_e32 v13, s11
	s_waitcnt vmcnt(0)
	v_readfirstlane_b32 s18, v2
	v_readfirstlane_b32 s19, v3
	s_and_b64 s[18:19], s[18:19], s[10:11]
	s_mul_i32 s15, s19, 24
	s_mul_hi_u32 s19, s18, 24
	s_mul_i32 s18, s18, 24
	s_add_i32 s19, s19, s15
	v_lshl_add_u64 v[8:9], v[0:1], 0, s[18:19]
	global_store_dwordx2 v[8:9], v[14:15], off
	buffer_wbl2 sc0 sc1
	s_waitcnt vmcnt(0)
	global_atomic_cmpswap_x2 v[2:3], v10, v[12:15], s[2:3] offset:32 sc0 sc1
	s_waitcnt vmcnt(0)
	v_cmp_ne_u64_e32 vcc, v[2:3], v[14:15]
	s_and_saveexec_b64 s[18:19], vcc
	s_cbranch_execz .LBB7_859
; %bb.857:
	s_mov_b64 s[20:21], 0
.LBB7_858:                              ; =>This Inner Loop Header: Depth=1
	s_sleep 1
	global_store_dwordx2 v[8:9], v[2:3], off
	v_mov_b32_e32 v0, s10
	v_mov_b32_e32 v1, s11
	buffer_wbl2 sc0 sc1
	s_waitcnt vmcnt(0)
	global_atomic_cmpswap_x2 v[0:1], v10, v[0:3], s[2:3] offset:32 sc0 sc1
	s_waitcnt vmcnt(0)
	v_cmp_eq_u64_e32 vcc, v[0:1], v[2:3]
	s_or_b64 s[20:21], vcc, s[20:21]
	v_mov_b64_e32 v[2:3], v[0:1]
	s_andn2_b64 exec, exec, s[20:21]
	s_cbranch_execnz .LBB7_858
.LBB7_859:
	s_or_b64 exec, exec, s[18:19]
	v_mov_b32_e32 v3, 0
	global_load_dwordx2 v[0:1], v3, s[2:3] offset:16
	s_mov_b64 s[18:19], exec
	v_mbcnt_lo_u32_b32 v2, s18, 0
	v_mbcnt_hi_u32_b32 v2, s19, v2
	v_cmp_eq_u32_e32 vcc, 0, v2
	s_and_saveexec_b64 s[20:21], vcc
	s_cbranch_execz .LBB7_861
; %bb.860:
	s_bcnt1_i32_b64 s15, s[18:19]
	v_mov_b32_e32 v2, s15
	buffer_wbl2 sc0 sc1
	s_waitcnt vmcnt(0)
	global_atomic_add_x2 v[0:1], v[2:3], off offset:8 sc1
.LBB7_861:
	s_or_b64 exec, exec, s[20:21]
	s_waitcnt vmcnt(0)
	global_load_dwordx2 v[2:3], v[0:1], off offset:16
	s_waitcnt vmcnt(0)
	v_cmp_eq_u64_e32 vcc, 0, v[2:3]
	s_cbranch_vccnz .LBB7_863
; %bb.862:
	global_load_dword v0, v[0:1], off offset:24
	v_mov_b32_e32 v1, 0
	buffer_wbl2 sc0 sc1
	s_waitcnt vmcnt(0)
	global_store_dwordx2 v[2:3], v[0:1], off sc0 sc1
	v_and_b32_e32 v0, 0xffffff, v0
	s_nop 0
	v_readfirstlane_b32 m0, v0
	s_sendmsg sendmsg(MSG_INTERRUPT)
.LBB7_863:
	s_or_b64 exec, exec, s[16:17]
	v_lshl_add_u64 v[0:1], v[6:7], 0, v[28:29]
	s_branch .LBB7_867
.LBB7_864:                              ;   in Loop: Header=BB7_867 Depth=1
	s_or_b64 exec, exec, s[16:17]
	v_readfirstlane_b32 s15, v2
	s_cmp_eq_u32 s15, 0
	s_cbranch_scc1 .LBB7_866
; %bb.865:                              ;   in Loop: Header=BB7_867 Depth=1
	s_sleep 1
	s_cbranch_execnz .LBB7_867
	s_branch .LBB7_869
.LBB7_866:
	s_branch .LBB7_869
.LBB7_867:                              ; =>This Inner Loop Header: Depth=1
	v_mov_b32_e32 v2, 1
	s_and_saveexec_b64 s[16:17], s[0:1]
	s_cbranch_execz .LBB7_864
; %bb.868:                              ;   in Loop: Header=BB7_867 Depth=1
	global_load_dword v2, v[4:5], off offset:20 sc0 sc1
	s_waitcnt vmcnt(0)
	buffer_inv sc0 sc1
	v_and_b32_e32 v2, 1, v2
	s_branch .LBB7_864
.LBB7_869:
	global_load_dwordx2 v[0:1], v[0:1], off
	s_and_saveexec_b64 s[16:17], s[0:1]
	s_cbranch_execz .LBB7_872
; %bb.870:
	v_mov_b32_e32 v8, 0
	global_load_dwordx2 v[6:7], v8, s[2:3] offset:40
	global_load_dwordx2 v[10:11], v8, s[2:3] offset:24 sc0 sc1
	global_load_dwordx2 v[12:13], v8, s[2:3]
	s_mov_b64 s[0:1], 0
	s_waitcnt vmcnt(2)
	v_lshl_add_u64 v[2:3], v[6:7], 0, 1
	v_lshl_add_u64 v[14:15], v[2:3], 0, s[10:11]
	v_cmp_eq_u64_e32 vcc, 0, v[14:15]
	s_waitcnt vmcnt(1)
	v_mov_b32_e32 v4, v10
	v_cndmask_b32_e32 v3, v15, v3, vcc
	v_cndmask_b32_e32 v2, v14, v2, vcc
	v_and_b32_e32 v5, v3, v7
	v_and_b32_e32 v6, v2, v6
	v_mul_lo_u32 v5, v5, 24
	v_mul_hi_u32 v7, v6, 24
	v_mul_lo_u32 v6, v6, 24
	v_add_u32_e32 v7, v7, v5
	s_waitcnt vmcnt(0)
	v_lshl_add_u64 v[6:7], v[12:13], 0, v[6:7]
	global_store_dwordx2 v[6:7], v[10:11], off
	v_mov_b32_e32 v5, v11
	buffer_wbl2 sc0 sc1
	s_waitcnt vmcnt(0)
	global_atomic_cmpswap_x2 v[4:5], v8, v[2:5], s[2:3] offset:24 sc0 sc1
	s_waitcnt vmcnt(0)
	v_cmp_ne_u64_e32 vcc, v[4:5], v[10:11]
	s_and_b64 exec, exec, vcc
	s_cbranch_execz .LBB7_872
.LBB7_871:                              ; =>This Inner Loop Header: Depth=1
	s_sleep 1
	global_store_dwordx2 v[6:7], v[4:5], off
	buffer_wbl2 sc0 sc1
	s_waitcnt vmcnt(0)
	global_atomic_cmpswap_x2 v[10:11], v8, v[2:5], s[2:3] offset:24 sc0 sc1
	s_waitcnt vmcnt(0)
	v_cmp_eq_u64_e32 vcc, v[10:11], v[4:5]
	s_or_b64 s[0:1], vcc, s[0:1]
	v_mov_b64_e32 v[4:5], v[10:11]
	s_andn2_b64 exec, exec, s[0:1]
	s_cbranch_execnz .LBB7_871
.LBB7_872:
	s_or_b64 exec, exec, s[16:17]
	s_getpc_b64 s[10:11]
	s_add_u32 s10, s10, .str.7@rel32@lo+4
	s_addc_u32 s11, s11, .str.7@rel32@hi+12
	s_cmp_lg_u64 s[10:11], 0
	s_cbranch_scc0 .LBB7_957
; %bb.873:
	s_waitcnt vmcnt(0)
	v_and_b32_e32 v30, 2, v0
	v_mov_b32_e32 v33, 0
	v_and_b32_e32 v2, -3, v0
	v_mov_b32_e32 v3, v1
	s_mov_b64 s[16:17], 4
	v_mov_b32_e32 v6, 2
	v_mov_b32_e32 v7, 1
	s_branch .LBB7_875
.LBB7_874:                              ;   in Loop: Header=BB7_875 Depth=1
	s_or_b64 exec, exec, s[22:23]
	s_sub_u32 s16, s16, s18
	s_subb_u32 s17, s17, s19
	s_add_u32 s10, s10, s18
	s_addc_u32 s11, s11, s19
	s_cmp_lg_u64 s[16:17], 0
	s_cbranch_scc0 .LBB7_956
.LBB7_875:                              ; =>This Loop Header: Depth=1
                                        ;     Child Loop BB7_878 Depth 2
                                        ;     Child Loop BB7_885 Depth 2
	;; [unrolled: 1-line block ×11, first 2 shown]
	v_cmp_lt_u64_e64 s[0:1], s[16:17], 56
	s_and_b64 s[0:1], s[0:1], exec
	v_cmp_gt_u64_e64 s[0:1], s[16:17], 7
	s_cselect_b32 s19, s17, 0
	s_cselect_b32 s18, s16, 56
	s_and_b64 vcc, exec, s[0:1]
	s_cbranch_vccnz .LBB7_880
; %bb.876:                              ;   in Loop: Header=BB7_875 Depth=1
	s_mov_b64 s[0:1], 0
	s_cmp_eq_u64 s[16:17], 0
	v_mov_b64_e32 v[10:11], 0
	s_cbranch_scc1 .LBB7_879
; %bb.877:                              ;   in Loop: Header=BB7_875 Depth=1
	s_lshl_b64 s[20:21], s[18:19], 3
	s_mov_b64 s[22:23], 0
	v_mov_b64_e32 v[10:11], 0
	s_mov_b64 s[24:25], s[10:11]
.LBB7_878:                              ;   Parent Loop BB7_875 Depth=1
                                        ; =>  This Inner Loop Header: Depth=2
	global_load_ubyte v4, v33, s[24:25]
	s_waitcnt vmcnt(0)
	v_and_b32_e32 v32, 0xffff, v4
	v_lshlrev_b64 v[4:5], s22, v[32:33]
	s_add_u32 s22, s22, 8
	s_addc_u32 s23, s23, 0
	s_add_u32 s24, s24, 1
	s_addc_u32 s25, s25, 0
	v_or_b32_e32 v10, v4, v10
	s_cmp_lg_u32 s20, s22
	v_or_b32_e32 v11, v5, v11
	s_cbranch_scc1 .LBB7_878
.LBB7_879:                              ;   in Loop: Header=BB7_875 Depth=1
	s_mov_b32 s15, 0
	s_andn2_b64 vcc, exec, s[0:1]
	s_mov_b64 s[0:1], s[10:11]
	s_cbranch_vccz .LBB7_881
	s_branch .LBB7_882
.LBB7_880:                              ;   in Loop: Header=BB7_875 Depth=1
                                        ; implicit-def: $vgpr10_vgpr11
                                        ; implicit-def: $sgpr15
	s_mov_b64 s[0:1], s[10:11]
.LBB7_881:                              ;   in Loop: Header=BB7_875 Depth=1
	global_load_dwordx2 v[10:11], v33, s[10:11]
	s_add_i32 s15, s18, -8
	s_add_u32 s0, s10, 8
	s_addc_u32 s1, s11, 0
.LBB7_882:                              ;   in Loop: Header=BB7_875 Depth=1
	s_cmp_gt_u32 s15, 7
	s_cbranch_scc1 .LBB7_886
; %bb.883:                              ;   in Loop: Header=BB7_875 Depth=1
	s_cmp_eq_u32 s15, 0
	s_cbranch_scc1 .LBB7_887
; %bb.884:                              ;   in Loop: Header=BB7_875 Depth=1
	s_mov_b64 s[20:21], 0
	v_mov_b64_e32 v[12:13], 0
	s_mov_b64 s[22:23], 0
.LBB7_885:                              ;   Parent Loop BB7_875 Depth=1
                                        ; =>  This Inner Loop Header: Depth=2
	s_add_u32 s24, s0, s22
	s_addc_u32 s25, s1, s23
	global_load_ubyte v4, v33, s[24:25]
	s_add_u32 s22, s22, 1
	s_addc_u32 s23, s23, 0
	s_waitcnt vmcnt(0)
	v_and_b32_e32 v32, 0xffff, v4
	v_lshlrev_b64 v[4:5], s20, v[32:33]
	s_add_u32 s20, s20, 8
	s_addc_u32 s21, s21, 0
	v_or_b32_e32 v12, v4, v12
	s_cmp_lg_u32 s15, s22
	v_or_b32_e32 v13, v5, v13
	s_cbranch_scc1 .LBB7_885
	s_branch .LBB7_888
.LBB7_886:                              ;   in Loop: Header=BB7_875 Depth=1
                                        ; implicit-def: $vgpr12_vgpr13
                                        ; implicit-def: $sgpr24
	s_branch .LBB7_889
.LBB7_887:                              ;   in Loop: Header=BB7_875 Depth=1
	v_mov_b64_e32 v[12:13], 0
.LBB7_888:                              ;   in Loop: Header=BB7_875 Depth=1
	s_mov_b32 s24, 0
	s_cbranch_execnz .LBB7_890
.LBB7_889:                              ;   in Loop: Header=BB7_875 Depth=1
	global_load_dwordx2 v[12:13], v33, s[0:1]
	s_add_i32 s24, s15, -8
	s_add_u32 s0, s0, 8
	s_addc_u32 s1, s1, 0
.LBB7_890:                              ;   in Loop: Header=BB7_875 Depth=1
	s_cmp_gt_u32 s24, 7
	s_cbranch_scc1 .LBB7_894
; %bb.891:                              ;   in Loop: Header=BB7_875 Depth=1
	s_cmp_eq_u32 s24, 0
	s_cbranch_scc1 .LBB7_895
; %bb.892:                              ;   in Loop: Header=BB7_875 Depth=1
	s_mov_b64 s[20:21], 0
	v_mov_b64_e32 v[14:15], 0
	s_mov_b64 s[22:23], 0
.LBB7_893:                              ;   Parent Loop BB7_875 Depth=1
                                        ; =>  This Inner Loop Header: Depth=2
	s_add_u32 s26, s0, s22
	s_addc_u32 s27, s1, s23
	global_load_ubyte v4, v33, s[26:27]
	s_add_u32 s22, s22, 1
	s_addc_u32 s23, s23, 0
	s_waitcnt vmcnt(0)
	v_and_b32_e32 v32, 0xffff, v4
	v_lshlrev_b64 v[4:5], s20, v[32:33]
	s_add_u32 s20, s20, 8
	s_addc_u32 s21, s21, 0
	v_or_b32_e32 v14, v4, v14
	s_cmp_lg_u32 s24, s22
	v_or_b32_e32 v15, v5, v15
	s_cbranch_scc1 .LBB7_893
	s_branch .LBB7_896
.LBB7_894:                              ;   in Loop: Header=BB7_875 Depth=1
                                        ; implicit-def: $sgpr15
	s_branch .LBB7_897
.LBB7_895:                              ;   in Loop: Header=BB7_875 Depth=1
	v_mov_b64_e32 v[14:15], 0
.LBB7_896:                              ;   in Loop: Header=BB7_875 Depth=1
	s_mov_b32 s15, 0
	s_cbranch_execnz .LBB7_898
.LBB7_897:                              ;   in Loop: Header=BB7_875 Depth=1
	global_load_dwordx2 v[14:15], v33, s[0:1]
	s_add_i32 s15, s24, -8
	s_add_u32 s0, s0, 8
	s_addc_u32 s1, s1, 0
.LBB7_898:                              ;   in Loop: Header=BB7_875 Depth=1
	s_cmp_gt_u32 s15, 7
	s_cbranch_scc1 .LBB7_902
; %bb.899:                              ;   in Loop: Header=BB7_875 Depth=1
	s_cmp_eq_u32 s15, 0
	s_cbranch_scc1 .LBB7_903
; %bb.900:                              ;   in Loop: Header=BB7_875 Depth=1
	s_mov_b64 s[20:21], 0
	v_mov_b64_e32 v[16:17], 0
	s_mov_b64 s[22:23], 0
.LBB7_901:                              ;   Parent Loop BB7_875 Depth=1
                                        ; =>  This Inner Loop Header: Depth=2
	s_add_u32 s24, s0, s22
	s_addc_u32 s25, s1, s23
	global_load_ubyte v4, v33, s[24:25]
	s_add_u32 s22, s22, 1
	s_addc_u32 s23, s23, 0
	s_waitcnt vmcnt(0)
	v_and_b32_e32 v32, 0xffff, v4
	v_lshlrev_b64 v[4:5], s20, v[32:33]
	s_add_u32 s20, s20, 8
	s_addc_u32 s21, s21, 0
	v_or_b32_e32 v16, v4, v16
	s_cmp_lg_u32 s15, s22
	v_or_b32_e32 v17, v5, v17
	s_cbranch_scc1 .LBB7_901
	s_branch .LBB7_904
.LBB7_902:                              ;   in Loop: Header=BB7_875 Depth=1
                                        ; implicit-def: $vgpr16_vgpr17
                                        ; implicit-def: $sgpr24
	s_branch .LBB7_905
.LBB7_903:                              ;   in Loop: Header=BB7_875 Depth=1
	v_mov_b64_e32 v[16:17], 0
.LBB7_904:                              ;   in Loop: Header=BB7_875 Depth=1
	s_mov_b32 s24, 0
	s_cbranch_execnz .LBB7_906
.LBB7_905:                              ;   in Loop: Header=BB7_875 Depth=1
	global_load_dwordx2 v[16:17], v33, s[0:1]
	s_add_i32 s24, s15, -8
	s_add_u32 s0, s0, 8
	s_addc_u32 s1, s1, 0
.LBB7_906:                              ;   in Loop: Header=BB7_875 Depth=1
	s_cmp_gt_u32 s24, 7
	s_cbranch_scc1 .LBB7_910
; %bb.907:                              ;   in Loop: Header=BB7_875 Depth=1
	s_cmp_eq_u32 s24, 0
	s_cbranch_scc1 .LBB7_911
; %bb.908:                              ;   in Loop: Header=BB7_875 Depth=1
	s_mov_b64 s[20:21], 0
	v_mov_b64_e32 v[18:19], 0
	s_mov_b64 s[22:23], 0
.LBB7_909:                              ;   Parent Loop BB7_875 Depth=1
                                        ; =>  This Inner Loop Header: Depth=2
	s_add_u32 s26, s0, s22
	s_addc_u32 s27, s1, s23
	global_load_ubyte v4, v33, s[26:27]
	s_add_u32 s22, s22, 1
	s_addc_u32 s23, s23, 0
	s_waitcnt vmcnt(0)
	v_and_b32_e32 v32, 0xffff, v4
	v_lshlrev_b64 v[4:5], s20, v[32:33]
	s_add_u32 s20, s20, 8
	s_addc_u32 s21, s21, 0
	v_or_b32_e32 v18, v4, v18
	s_cmp_lg_u32 s24, s22
	v_or_b32_e32 v19, v5, v19
	s_cbranch_scc1 .LBB7_909
	s_branch .LBB7_912
.LBB7_910:                              ;   in Loop: Header=BB7_875 Depth=1
                                        ; implicit-def: $sgpr15
	s_branch .LBB7_913
.LBB7_911:                              ;   in Loop: Header=BB7_875 Depth=1
	v_mov_b64_e32 v[18:19], 0
.LBB7_912:                              ;   in Loop: Header=BB7_875 Depth=1
	s_mov_b32 s15, 0
	s_cbranch_execnz .LBB7_914
.LBB7_913:                              ;   in Loop: Header=BB7_875 Depth=1
	global_load_dwordx2 v[18:19], v33, s[0:1]
	s_add_i32 s15, s24, -8
	s_add_u32 s0, s0, 8
	s_addc_u32 s1, s1, 0
.LBB7_914:                              ;   in Loop: Header=BB7_875 Depth=1
	s_cmp_gt_u32 s15, 7
	s_cbranch_scc1 .LBB7_918
; %bb.915:                              ;   in Loop: Header=BB7_875 Depth=1
	s_cmp_eq_u32 s15, 0
	s_cbranch_scc1 .LBB7_919
; %bb.916:                              ;   in Loop: Header=BB7_875 Depth=1
	s_mov_b64 s[20:21], 0
	v_mov_b64_e32 v[20:21], 0
	s_mov_b64 s[22:23], 0
.LBB7_917:                              ;   Parent Loop BB7_875 Depth=1
                                        ; =>  This Inner Loop Header: Depth=2
	s_add_u32 s24, s0, s22
	s_addc_u32 s25, s1, s23
	global_load_ubyte v4, v33, s[24:25]
	s_add_u32 s22, s22, 1
	s_addc_u32 s23, s23, 0
	s_waitcnt vmcnt(0)
	v_and_b32_e32 v32, 0xffff, v4
	v_lshlrev_b64 v[4:5], s20, v[32:33]
	s_add_u32 s20, s20, 8
	s_addc_u32 s21, s21, 0
	v_or_b32_e32 v20, v4, v20
	s_cmp_lg_u32 s15, s22
	v_or_b32_e32 v21, v5, v21
	s_cbranch_scc1 .LBB7_917
	s_branch .LBB7_920
.LBB7_918:                              ;   in Loop: Header=BB7_875 Depth=1
                                        ; implicit-def: $vgpr20_vgpr21
                                        ; implicit-def: $sgpr24
	s_branch .LBB7_921
.LBB7_919:                              ;   in Loop: Header=BB7_875 Depth=1
	v_mov_b64_e32 v[20:21], 0
.LBB7_920:                              ;   in Loop: Header=BB7_875 Depth=1
	s_mov_b32 s24, 0
	s_cbranch_execnz .LBB7_922
.LBB7_921:                              ;   in Loop: Header=BB7_875 Depth=1
	global_load_dwordx2 v[20:21], v33, s[0:1]
	s_add_i32 s24, s15, -8
	s_add_u32 s0, s0, 8
	s_addc_u32 s1, s1, 0
.LBB7_922:                              ;   in Loop: Header=BB7_875 Depth=1
	s_cmp_gt_u32 s24, 7
	s_cbranch_scc1 .LBB7_926
; %bb.923:                              ;   in Loop: Header=BB7_875 Depth=1
	s_cmp_eq_u32 s24, 0
	s_cbranch_scc1 .LBB7_927
; %bb.924:                              ;   in Loop: Header=BB7_875 Depth=1
	s_mov_b64 s[20:21], 0
	v_mov_b64_e32 v[22:23], 0
	s_mov_b64 s[22:23], s[0:1]
.LBB7_925:                              ;   Parent Loop BB7_875 Depth=1
                                        ; =>  This Inner Loop Header: Depth=2
	global_load_ubyte v4, v33, s[22:23]
	s_add_i32 s24, s24, -1
	s_waitcnt vmcnt(0)
	v_and_b32_e32 v32, 0xffff, v4
	v_lshlrev_b64 v[4:5], s20, v[32:33]
	s_add_u32 s20, s20, 8
	s_addc_u32 s21, s21, 0
	s_add_u32 s22, s22, 1
	s_addc_u32 s23, s23, 0
	v_or_b32_e32 v22, v4, v22
	s_cmp_lg_u32 s24, 0
	v_or_b32_e32 v23, v5, v23
	s_cbranch_scc1 .LBB7_925
	s_branch .LBB7_928
.LBB7_926:                              ;   in Loop: Header=BB7_875 Depth=1
	s_branch .LBB7_929
.LBB7_927:                              ;   in Loop: Header=BB7_875 Depth=1
	v_mov_b64_e32 v[22:23], 0
.LBB7_928:                              ;   in Loop: Header=BB7_875 Depth=1
	s_cbranch_execnz .LBB7_930
.LBB7_929:                              ;   in Loop: Header=BB7_875 Depth=1
	global_load_dwordx2 v[22:23], v33, s[0:1]
.LBB7_930:                              ;   in Loop: Header=BB7_875 Depth=1
	v_readfirstlane_b32 s0, v36
	s_waitcnt vmcnt(0)
	v_mov_b64_e32 v[4:5], 0
	v_cmp_eq_u32_e64 s[0:1], s0, v36
	s_and_saveexec_b64 s[20:21], s[0:1]
	s_cbranch_execz .LBB7_936
; %bb.931:                              ;   in Loop: Header=BB7_875 Depth=1
	global_load_dwordx2 v[26:27], v33, s[2:3] offset:24 sc0 sc1
	s_waitcnt vmcnt(0)
	buffer_inv sc0 sc1
	global_load_dwordx2 v[4:5], v33, s[2:3] offset:40
	global_load_dwordx2 v[8:9], v33, s[2:3]
	s_waitcnt vmcnt(1)
	v_and_b32_e32 v4, v4, v26
	v_and_b32_e32 v5, v5, v27
	v_mul_lo_u32 v5, v5, 24
	v_mul_hi_u32 v24, v4, 24
	v_add_u32_e32 v5, v24, v5
	v_mul_lo_u32 v4, v4, 24
	s_waitcnt vmcnt(0)
	v_lshl_add_u64 v[4:5], v[8:9], 0, v[4:5]
	global_load_dwordx2 v[24:25], v[4:5], off sc0 sc1
	s_waitcnt vmcnt(0)
	global_atomic_cmpswap_x2 v[4:5], v33, v[24:27], s[2:3] offset:24 sc0 sc1
	s_waitcnt vmcnt(0)
	buffer_inv sc0 sc1
	v_cmp_ne_u64_e32 vcc, v[4:5], v[26:27]
	s_and_saveexec_b64 s[22:23], vcc
	s_cbranch_execz .LBB7_935
; %bb.932:                              ;   in Loop: Header=BB7_875 Depth=1
	s_mov_b64 s[24:25], 0
.LBB7_933:                              ;   Parent Loop BB7_875 Depth=1
                                        ; =>  This Inner Loop Header: Depth=2
	s_sleep 1
	global_load_dwordx2 v[8:9], v33, s[2:3] offset:40
	global_load_dwordx2 v[24:25], v33, s[2:3]
	v_mov_b64_e32 v[26:27], v[4:5]
	s_waitcnt vmcnt(1)
	v_and_b32_e32 v4, v8, v26
	s_waitcnt vmcnt(0)
	v_mad_u64_u32 v[4:5], s[26:27], v4, 24, v[24:25]
	v_and_b32_e32 v9, v9, v27
	v_mov_b32_e32 v8, v5
	v_mad_u64_u32 v[8:9], s[26:27], v9, 24, v[8:9]
	v_mov_b32_e32 v5, v8
	global_load_dwordx2 v[24:25], v[4:5], off sc0 sc1
	s_waitcnt vmcnt(0)
	global_atomic_cmpswap_x2 v[4:5], v33, v[24:27], s[2:3] offset:24 sc0 sc1
	s_waitcnt vmcnt(0)
	buffer_inv sc0 sc1
	v_cmp_eq_u64_e32 vcc, v[4:5], v[26:27]
	s_or_b64 s[24:25], vcc, s[24:25]
	s_andn2_b64 exec, exec, s[24:25]
	s_cbranch_execnz .LBB7_933
; %bb.934:                              ;   in Loop: Header=BB7_875 Depth=1
	s_or_b64 exec, exec, s[24:25]
.LBB7_935:                              ;   in Loop: Header=BB7_875 Depth=1
	s_or_b64 exec, exec, s[22:23]
.LBB7_936:                              ;   in Loop: Header=BB7_875 Depth=1
	s_or_b64 exec, exec, s[20:21]
	global_load_dwordx2 v[8:9], v33, s[2:3] offset:40
	global_load_dwordx4 v[24:27], v33, s[2:3]
	v_readfirstlane_b32 s20, v4
	v_readfirstlane_b32 s21, v5
	s_mov_b64 s[22:23], exec
	s_waitcnt vmcnt(1)
	v_readfirstlane_b32 s24, v8
	v_readfirstlane_b32 s25, v9
	s_and_b64 s[24:25], s[20:21], s[24:25]
	s_mul_i32 s15, s25, 24
	s_mul_hi_u32 s26, s24, 24
	s_add_i32 s27, s26, s15
	s_mul_i32 s26, s24, 24
	s_waitcnt vmcnt(0)
	v_lshl_add_u64 v[34:35], v[24:25], 0, s[26:27]
	s_and_saveexec_b64 s[26:27], s[0:1]
	s_cbranch_execz .LBB7_938
; %bb.937:                              ;   in Loop: Header=BB7_875 Depth=1
	v_mov_b64_e32 v[4:5], s[22:23]
	global_store_dwordx4 v[34:35], v[4:7], off offset:8
.LBB7_938:                              ;   in Loop: Header=BB7_875 Depth=1
	s_or_b64 exec, exec, s[26:27]
	s_nop 0
	v_or_b32_e32 v5, v2, v30
	v_cmp_gt_u64_e64 vcc, s[16:17], 56
	s_lshl_b32 s15, s18, 2
	s_lshl_b64 s[22:23], s[24:25], 12
	v_cndmask_b32_e32 v2, v5, v2, vcc
	s_add_i32 s15, s15, 28
	v_lshl_add_u64 v[26:27], v[26:27], 0, s[22:23]
	v_or_b32_e32 v4, 0, v3
	s_and_b32 s15, s15, 0x1e0
	v_and_b32_e32 v2, 0xffffff1f, v2
	v_cndmask_b32_e32 v9, v4, v3, vcc
	v_or_b32_e32 v8, s15, v2
	v_readfirstlane_b32 s22, v26
	v_readfirstlane_b32 s23, v27
	s_nop 4
	global_store_dwordx4 v28, v[8:11], s[22:23]
	global_store_dwordx4 v28, v[12:15], s[22:23] offset:16
	global_store_dwordx4 v28, v[16:19], s[22:23] offset:32
	;; [unrolled: 1-line block ×3, first 2 shown]
	s_and_saveexec_b64 s[22:23], s[0:1]
	s_cbranch_execz .LBB7_946
; %bb.939:                              ;   in Loop: Header=BB7_875 Depth=1
	global_load_dwordx2 v[12:13], v33, s[2:3] offset:32 sc0 sc1
	global_load_dwordx2 v[2:3], v33, s[2:3] offset:40
	v_mov_b32_e32 v10, s20
	v_mov_b32_e32 v11, s21
	s_waitcnt vmcnt(0)
	v_readfirstlane_b32 s24, v2
	v_readfirstlane_b32 s25, v3
	s_and_b64 s[24:25], s[24:25], s[20:21]
	s_mul_i32 s15, s25, 24
	s_mul_hi_u32 s25, s24, 24
	s_mul_i32 s24, s24, 24
	s_add_i32 s25, s25, s15
	v_lshl_add_u64 v[8:9], v[24:25], 0, s[24:25]
	global_store_dwordx2 v[8:9], v[12:13], off
	buffer_wbl2 sc0 sc1
	s_waitcnt vmcnt(0)
	global_atomic_cmpswap_x2 v[4:5], v33, v[10:13], s[2:3] offset:32 sc0 sc1
	s_waitcnt vmcnt(0)
	v_cmp_ne_u64_e32 vcc, v[4:5], v[12:13]
	s_and_saveexec_b64 s[24:25], vcc
	s_cbranch_execz .LBB7_942
; %bb.940:                              ;   in Loop: Header=BB7_875 Depth=1
	s_mov_b64 s[26:27], 0
.LBB7_941:                              ;   Parent Loop BB7_875 Depth=1
                                        ; =>  This Inner Loop Header: Depth=2
	s_sleep 1
	global_store_dwordx2 v[8:9], v[4:5], off
	v_mov_b32_e32 v2, s20
	v_mov_b32_e32 v3, s21
	buffer_wbl2 sc0 sc1
	s_waitcnt vmcnt(0)
	global_atomic_cmpswap_x2 v[2:3], v33, v[2:5], s[2:3] offset:32 sc0 sc1
	s_waitcnt vmcnt(0)
	v_cmp_eq_u64_e32 vcc, v[2:3], v[4:5]
	s_or_b64 s[26:27], vcc, s[26:27]
	v_mov_b64_e32 v[4:5], v[2:3]
	s_andn2_b64 exec, exec, s[26:27]
	s_cbranch_execnz .LBB7_941
.LBB7_942:                              ;   in Loop: Header=BB7_875 Depth=1
	s_or_b64 exec, exec, s[24:25]
	global_load_dwordx2 v[2:3], v33, s[2:3] offset:16
	s_mov_b64 s[26:27], exec
	v_mbcnt_lo_u32_b32 v4, s26, 0
	v_mbcnt_hi_u32_b32 v4, s27, v4
	v_cmp_eq_u32_e32 vcc, 0, v4
	s_and_saveexec_b64 s[24:25], vcc
	s_cbranch_execz .LBB7_944
; %bb.943:                              ;   in Loop: Header=BB7_875 Depth=1
	s_bcnt1_i32_b64 s15, s[26:27]
	v_mov_b32_e32 v32, s15
	buffer_wbl2 sc0 sc1
	s_waitcnt vmcnt(0)
	global_atomic_add_x2 v[2:3], v[32:33], off offset:8 sc1
.LBB7_944:                              ;   in Loop: Header=BB7_875 Depth=1
	s_or_b64 exec, exec, s[24:25]
	s_waitcnt vmcnt(0)
	global_load_dwordx2 v[4:5], v[2:3], off offset:16
	s_waitcnt vmcnt(0)
	v_cmp_eq_u64_e32 vcc, 0, v[4:5]
	s_cbranch_vccnz .LBB7_946
; %bb.945:                              ;   in Loop: Header=BB7_875 Depth=1
	global_load_dword v32, v[2:3], off offset:24
	s_waitcnt vmcnt(0)
	v_and_b32_e32 v2, 0xffffff, v32
	s_nop 0
	v_readfirstlane_b32 m0, v2
	buffer_wbl2 sc0 sc1
	global_store_dwordx2 v[4:5], v[32:33], off sc0 sc1
	s_sendmsg sendmsg(MSG_INTERRUPT)
.LBB7_946:                              ;   in Loop: Header=BB7_875 Depth=1
	s_or_b64 exec, exec, s[22:23]
	v_mov_b32_e32 v29, v33
	v_lshl_add_u64 v[2:3], v[26:27], 0, v[28:29]
	s_branch .LBB7_950
.LBB7_947:                              ;   in Loop: Header=BB7_950 Depth=2
	s_or_b64 exec, exec, s[22:23]
	v_readfirstlane_b32 s15, v4
	s_cmp_eq_u32 s15, 0
	s_cbranch_scc1 .LBB7_949
; %bb.948:                              ;   in Loop: Header=BB7_950 Depth=2
	s_sleep 1
	s_cbranch_execnz .LBB7_950
	s_branch .LBB7_952
.LBB7_949:                              ;   in Loop: Header=BB7_875 Depth=1
	s_branch .LBB7_952
.LBB7_950:                              ;   Parent Loop BB7_875 Depth=1
                                        ; =>  This Inner Loop Header: Depth=2
	v_mov_b32_e32 v4, 1
	s_and_saveexec_b64 s[22:23], s[0:1]
	s_cbranch_execz .LBB7_947
; %bb.951:                              ;   in Loop: Header=BB7_950 Depth=2
	global_load_dword v4, v[34:35], off offset:20 sc0 sc1
	s_waitcnt vmcnt(0)
	buffer_inv sc0 sc1
	v_and_b32_e32 v4, 1, v4
	s_branch .LBB7_947
.LBB7_952:                              ;   in Loop: Header=BB7_875 Depth=1
	global_load_dwordx4 v[2:5], v[2:3], off
	s_and_saveexec_b64 s[22:23], s[0:1]
	s_cbranch_execz .LBB7_874
; %bb.953:                              ;   in Loop: Header=BB7_875 Depth=1
	global_load_dwordx2 v[4:5], v33, s[2:3] offset:40
	global_load_dwordx2 v[12:13], v33, s[2:3] offset:24 sc0 sc1
	global_load_dwordx2 v[14:15], v33, s[2:3]
	s_waitcnt vmcnt(2)
	v_lshl_add_u64 v[8:9], v[4:5], 0, 1
	v_lshl_add_u64 v[16:17], v[8:9], 0, s[20:21]
	v_cmp_eq_u64_e32 vcc, 0, v[16:17]
	s_waitcnt vmcnt(1)
	v_mov_b32_e32 v10, v12
	v_cndmask_b32_e32 v9, v17, v9, vcc
	v_cndmask_b32_e32 v8, v16, v8, vcc
	v_and_b32_e32 v5, v9, v5
	v_and_b32_e32 v4, v8, v4
	v_mul_lo_u32 v5, v5, 24
	v_mul_hi_u32 v11, v4, 24
	v_mul_lo_u32 v4, v4, 24
	v_add_u32_e32 v5, v11, v5
	s_waitcnt vmcnt(0)
	v_lshl_add_u64 v[4:5], v[14:15], 0, v[4:5]
	global_store_dwordx2 v[4:5], v[12:13], off
	v_mov_b32_e32 v11, v13
	buffer_wbl2 sc0 sc1
	s_waitcnt vmcnt(0)
	global_atomic_cmpswap_x2 v[10:11], v33, v[8:11], s[2:3] offset:24 sc0 sc1
	s_waitcnt vmcnt(0)
	v_cmp_ne_u64_e32 vcc, v[10:11], v[12:13]
	s_and_b64 exec, exec, vcc
	s_cbranch_execz .LBB7_874
; %bb.954:                              ;   in Loop: Header=BB7_875 Depth=1
	s_mov_b64 s[0:1], 0
.LBB7_955:                              ;   Parent Loop BB7_875 Depth=1
                                        ; =>  This Inner Loop Header: Depth=2
	s_sleep 1
	global_store_dwordx2 v[4:5], v[10:11], off
	buffer_wbl2 sc0 sc1
	s_waitcnt vmcnt(0)
	global_atomic_cmpswap_x2 v[12:13], v33, v[8:11], s[2:3] offset:24 sc0 sc1
	s_waitcnt vmcnt(0)
	v_cmp_eq_u64_e32 vcc, v[12:13], v[10:11]
	s_or_b64 s[0:1], vcc, s[0:1]
	v_mov_b64_e32 v[10:11], v[12:13]
	s_andn2_b64 exec, exec, s[0:1]
	s_cbranch_execnz .LBB7_955
	s_branch .LBB7_874
.LBB7_956:
	s_branch .LBB7_984
.LBB7_957:
                                        ; implicit-def: $vgpr2_vgpr3
	s_cbranch_execz .LBB7_984
; %bb.958:
	v_readfirstlane_b32 s0, v36
	s_waitcnt vmcnt(0)
	v_mov_b64_e32 v[2:3], 0
	v_cmp_eq_u32_e64 s[0:1], s0, v36
	s_and_saveexec_b64 s[10:11], s[0:1]
	s_cbranch_execz .LBB7_964
; %bb.959:
	v_mov_b32_e32 v4, 0
	global_load_dwordx2 v[8:9], v4, s[2:3] offset:24 sc0 sc1
	s_waitcnt vmcnt(0)
	buffer_inv sc0 sc1
	global_load_dwordx2 v[2:3], v4, s[2:3] offset:40
	global_load_dwordx2 v[6:7], v4, s[2:3]
	s_waitcnt vmcnt(1)
	v_and_b32_e32 v2, v2, v8
	v_and_b32_e32 v3, v3, v9
	v_mul_lo_u32 v3, v3, 24
	v_mul_hi_u32 v5, v2, 24
	v_add_u32_e32 v3, v5, v3
	v_mul_lo_u32 v2, v2, 24
	s_waitcnt vmcnt(0)
	v_lshl_add_u64 v[2:3], v[6:7], 0, v[2:3]
	global_load_dwordx2 v[6:7], v[2:3], off sc0 sc1
	s_waitcnt vmcnt(0)
	global_atomic_cmpswap_x2 v[2:3], v4, v[6:9], s[2:3] offset:24 sc0 sc1
	s_waitcnt vmcnt(0)
	buffer_inv sc0 sc1
	v_cmp_ne_u64_e32 vcc, v[2:3], v[8:9]
	s_and_saveexec_b64 s[16:17], vcc
	s_cbranch_execz .LBB7_963
; %bb.960:
	s_mov_b64 s[18:19], 0
.LBB7_961:                              ; =>This Inner Loop Header: Depth=1
	s_sleep 1
	global_load_dwordx2 v[6:7], v4, s[2:3] offset:40
	global_load_dwordx2 v[10:11], v4, s[2:3]
	v_mov_b64_e32 v[8:9], v[2:3]
	s_waitcnt vmcnt(1)
	v_and_b32_e32 v2, v6, v8
	s_waitcnt vmcnt(0)
	v_mad_u64_u32 v[2:3], s[20:21], v2, 24, v[10:11]
	v_and_b32_e32 v5, v7, v9
	v_mov_b32_e32 v6, v3
	v_mad_u64_u32 v[6:7], s[20:21], v5, 24, v[6:7]
	v_mov_b32_e32 v3, v6
	global_load_dwordx2 v[6:7], v[2:3], off sc0 sc1
	s_waitcnt vmcnt(0)
	global_atomic_cmpswap_x2 v[2:3], v4, v[6:9], s[2:3] offset:24 sc0 sc1
	s_waitcnt vmcnt(0)
	buffer_inv sc0 sc1
	v_cmp_eq_u64_e32 vcc, v[2:3], v[8:9]
	s_or_b64 s[18:19], vcc, s[18:19]
	s_andn2_b64 exec, exec, s[18:19]
	s_cbranch_execnz .LBB7_961
; %bb.962:
	s_or_b64 exec, exec, s[18:19]
.LBB7_963:
	s_or_b64 exec, exec, s[16:17]
.LBB7_964:
	s_or_b64 exec, exec, s[10:11]
	v_mov_b32_e32 v29, 0
	global_load_dwordx2 v[8:9], v29, s[2:3] offset:40
	global_load_dwordx4 v[4:7], v29, s[2:3]
	v_readfirstlane_b32 s10, v2
	v_readfirstlane_b32 s11, v3
	s_mov_b64 s[16:17], exec
	s_waitcnt vmcnt(1)
	v_readfirstlane_b32 s18, v8
	v_readfirstlane_b32 s19, v9
	s_and_b64 s[18:19], s[10:11], s[18:19]
	s_mul_i32 s15, s19, 24
	s_mul_hi_u32 s20, s18, 24
	s_add_i32 s21, s20, s15
	s_mul_i32 s20, s18, 24
	s_waitcnt vmcnt(0)
	v_lshl_add_u64 v[8:9], v[4:5], 0, s[20:21]
	s_and_saveexec_b64 s[20:21], s[0:1]
	s_cbranch_execz .LBB7_966
; %bb.965:
	v_mov_b64_e32 v[10:11], s[16:17]
	v_mov_b32_e32 v12, 2
	v_mov_b32_e32 v13, 1
	global_store_dwordx4 v[8:9], v[10:13], off offset:8
.LBB7_966:
	s_or_b64 exec, exec, s[20:21]
	s_lshl_b64 s[16:17], s[18:19], 12
	v_lshl_add_u64 v[6:7], v[6:7], 0, s[16:17]
	s_movk_i32 s15, 0xff1f
	s_mov_b32 s16, 0
	v_and_or_b32 v0, v0, s15, 32
	v_mov_b32_e32 v2, v29
	v_mov_b32_e32 v3, v29
	v_readfirstlane_b32 s20, v6
	v_readfirstlane_b32 s21, v7
	s_mov_b32 s17, s16
	s_mov_b32 s18, s16
	;; [unrolled: 1-line block ×3, first 2 shown]
	s_nop 1
	global_store_dwordx4 v28, v[0:3], s[20:21]
	s_nop 1
	v_mov_b64_e32 v[0:1], s[16:17]
	v_mov_b64_e32 v[2:3], s[18:19]
	global_store_dwordx4 v28, v[0:3], s[20:21] offset:16
	global_store_dwordx4 v28, v[0:3], s[20:21] offset:32
	;; [unrolled: 1-line block ×3, first 2 shown]
	s_and_saveexec_b64 s[16:17], s[0:1]
	s_cbranch_execz .LBB7_974
; %bb.967:
	v_mov_b32_e32 v10, 0
	global_load_dwordx2 v[14:15], v10, s[2:3] offset:32 sc0 sc1
	global_load_dwordx2 v[0:1], v10, s[2:3] offset:40
	v_mov_b32_e32 v12, s10
	v_mov_b32_e32 v13, s11
	s_waitcnt vmcnt(0)
	v_readfirstlane_b32 s18, v0
	v_readfirstlane_b32 s19, v1
	s_and_b64 s[18:19], s[18:19], s[10:11]
	s_mul_i32 s15, s19, 24
	s_mul_hi_u32 s19, s18, 24
	s_mul_i32 s18, s18, 24
	s_add_i32 s19, s19, s15
	v_lshl_add_u64 v[4:5], v[4:5], 0, s[18:19]
	global_store_dwordx2 v[4:5], v[14:15], off
	buffer_wbl2 sc0 sc1
	s_waitcnt vmcnt(0)
	global_atomic_cmpswap_x2 v[2:3], v10, v[12:15], s[2:3] offset:32 sc0 sc1
	s_waitcnt vmcnt(0)
	v_cmp_ne_u64_e32 vcc, v[2:3], v[14:15]
	s_and_saveexec_b64 s[18:19], vcc
	s_cbranch_execz .LBB7_970
; %bb.968:
	s_mov_b64 s[20:21], 0
.LBB7_969:                              ; =>This Inner Loop Header: Depth=1
	s_sleep 1
	global_store_dwordx2 v[4:5], v[2:3], off
	v_mov_b32_e32 v0, s10
	v_mov_b32_e32 v1, s11
	buffer_wbl2 sc0 sc1
	s_waitcnt vmcnt(0)
	global_atomic_cmpswap_x2 v[0:1], v10, v[0:3], s[2:3] offset:32 sc0 sc1
	s_waitcnt vmcnt(0)
	v_cmp_eq_u64_e32 vcc, v[0:1], v[2:3]
	s_or_b64 s[20:21], vcc, s[20:21]
	v_mov_b64_e32 v[2:3], v[0:1]
	s_andn2_b64 exec, exec, s[20:21]
	s_cbranch_execnz .LBB7_969
.LBB7_970:
	s_or_b64 exec, exec, s[18:19]
	v_mov_b32_e32 v3, 0
	global_load_dwordx2 v[0:1], v3, s[2:3] offset:16
	s_mov_b64 s[18:19], exec
	v_mbcnt_lo_u32_b32 v2, s18, 0
	v_mbcnt_hi_u32_b32 v2, s19, v2
	v_cmp_eq_u32_e32 vcc, 0, v2
	s_and_saveexec_b64 s[20:21], vcc
	s_cbranch_execz .LBB7_972
; %bb.971:
	s_bcnt1_i32_b64 s15, s[18:19]
	v_mov_b32_e32 v2, s15
	buffer_wbl2 sc0 sc1
	s_waitcnt vmcnt(0)
	global_atomic_add_x2 v[0:1], v[2:3], off offset:8 sc1
.LBB7_972:
	s_or_b64 exec, exec, s[20:21]
	s_waitcnt vmcnt(0)
	global_load_dwordx2 v[2:3], v[0:1], off offset:16
	s_waitcnt vmcnt(0)
	v_cmp_eq_u64_e32 vcc, 0, v[2:3]
	s_cbranch_vccnz .LBB7_974
; %bb.973:
	global_load_dword v0, v[0:1], off offset:24
	v_mov_b32_e32 v1, 0
	buffer_wbl2 sc0 sc1
	s_waitcnt vmcnt(0)
	global_store_dwordx2 v[2:3], v[0:1], off sc0 sc1
	v_and_b32_e32 v0, 0xffffff, v0
	s_nop 0
	v_readfirstlane_b32 m0, v0
	s_sendmsg sendmsg(MSG_INTERRUPT)
.LBB7_974:
	s_or_b64 exec, exec, s[16:17]
	v_lshl_add_u64 v[0:1], v[6:7], 0, v[28:29]
	s_branch .LBB7_978
.LBB7_975:                              ;   in Loop: Header=BB7_978 Depth=1
	s_or_b64 exec, exec, s[16:17]
	v_readfirstlane_b32 s15, v2
	s_cmp_eq_u32 s15, 0
	s_cbranch_scc1 .LBB7_977
; %bb.976:                              ;   in Loop: Header=BB7_978 Depth=1
	s_sleep 1
	s_cbranch_execnz .LBB7_978
	s_branch .LBB7_980
.LBB7_977:
	s_branch .LBB7_980
.LBB7_978:                              ; =>This Inner Loop Header: Depth=1
	v_mov_b32_e32 v2, 1
	s_and_saveexec_b64 s[16:17], s[0:1]
	s_cbranch_execz .LBB7_975
; %bb.979:                              ;   in Loop: Header=BB7_978 Depth=1
	global_load_dword v2, v[8:9], off offset:20 sc0 sc1
	s_waitcnt vmcnt(0)
	buffer_inv sc0 sc1
	v_and_b32_e32 v2, 1, v2
	s_branch .LBB7_975
.LBB7_980:
	global_load_dwordx2 v[2:3], v[0:1], off
	s_and_saveexec_b64 s[16:17], s[0:1]
	s_cbranch_execz .LBB7_983
; %bb.981:
	v_mov_b32_e32 v8, 0
	global_load_dwordx2 v[0:1], v8, s[2:3] offset:40
	global_load_dwordx2 v[10:11], v8, s[2:3] offset:24 sc0 sc1
	global_load_dwordx2 v[12:13], v8, s[2:3]
	s_mov_b64 s[0:1], 0
	s_waitcnt vmcnt(2)
	v_lshl_add_u64 v[4:5], v[0:1], 0, 1
	v_lshl_add_u64 v[14:15], v[4:5], 0, s[10:11]
	v_cmp_eq_u64_e32 vcc, 0, v[14:15]
	s_waitcnt vmcnt(1)
	v_mov_b32_e32 v6, v10
	v_cndmask_b32_e32 v5, v15, v5, vcc
	v_cndmask_b32_e32 v4, v14, v4, vcc
	v_and_b32_e32 v1, v5, v1
	v_and_b32_e32 v0, v4, v0
	v_mul_lo_u32 v1, v1, 24
	v_mul_hi_u32 v7, v0, 24
	v_mul_lo_u32 v0, v0, 24
	v_add_u32_e32 v1, v7, v1
	s_waitcnt vmcnt(0)
	v_lshl_add_u64 v[0:1], v[12:13], 0, v[0:1]
	global_store_dwordx2 v[0:1], v[10:11], off
	v_mov_b32_e32 v7, v11
	buffer_wbl2 sc0 sc1
	s_waitcnt vmcnt(0)
	global_atomic_cmpswap_x2 v[6:7], v8, v[4:7], s[2:3] offset:24 sc0 sc1
	s_waitcnt vmcnt(0)
	v_cmp_ne_u64_e32 vcc, v[6:7], v[10:11]
	s_and_b64 exec, exec, vcc
	s_cbranch_execz .LBB7_983
.LBB7_982:                              ; =>This Inner Loop Header: Depth=1
	s_sleep 1
	global_store_dwordx2 v[0:1], v[6:7], off
	buffer_wbl2 sc0 sc1
	s_waitcnt vmcnt(0)
	global_atomic_cmpswap_x2 v[10:11], v8, v[4:7], s[2:3] offset:24 sc0 sc1
	s_waitcnt vmcnt(0)
	v_cmp_eq_u64_e32 vcc, v[10:11], v[6:7]
	s_or_b64 s[0:1], vcc, s[0:1]
	v_mov_b64_e32 v[6:7], v[10:11]
	s_andn2_b64 exec, exec, s[0:1]
	s_cbranch_execnz .LBB7_982
.LBB7_983:
	s_or_b64 exec, exec, s[16:17]
.LBB7_984:
	v_readfirstlane_b32 s0, v36
	s_waitcnt vmcnt(0)
	v_mov_b64_e32 v[0:1], 0
	v_cmp_eq_u32_e64 s[0:1], s0, v36
	s_and_saveexec_b64 s[10:11], s[0:1]
	s_cbranch_execz .LBB7_990
; %bb.985:
	v_mov_b32_e32 v4, 0
	global_load_dwordx2 v[8:9], v4, s[2:3] offset:24 sc0 sc1
	s_waitcnt vmcnt(0)
	buffer_inv sc0 sc1
	global_load_dwordx2 v[0:1], v4, s[2:3] offset:40
	global_load_dwordx2 v[6:7], v4, s[2:3]
	s_waitcnt vmcnt(1)
	v_and_b32_e32 v0, v0, v8
	v_and_b32_e32 v1, v1, v9
	v_mul_lo_u32 v1, v1, 24
	v_mul_hi_u32 v5, v0, 24
	v_add_u32_e32 v1, v5, v1
	v_mul_lo_u32 v0, v0, 24
	s_waitcnt vmcnt(0)
	v_lshl_add_u64 v[0:1], v[6:7], 0, v[0:1]
	global_load_dwordx2 v[6:7], v[0:1], off sc0 sc1
	s_waitcnt vmcnt(0)
	global_atomic_cmpswap_x2 v[0:1], v4, v[6:9], s[2:3] offset:24 sc0 sc1
	s_waitcnt vmcnt(0)
	buffer_inv sc0 sc1
	v_cmp_ne_u64_e32 vcc, v[0:1], v[8:9]
	s_and_saveexec_b64 s[16:17], vcc
	s_cbranch_execz .LBB7_989
; %bb.986:
	s_mov_b64 s[18:19], 0
.LBB7_987:                              ; =>This Inner Loop Header: Depth=1
	s_sleep 1
	global_load_dwordx2 v[6:7], v4, s[2:3] offset:40
	global_load_dwordx2 v[10:11], v4, s[2:3]
	v_mov_b64_e32 v[8:9], v[0:1]
	s_waitcnt vmcnt(1)
	v_and_b32_e32 v0, v6, v8
	s_waitcnt vmcnt(0)
	v_mad_u64_u32 v[0:1], s[20:21], v0, 24, v[10:11]
	v_and_b32_e32 v5, v7, v9
	v_mov_b32_e32 v6, v1
	v_mad_u64_u32 v[6:7], s[20:21], v5, 24, v[6:7]
	v_mov_b32_e32 v1, v6
	global_load_dwordx2 v[6:7], v[0:1], off sc0 sc1
	s_waitcnt vmcnt(0)
	global_atomic_cmpswap_x2 v[0:1], v4, v[6:9], s[2:3] offset:24 sc0 sc1
	s_waitcnt vmcnt(0)
	buffer_inv sc0 sc1
	v_cmp_eq_u64_e32 vcc, v[0:1], v[8:9]
	s_or_b64 s[18:19], vcc, s[18:19]
	s_andn2_b64 exec, exec, s[18:19]
	s_cbranch_execnz .LBB7_987
; %bb.988:
	s_or_b64 exec, exec, s[18:19]
.LBB7_989:
	s_or_b64 exec, exec, s[16:17]
.LBB7_990:
	s_or_b64 exec, exec, s[10:11]
	v_mov_b32_e32 v5, 0
	global_load_dwordx2 v[10:11], v5, s[2:3] offset:40
	global_load_dwordx4 v[6:9], v5, s[2:3]
	v_readfirstlane_b32 s10, v0
	v_readfirstlane_b32 s11, v1
	s_mov_b64 s[16:17], exec
	s_waitcnt vmcnt(1)
	v_readfirstlane_b32 s18, v10
	v_readfirstlane_b32 s19, v11
	s_and_b64 s[18:19], s[10:11], s[18:19]
	s_mul_i32 s15, s19, 24
	s_mul_hi_u32 s20, s18, 24
	s_add_i32 s21, s20, s15
	s_mul_i32 s20, s18, 24
	s_waitcnt vmcnt(0)
	v_lshl_add_u64 v[10:11], v[6:7], 0, s[20:21]
	s_and_saveexec_b64 s[20:21], s[0:1]
	s_cbranch_execz .LBB7_992
; %bb.991:
	v_mov_b64_e32 v[12:13], s[16:17]
	v_mov_b32_e32 v14, 2
	v_mov_b32_e32 v15, 1
	global_store_dwordx4 v[10:11], v[12:15], off offset:8
.LBB7_992:
	s_or_b64 exec, exec, s[20:21]
	s_lshl_b64 s[16:17], s[18:19], 12
	v_lshl_add_u64 v[0:1], v[8:9], 0, s[16:17]
	s_movk_i32 s15, 0xff1d
	s_mov_b32 s16, 0
	v_and_or_b32 v2, v2, s15, 34
	v_mov_b32_e32 v4, 0x428
	v_readfirstlane_b32 s20, v0
	v_readfirstlane_b32 s21, v1
	s_mov_b32 s17, s16
	s_mov_b32 s18, s16
	;; [unrolled: 1-line block ×3, first 2 shown]
	s_nop 1
	global_store_dwordx4 v28, v[2:5], s[20:21]
	v_mov_b64_e32 v[0:1], s[16:17]
	s_nop 0
	v_mov_b64_e32 v[2:3], s[18:19]
	global_store_dwordx4 v28, v[0:3], s[20:21] offset:16
	global_store_dwordx4 v28, v[0:3], s[20:21] offset:32
	;; [unrolled: 1-line block ×3, first 2 shown]
	s_and_saveexec_b64 s[16:17], s[0:1]
	s_cbranch_execz .LBB7_1000
; %bb.993:
	v_mov_b32_e32 v8, 0
	global_load_dwordx2 v[14:15], v8, s[2:3] offset:32 sc0 sc1
	global_load_dwordx2 v[0:1], v8, s[2:3] offset:40
	v_mov_b32_e32 v12, s10
	v_mov_b32_e32 v13, s11
	s_waitcnt vmcnt(0)
	v_readfirstlane_b32 s18, v0
	v_readfirstlane_b32 s19, v1
	s_and_b64 s[18:19], s[18:19], s[10:11]
	s_mul_i32 s15, s19, 24
	s_mul_hi_u32 s19, s18, 24
	s_mul_i32 s18, s18, 24
	s_add_i32 s19, s19, s15
	v_lshl_add_u64 v[4:5], v[6:7], 0, s[18:19]
	global_store_dwordx2 v[4:5], v[14:15], off
	buffer_wbl2 sc0 sc1
	s_waitcnt vmcnt(0)
	global_atomic_cmpswap_x2 v[2:3], v8, v[12:15], s[2:3] offset:32 sc0 sc1
	s_waitcnt vmcnt(0)
	v_cmp_ne_u64_e32 vcc, v[2:3], v[14:15]
	s_and_saveexec_b64 s[18:19], vcc
	s_cbranch_execz .LBB7_996
; %bb.994:
	s_mov_b64 s[20:21], 0
.LBB7_995:                              ; =>This Inner Loop Header: Depth=1
	s_sleep 1
	global_store_dwordx2 v[4:5], v[2:3], off
	v_mov_b32_e32 v0, s10
	v_mov_b32_e32 v1, s11
	buffer_wbl2 sc0 sc1
	s_waitcnt vmcnt(0)
	global_atomic_cmpswap_x2 v[0:1], v8, v[0:3], s[2:3] offset:32 sc0 sc1
	s_waitcnt vmcnt(0)
	v_cmp_eq_u64_e32 vcc, v[0:1], v[2:3]
	s_or_b64 s[20:21], vcc, s[20:21]
	v_mov_b64_e32 v[2:3], v[0:1]
	s_andn2_b64 exec, exec, s[20:21]
	s_cbranch_execnz .LBB7_995
.LBB7_996:
	s_or_b64 exec, exec, s[18:19]
	v_mov_b32_e32 v3, 0
	global_load_dwordx2 v[0:1], v3, s[2:3] offset:16
	s_mov_b64 s[18:19], exec
	v_mbcnt_lo_u32_b32 v2, s18, 0
	v_mbcnt_hi_u32_b32 v2, s19, v2
	v_cmp_eq_u32_e32 vcc, 0, v2
	s_and_saveexec_b64 s[20:21], vcc
	s_cbranch_execz .LBB7_998
; %bb.997:
	s_bcnt1_i32_b64 s15, s[18:19]
	v_mov_b32_e32 v2, s15
	buffer_wbl2 sc0 sc1
	s_waitcnt vmcnt(0)
	global_atomic_add_x2 v[0:1], v[2:3], off offset:8 sc1
.LBB7_998:
	s_or_b64 exec, exec, s[20:21]
	s_waitcnt vmcnt(0)
	global_load_dwordx2 v[2:3], v[0:1], off offset:16
	s_waitcnt vmcnt(0)
	v_cmp_eq_u64_e32 vcc, 0, v[2:3]
	s_cbranch_vccnz .LBB7_1000
; %bb.999:
	global_load_dword v0, v[0:1], off offset:24
	v_mov_b32_e32 v1, 0
	buffer_wbl2 sc0 sc1
	s_waitcnt vmcnt(0)
	global_store_dwordx2 v[2:3], v[0:1], off sc0 sc1
	v_and_b32_e32 v0, 0xffffff, v0
	s_nop 0
	v_readfirstlane_b32 m0, v0
	s_sendmsg sendmsg(MSG_INTERRUPT)
.LBB7_1000:
	s_or_b64 exec, exec, s[16:17]
	s_branch .LBB7_1004
.LBB7_1001:                             ;   in Loop: Header=BB7_1004 Depth=1
	s_or_b64 exec, exec, s[16:17]
	v_readfirstlane_b32 s15, v0
	s_cmp_eq_u32 s15, 0
	s_cbranch_scc1 .LBB7_1003
; %bb.1002:                             ;   in Loop: Header=BB7_1004 Depth=1
	s_sleep 1
	s_cbranch_execnz .LBB7_1004
	s_branch .LBB7_1006
.LBB7_1003:
	s_branch .LBB7_1006
.LBB7_1004:                             ; =>This Inner Loop Header: Depth=1
	v_mov_b32_e32 v0, 1
	s_and_saveexec_b64 s[16:17], s[0:1]
	s_cbranch_execz .LBB7_1001
; %bb.1005:                             ;   in Loop: Header=BB7_1004 Depth=1
	global_load_dword v0, v[10:11], off offset:20 sc0 sc1
	s_waitcnt vmcnt(0)
	buffer_inv sc0 sc1
	v_and_b32_e32 v0, 1, v0
	s_branch .LBB7_1001
.LBB7_1006:
	s_and_saveexec_b64 s[16:17], s[0:1]
	s_cbranch_execz .LBB7_1009
; %bb.1007:
	v_mov_b32_e32 v6, 0
	global_load_dwordx2 v[4:5], v6, s[2:3] offset:40
	global_load_dwordx2 v[8:9], v6, s[2:3] offset:24 sc0 sc1
	global_load_dwordx2 v[10:11], v6, s[2:3]
	s_mov_b64 s[0:1], 0
	s_waitcnt vmcnt(2)
	v_lshl_add_u64 v[0:1], v[4:5], 0, 1
	v_lshl_add_u64 v[12:13], v[0:1], 0, s[10:11]
	v_cmp_eq_u64_e32 vcc, 0, v[12:13]
	s_waitcnt vmcnt(1)
	v_mov_b32_e32 v2, v8
	v_cndmask_b32_e32 v1, v13, v1, vcc
	v_cndmask_b32_e32 v0, v12, v0, vcc
	v_and_b32_e32 v3, v1, v5
	v_and_b32_e32 v4, v0, v4
	v_mul_lo_u32 v3, v3, 24
	v_mul_hi_u32 v5, v4, 24
	v_mul_lo_u32 v4, v4, 24
	v_add_u32_e32 v5, v5, v3
	s_waitcnt vmcnt(0)
	v_lshl_add_u64 v[4:5], v[10:11], 0, v[4:5]
	global_store_dwordx2 v[4:5], v[8:9], off
	v_mov_b32_e32 v3, v9
	buffer_wbl2 sc0 sc1
	s_waitcnt vmcnt(0)
	global_atomic_cmpswap_x2 v[2:3], v6, v[0:3], s[2:3] offset:24 sc0 sc1
	s_waitcnt vmcnt(0)
	v_cmp_ne_u64_e32 vcc, v[2:3], v[8:9]
	s_and_b64 exec, exec, vcc
	s_cbranch_execz .LBB7_1009
.LBB7_1008:                             ; =>This Inner Loop Header: Depth=1
	s_sleep 1
	global_store_dwordx2 v[4:5], v[2:3], off
	buffer_wbl2 sc0 sc1
	s_waitcnt vmcnt(0)
	global_atomic_cmpswap_x2 v[8:9], v6, v[0:3], s[2:3] offset:24 sc0 sc1
	s_waitcnt vmcnt(0)
	v_cmp_eq_u64_e32 vcc, v[8:9], v[2:3]
	s_or_b64 s[0:1], vcc, s[0:1]
	v_mov_b64_e32 v[2:3], v[8:9]
	s_andn2_b64 exec, exec, s[0:1]
	s_cbranch_execnz .LBB7_1008
.LBB7_1009:
	s_or_b64 exec, exec, s[16:17]
	v_readfirstlane_b32 s0, v36
	v_mov_b64_e32 v[4:5], 0
	s_nop 0
	v_cmp_eq_u32_e64 s[0:1], s0, v36
	s_and_saveexec_b64 s[10:11], s[0:1]
	s_cbranch_execz .LBB7_1015
; %bb.1010:
	v_mov_b32_e32 v0, 0
	global_load_dwordx2 v[6:7], v0, s[2:3] offset:24 sc0 sc1
	s_waitcnt vmcnt(0)
	buffer_inv sc0 sc1
	global_load_dwordx2 v[2:3], v0, s[2:3] offset:40
	global_load_dwordx2 v[4:5], v0, s[2:3]
	s_waitcnt vmcnt(1)
	v_and_b32_e32 v1, v2, v6
	v_and_b32_e32 v2, v3, v7
	v_mul_lo_u32 v2, v2, 24
	v_mul_hi_u32 v3, v1, 24
	v_add_u32_e32 v3, v3, v2
	v_mul_lo_u32 v2, v1, 24
	s_waitcnt vmcnt(0)
	v_lshl_add_u64 v[2:3], v[4:5], 0, v[2:3]
	global_load_dwordx2 v[4:5], v[2:3], off sc0 sc1
	s_waitcnt vmcnt(0)
	global_atomic_cmpswap_x2 v[4:5], v0, v[4:7], s[2:3] offset:24 sc0 sc1
	s_waitcnt vmcnt(0)
	buffer_inv sc0 sc1
	v_cmp_ne_u64_e32 vcc, v[4:5], v[6:7]
	s_and_saveexec_b64 s[16:17], vcc
	s_cbranch_execz .LBB7_1014
; %bb.1011:
	s_mov_b64 s[18:19], 0
.LBB7_1012:                             ; =>This Inner Loop Header: Depth=1
	s_sleep 1
	global_load_dwordx2 v[2:3], v0, s[2:3] offset:40
	global_load_dwordx2 v[8:9], v0, s[2:3]
	v_mov_b64_e32 v[6:7], v[4:5]
	s_waitcnt vmcnt(1)
	v_and_b32_e32 v2, v2, v6
	v_and_b32_e32 v1, v3, v7
	s_waitcnt vmcnt(0)
	v_mad_u64_u32 v[2:3], s[20:21], v2, 24, v[8:9]
	v_mov_b32_e32 v4, v3
	v_mad_u64_u32 v[4:5], s[20:21], v1, 24, v[4:5]
	v_mov_b32_e32 v3, v4
	global_load_dwordx2 v[4:5], v[2:3], off sc0 sc1
	s_waitcnt vmcnt(0)
	global_atomic_cmpswap_x2 v[4:5], v0, v[4:7], s[2:3] offset:24 sc0 sc1
	s_waitcnt vmcnt(0)
	buffer_inv sc0 sc1
	v_cmp_eq_u64_e32 vcc, v[4:5], v[6:7]
	s_or_b64 s[18:19], vcc, s[18:19]
	s_andn2_b64 exec, exec, s[18:19]
	s_cbranch_execnz .LBB7_1012
; %bb.1013:
	s_or_b64 exec, exec, s[18:19]
.LBB7_1014:
	s_or_b64 exec, exec, s[16:17]
.LBB7_1015:
	s_or_b64 exec, exec, s[10:11]
	v_mov_b32_e32 v29, 0
	global_load_dwordx2 v[6:7], v29, s[2:3] offset:40
	global_load_dwordx4 v[0:3], v29, s[2:3]
	v_readfirstlane_b32 s10, v4
	v_readfirstlane_b32 s11, v5
	s_mov_b64 s[16:17], exec
	s_waitcnt vmcnt(1)
	v_readfirstlane_b32 s18, v6
	v_readfirstlane_b32 s19, v7
	s_and_b64 s[18:19], s[10:11], s[18:19]
	s_mul_i32 s15, s19, 24
	s_mul_hi_u32 s20, s18, 24
	s_add_i32 s21, s20, s15
	s_mul_i32 s20, s18, 24
	s_waitcnt vmcnt(0)
	v_lshl_add_u64 v[4:5], v[0:1], 0, s[20:21]
	s_and_saveexec_b64 s[20:21], s[0:1]
	s_cbranch_execz .LBB7_1017
; %bb.1016:
	v_mov_b64_e32 v[6:7], s[16:17]
	v_mov_b32_e32 v8, 2
	v_mov_b32_e32 v9, 1
	global_store_dwordx4 v[4:5], v[6:9], off offset:8
.LBB7_1017:
	s_or_b64 exec, exec, s[20:21]
	s_lshl_b64 s[16:17], s[18:19], 12
	v_lshl_add_u64 v[6:7], v[2:3], 0, s[16:17]
	s_mov_b32 s16, 0
	v_mov_b32_e32 v8, 33
	v_mov_b32_e32 v9, v29
	;; [unrolled: 1-line block ×4, first 2 shown]
	v_readfirstlane_b32 s20, v6
	v_readfirstlane_b32 s21, v7
	s_mov_b32 s17, s16
	s_mov_b32 s18, s16
	;; [unrolled: 1-line block ×3, first 2 shown]
	s_nop 1
	global_store_dwordx4 v28, v[8:11], s[20:21]
	s_nop 1
	v_mov_b64_e32 v[8:9], s[16:17]
	v_mov_b64_e32 v[10:11], s[18:19]
	global_store_dwordx4 v28, v[8:11], s[20:21] offset:16
	global_store_dwordx4 v28, v[8:11], s[20:21] offset:32
	global_store_dwordx4 v28, v[8:11], s[20:21] offset:48
	s_and_saveexec_b64 s[16:17], s[0:1]
	s_cbranch_execz .LBB7_1025
; %bb.1018:
	v_mov_b32_e32 v10, 0
	global_load_dwordx2 v[14:15], v10, s[2:3] offset:32 sc0 sc1
	global_load_dwordx2 v[2:3], v10, s[2:3] offset:40
	v_mov_b32_e32 v12, s10
	v_mov_b32_e32 v13, s11
	s_waitcnt vmcnt(0)
	v_readfirstlane_b32 s18, v2
	v_readfirstlane_b32 s19, v3
	s_and_b64 s[18:19], s[18:19], s[10:11]
	s_mul_i32 s15, s19, 24
	s_mul_hi_u32 s19, s18, 24
	s_mul_i32 s18, s18, 24
	s_add_i32 s19, s19, s15
	v_lshl_add_u64 v[8:9], v[0:1], 0, s[18:19]
	global_store_dwordx2 v[8:9], v[14:15], off
	buffer_wbl2 sc0 sc1
	s_waitcnt vmcnt(0)
	global_atomic_cmpswap_x2 v[2:3], v10, v[12:15], s[2:3] offset:32 sc0 sc1
	s_waitcnt vmcnt(0)
	v_cmp_ne_u64_e32 vcc, v[2:3], v[14:15]
	s_and_saveexec_b64 s[18:19], vcc
	s_cbranch_execz .LBB7_1021
; %bb.1019:
	s_mov_b64 s[20:21], 0
.LBB7_1020:                             ; =>This Inner Loop Header: Depth=1
	s_sleep 1
	global_store_dwordx2 v[8:9], v[2:3], off
	v_mov_b32_e32 v0, s10
	v_mov_b32_e32 v1, s11
	buffer_wbl2 sc0 sc1
	s_waitcnt vmcnt(0)
	global_atomic_cmpswap_x2 v[0:1], v10, v[0:3], s[2:3] offset:32 sc0 sc1
	s_waitcnt vmcnt(0)
	v_cmp_eq_u64_e32 vcc, v[0:1], v[2:3]
	s_or_b64 s[20:21], vcc, s[20:21]
	v_mov_b64_e32 v[2:3], v[0:1]
	s_andn2_b64 exec, exec, s[20:21]
	s_cbranch_execnz .LBB7_1020
.LBB7_1021:
	s_or_b64 exec, exec, s[18:19]
	v_mov_b32_e32 v3, 0
	global_load_dwordx2 v[0:1], v3, s[2:3] offset:16
	s_mov_b64 s[18:19], exec
	v_mbcnt_lo_u32_b32 v2, s18, 0
	v_mbcnt_hi_u32_b32 v2, s19, v2
	v_cmp_eq_u32_e32 vcc, 0, v2
	s_and_saveexec_b64 s[20:21], vcc
	s_cbranch_execz .LBB7_1023
; %bb.1022:
	s_bcnt1_i32_b64 s15, s[18:19]
	v_mov_b32_e32 v2, s15
	buffer_wbl2 sc0 sc1
	s_waitcnt vmcnt(0)
	global_atomic_add_x2 v[0:1], v[2:3], off offset:8 sc1
.LBB7_1023:
	s_or_b64 exec, exec, s[20:21]
	s_waitcnt vmcnt(0)
	global_load_dwordx2 v[2:3], v[0:1], off offset:16
	s_waitcnt vmcnt(0)
	v_cmp_eq_u64_e32 vcc, 0, v[2:3]
	s_cbranch_vccnz .LBB7_1025
; %bb.1024:
	global_load_dword v0, v[0:1], off offset:24
	v_mov_b32_e32 v1, 0
	buffer_wbl2 sc0 sc1
	s_waitcnt vmcnt(0)
	global_store_dwordx2 v[2:3], v[0:1], off sc0 sc1
	v_and_b32_e32 v0, 0xffffff, v0
	s_nop 0
	v_readfirstlane_b32 m0, v0
	s_sendmsg sendmsg(MSG_INTERRUPT)
.LBB7_1025:
	s_or_b64 exec, exec, s[16:17]
	v_lshl_add_u64 v[0:1], v[6:7], 0, v[28:29]
	s_branch .LBB7_1029
.LBB7_1026:                             ;   in Loop: Header=BB7_1029 Depth=1
	s_or_b64 exec, exec, s[16:17]
	v_readfirstlane_b32 s15, v2
	s_cmp_eq_u32 s15, 0
	s_cbranch_scc1 .LBB7_1028
; %bb.1027:                             ;   in Loop: Header=BB7_1029 Depth=1
	s_sleep 1
	s_cbranch_execnz .LBB7_1029
	s_branch .LBB7_1031
.LBB7_1028:
	s_branch .LBB7_1031
.LBB7_1029:                             ; =>This Inner Loop Header: Depth=1
	v_mov_b32_e32 v2, 1
	s_and_saveexec_b64 s[16:17], s[0:1]
	s_cbranch_execz .LBB7_1026
; %bb.1030:                             ;   in Loop: Header=BB7_1029 Depth=1
	global_load_dword v2, v[4:5], off offset:20 sc0 sc1
	s_waitcnt vmcnt(0)
	buffer_inv sc0 sc1
	v_and_b32_e32 v2, 1, v2
	s_branch .LBB7_1026
.LBB7_1031:
	global_load_dwordx2 v[0:1], v[0:1], off
	s_and_saveexec_b64 s[16:17], s[0:1]
	s_cbranch_execz .LBB7_1034
; %bb.1032:
	v_mov_b32_e32 v8, 0
	global_load_dwordx2 v[6:7], v8, s[2:3] offset:40
	global_load_dwordx2 v[10:11], v8, s[2:3] offset:24 sc0 sc1
	global_load_dwordx2 v[12:13], v8, s[2:3]
	s_mov_b64 s[0:1], 0
	s_waitcnt vmcnt(2)
	v_lshl_add_u64 v[2:3], v[6:7], 0, 1
	v_lshl_add_u64 v[14:15], v[2:3], 0, s[10:11]
	v_cmp_eq_u64_e32 vcc, 0, v[14:15]
	s_waitcnt vmcnt(1)
	v_mov_b32_e32 v4, v10
	v_cndmask_b32_e32 v3, v15, v3, vcc
	v_cndmask_b32_e32 v2, v14, v2, vcc
	v_and_b32_e32 v5, v3, v7
	v_and_b32_e32 v6, v2, v6
	v_mul_lo_u32 v5, v5, 24
	v_mul_hi_u32 v7, v6, 24
	v_mul_lo_u32 v6, v6, 24
	v_add_u32_e32 v7, v7, v5
	s_waitcnt vmcnt(0)
	v_lshl_add_u64 v[6:7], v[12:13], 0, v[6:7]
	global_store_dwordx2 v[6:7], v[10:11], off
	v_mov_b32_e32 v5, v11
	buffer_wbl2 sc0 sc1
	s_waitcnt vmcnt(0)
	global_atomic_cmpswap_x2 v[4:5], v8, v[2:5], s[2:3] offset:24 sc0 sc1
	s_waitcnt vmcnt(0)
	v_cmp_ne_u64_e32 vcc, v[4:5], v[10:11]
	s_and_b64 exec, exec, vcc
	s_cbranch_execz .LBB7_1034
.LBB7_1033:                             ; =>This Inner Loop Header: Depth=1
	s_sleep 1
	global_store_dwordx2 v[6:7], v[4:5], off
	buffer_wbl2 sc0 sc1
	s_waitcnt vmcnt(0)
	global_atomic_cmpswap_x2 v[10:11], v8, v[2:5], s[2:3] offset:24 sc0 sc1
	s_waitcnt vmcnt(0)
	v_cmp_eq_u64_e32 vcc, v[10:11], v[4:5]
	s_or_b64 s[0:1], vcc, s[0:1]
	v_mov_b64_e32 v[4:5], v[10:11]
	s_andn2_b64 exec, exec, s[0:1]
	s_cbranch_execnz .LBB7_1033
.LBB7_1034:
	s_or_b64 exec, exec, s[16:17]
	s_and_b64 vcc, exec, s[6:7]
	s_cbranch_vccz .LBB7_1119
; %bb.1035:
	s_waitcnt vmcnt(0)
	v_and_b32_e32 v30, 2, v0
	v_mov_b32_e32 v33, 0
	v_and_b32_e32 v2, -3, v0
	v_mov_b32_e32 v3, v1
	s_mov_b64 s[16:17], 3
	v_mov_b32_e32 v6, 2
	v_mov_b32_e32 v7, 1
	s_getpc_b64 s[10:11]
	s_add_u32 s10, s10, .str.6@rel32@lo+4
	s_addc_u32 s11, s11, .str.6@rel32@hi+12
	s_branch .LBB7_1037
.LBB7_1036:                             ;   in Loop: Header=BB7_1037 Depth=1
	s_or_b64 exec, exec, s[22:23]
	s_sub_u32 s16, s16, s18
	s_subb_u32 s17, s17, s19
	s_add_u32 s10, s10, s18
	s_addc_u32 s11, s11, s19
	s_cmp_lg_u64 s[16:17], 0
	s_cbranch_scc0 .LBB7_1118
.LBB7_1037:                             ; =>This Loop Header: Depth=1
                                        ;     Child Loop BB7_1040 Depth 2
                                        ;     Child Loop BB7_1047 Depth 2
	;; [unrolled: 1-line block ×11, first 2 shown]
	v_cmp_lt_u64_e64 s[0:1], s[16:17], 56
	s_and_b64 s[0:1], s[0:1], exec
	v_cmp_gt_u64_e64 s[0:1], s[16:17], 7
	s_cselect_b32 s19, s17, 0
	s_cselect_b32 s18, s16, 56
	s_and_b64 vcc, exec, s[0:1]
	s_cbranch_vccnz .LBB7_1042
; %bb.1038:                             ;   in Loop: Header=BB7_1037 Depth=1
	s_mov_b64 s[0:1], 0
	s_cmp_eq_u64 s[16:17], 0
	v_mov_b64_e32 v[10:11], 0
	s_cbranch_scc1 .LBB7_1041
; %bb.1039:                             ;   in Loop: Header=BB7_1037 Depth=1
	s_lshl_b64 s[20:21], s[18:19], 3
	s_mov_b64 s[22:23], 0
	v_mov_b64_e32 v[10:11], 0
	s_mov_b64 s[24:25], s[10:11]
.LBB7_1040:                             ;   Parent Loop BB7_1037 Depth=1
                                        ; =>  This Inner Loop Header: Depth=2
	global_load_ubyte v4, v33, s[24:25]
	s_waitcnt vmcnt(0)
	v_and_b32_e32 v32, 0xffff, v4
	v_lshlrev_b64 v[4:5], s22, v[32:33]
	s_add_u32 s22, s22, 8
	s_addc_u32 s23, s23, 0
	s_add_u32 s24, s24, 1
	s_addc_u32 s25, s25, 0
	v_or_b32_e32 v10, v4, v10
	s_cmp_lg_u32 s20, s22
	v_or_b32_e32 v11, v5, v11
	s_cbranch_scc1 .LBB7_1040
.LBB7_1041:                             ;   in Loop: Header=BB7_1037 Depth=1
	s_mov_b32 s15, 0
	s_andn2_b64 vcc, exec, s[0:1]
	s_mov_b64 s[0:1], s[10:11]
	s_cbranch_vccz .LBB7_1043
	s_branch .LBB7_1044
.LBB7_1042:                             ;   in Loop: Header=BB7_1037 Depth=1
                                        ; implicit-def: $vgpr10_vgpr11
                                        ; implicit-def: $sgpr15
	s_mov_b64 s[0:1], s[10:11]
.LBB7_1043:                             ;   in Loop: Header=BB7_1037 Depth=1
	global_load_dwordx2 v[10:11], v33, s[10:11]
	s_add_i32 s15, s18, -8
	s_add_u32 s0, s10, 8
	s_addc_u32 s1, s11, 0
.LBB7_1044:                             ;   in Loop: Header=BB7_1037 Depth=1
	s_cmp_gt_u32 s15, 7
	s_cbranch_scc1 .LBB7_1048
; %bb.1045:                             ;   in Loop: Header=BB7_1037 Depth=1
	s_cmp_eq_u32 s15, 0
	s_cbranch_scc1 .LBB7_1049
; %bb.1046:                             ;   in Loop: Header=BB7_1037 Depth=1
	s_mov_b64 s[20:21], 0
	v_mov_b64_e32 v[12:13], 0
	s_mov_b64 s[22:23], 0
.LBB7_1047:                             ;   Parent Loop BB7_1037 Depth=1
                                        ; =>  This Inner Loop Header: Depth=2
	s_add_u32 s24, s0, s22
	s_addc_u32 s25, s1, s23
	global_load_ubyte v4, v33, s[24:25]
	s_add_u32 s22, s22, 1
	s_addc_u32 s23, s23, 0
	s_waitcnt vmcnt(0)
	v_and_b32_e32 v32, 0xffff, v4
	v_lshlrev_b64 v[4:5], s20, v[32:33]
	s_add_u32 s20, s20, 8
	s_addc_u32 s21, s21, 0
	v_or_b32_e32 v12, v4, v12
	s_cmp_lg_u32 s15, s22
	v_or_b32_e32 v13, v5, v13
	s_cbranch_scc1 .LBB7_1047
	s_branch .LBB7_1050
.LBB7_1048:                             ;   in Loop: Header=BB7_1037 Depth=1
                                        ; implicit-def: $vgpr12_vgpr13
                                        ; implicit-def: $sgpr24
	s_branch .LBB7_1051
.LBB7_1049:                             ;   in Loop: Header=BB7_1037 Depth=1
	v_mov_b64_e32 v[12:13], 0
.LBB7_1050:                             ;   in Loop: Header=BB7_1037 Depth=1
	s_mov_b32 s24, 0
	s_cbranch_execnz .LBB7_1052
.LBB7_1051:                             ;   in Loop: Header=BB7_1037 Depth=1
	global_load_dwordx2 v[12:13], v33, s[0:1]
	s_add_i32 s24, s15, -8
	s_add_u32 s0, s0, 8
	s_addc_u32 s1, s1, 0
.LBB7_1052:                             ;   in Loop: Header=BB7_1037 Depth=1
	s_cmp_gt_u32 s24, 7
	s_cbranch_scc1 .LBB7_1056
; %bb.1053:                             ;   in Loop: Header=BB7_1037 Depth=1
	s_cmp_eq_u32 s24, 0
	s_cbranch_scc1 .LBB7_1057
; %bb.1054:                             ;   in Loop: Header=BB7_1037 Depth=1
	s_mov_b64 s[20:21], 0
	v_mov_b64_e32 v[14:15], 0
	s_mov_b64 s[22:23], 0
.LBB7_1055:                             ;   Parent Loop BB7_1037 Depth=1
                                        ; =>  This Inner Loop Header: Depth=2
	s_add_u32 s26, s0, s22
	s_addc_u32 s27, s1, s23
	global_load_ubyte v4, v33, s[26:27]
	s_add_u32 s22, s22, 1
	s_addc_u32 s23, s23, 0
	s_waitcnt vmcnt(0)
	v_and_b32_e32 v32, 0xffff, v4
	v_lshlrev_b64 v[4:5], s20, v[32:33]
	s_add_u32 s20, s20, 8
	s_addc_u32 s21, s21, 0
	v_or_b32_e32 v14, v4, v14
	s_cmp_lg_u32 s24, s22
	v_or_b32_e32 v15, v5, v15
	s_cbranch_scc1 .LBB7_1055
	s_branch .LBB7_1058
.LBB7_1056:                             ;   in Loop: Header=BB7_1037 Depth=1
                                        ; implicit-def: $sgpr15
	s_branch .LBB7_1059
.LBB7_1057:                             ;   in Loop: Header=BB7_1037 Depth=1
	v_mov_b64_e32 v[14:15], 0
.LBB7_1058:                             ;   in Loop: Header=BB7_1037 Depth=1
	s_mov_b32 s15, 0
	s_cbranch_execnz .LBB7_1060
.LBB7_1059:                             ;   in Loop: Header=BB7_1037 Depth=1
	global_load_dwordx2 v[14:15], v33, s[0:1]
	s_add_i32 s15, s24, -8
	s_add_u32 s0, s0, 8
	s_addc_u32 s1, s1, 0
.LBB7_1060:                             ;   in Loop: Header=BB7_1037 Depth=1
	s_cmp_gt_u32 s15, 7
	s_cbranch_scc1 .LBB7_1064
; %bb.1061:                             ;   in Loop: Header=BB7_1037 Depth=1
	s_cmp_eq_u32 s15, 0
	s_cbranch_scc1 .LBB7_1065
; %bb.1062:                             ;   in Loop: Header=BB7_1037 Depth=1
	s_mov_b64 s[20:21], 0
	v_mov_b64_e32 v[16:17], 0
	s_mov_b64 s[22:23], 0
.LBB7_1063:                             ;   Parent Loop BB7_1037 Depth=1
                                        ; =>  This Inner Loop Header: Depth=2
	s_add_u32 s24, s0, s22
	s_addc_u32 s25, s1, s23
	global_load_ubyte v4, v33, s[24:25]
	s_add_u32 s22, s22, 1
	s_addc_u32 s23, s23, 0
	s_waitcnt vmcnt(0)
	v_and_b32_e32 v32, 0xffff, v4
	v_lshlrev_b64 v[4:5], s20, v[32:33]
	s_add_u32 s20, s20, 8
	s_addc_u32 s21, s21, 0
	v_or_b32_e32 v16, v4, v16
	s_cmp_lg_u32 s15, s22
	v_or_b32_e32 v17, v5, v17
	s_cbranch_scc1 .LBB7_1063
	s_branch .LBB7_1066
.LBB7_1064:                             ;   in Loop: Header=BB7_1037 Depth=1
                                        ; implicit-def: $vgpr16_vgpr17
                                        ; implicit-def: $sgpr24
	s_branch .LBB7_1067
.LBB7_1065:                             ;   in Loop: Header=BB7_1037 Depth=1
	v_mov_b64_e32 v[16:17], 0
.LBB7_1066:                             ;   in Loop: Header=BB7_1037 Depth=1
	s_mov_b32 s24, 0
	s_cbranch_execnz .LBB7_1068
.LBB7_1067:                             ;   in Loop: Header=BB7_1037 Depth=1
	global_load_dwordx2 v[16:17], v33, s[0:1]
	s_add_i32 s24, s15, -8
	s_add_u32 s0, s0, 8
	s_addc_u32 s1, s1, 0
.LBB7_1068:                             ;   in Loop: Header=BB7_1037 Depth=1
	s_cmp_gt_u32 s24, 7
	s_cbranch_scc1 .LBB7_1072
; %bb.1069:                             ;   in Loop: Header=BB7_1037 Depth=1
	s_cmp_eq_u32 s24, 0
	s_cbranch_scc1 .LBB7_1073
; %bb.1070:                             ;   in Loop: Header=BB7_1037 Depth=1
	s_mov_b64 s[20:21], 0
	v_mov_b64_e32 v[18:19], 0
	s_mov_b64 s[22:23], 0
.LBB7_1071:                             ;   Parent Loop BB7_1037 Depth=1
                                        ; =>  This Inner Loop Header: Depth=2
	s_add_u32 s26, s0, s22
	s_addc_u32 s27, s1, s23
	global_load_ubyte v4, v33, s[26:27]
	s_add_u32 s22, s22, 1
	s_addc_u32 s23, s23, 0
	s_waitcnt vmcnt(0)
	v_and_b32_e32 v32, 0xffff, v4
	v_lshlrev_b64 v[4:5], s20, v[32:33]
	s_add_u32 s20, s20, 8
	s_addc_u32 s21, s21, 0
	v_or_b32_e32 v18, v4, v18
	s_cmp_lg_u32 s24, s22
	v_or_b32_e32 v19, v5, v19
	s_cbranch_scc1 .LBB7_1071
	s_branch .LBB7_1074
.LBB7_1072:                             ;   in Loop: Header=BB7_1037 Depth=1
                                        ; implicit-def: $sgpr15
	s_branch .LBB7_1075
.LBB7_1073:                             ;   in Loop: Header=BB7_1037 Depth=1
	v_mov_b64_e32 v[18:19], 0
.LBB7_1074:                             ;   in Loop: Header=BB7_1037 Depth=1
	s_mov_b32 s15, 0
	s_cbranch_execnz .LBB7_1076
.LBB7_1075:                             ;   in Loop: Header=BB7_1037 Depth=1
	global_load_dwordx2 v[18:19], v33, s[0:1]
	s_add_i32 s15, s24, -8
	s_add_u32 s0, s0, 8
	s_addc_u32 s1, s1, 0
.LBB7_1076:                             ;   in Loop: Header=BB7_1037 Depth=1
	s_cmp_gt_u32 s15, 7
	s_cbranch_scc1 .LBB7_1080
; %bb.1077:                             ;   in Loop: Header=BB7_1037 Depth=1
	s_cmp_eq_u32 s15, 0
	s_cbranch_scc1 .LBB7_1081
; %bb.1078:                             ;   in Loop: Header=BB7_1037 Depth=1
	s_mov_b64 s[20:21], 0
	v_mov_b64_e32 v[20:21], 0
	s_mov_b64 s[22:23], 0
.LBB7_1079:                             ;   Parent Loop BB7_1037 Depth=1
                                        ; =>  This Inner Loop Header: Depth=2
	s_add_u32 s24, s0, s22
	s_addc_u32 s25, s1, s23
	global_load_ubyte v4, v33, s[24:25]
	s_add_u32 s22, s22, 1
	s_addc_u32 s23, s23, 0
	s_waitcnt vmcnt(0)
	v_and_b32_e32 v32, 0xffff, v4
	v_lshlrev_b64 v[4:5], s20, v[32:33]
	s_add_u32 s20, s20, 8
	s_addc_u32 s21, s21, 0
	v_or_b32_e32 v20, v4, v20
	s_cmp_lg_u32 s15, s22
	v_or_b32_e32 v21, v5, v21
	s_cbranch_scc1 .LBB7_1079
	s_branch .LBB7_1082
.LBB7_1080:                             ;   in Loop: Header=BB7_1037 Depth=1
                                        ; implicit-def: $vgpr20_vgpr21
                                        ; implicit-def: $sgpr24
	s_branch .LBB7_1083
.LBB7_1081:                             ;   in Loop: Header=BB7_1037 Depth=1
	v_mov_b64_e32 v[20:21], 0
.LBB7_1082:                             ;   in Loop: Header=BB7_1037 Depth=1
	s_mov_b32 s24, 0
	s_cbranch_execnz .LBB7_1084
.LBB7_1083:                             ;   in Loop: Header=BB7_1037 Depth=1
	global_load_dwordx2 v[20:21], v33, s[0:1]
	s_add_i32 s24, s15, -8
	s_add_u32 s0, s0, 8
	s_addc_u32 s1, s1, 0
.LBB7_1084:                             ;   in Loop: Header=BB7_1037 Depth=1
	s_cmp_gt_u32 s24, 7
	s_cbranch_scc1 .LBB7_1088
; %bb.1085:                             ;   in Loop: Header=BB7_1037 Depth=1
	s_cmp_eq_u32 s24, 0
	s_cbranch_scc1 .LBB7_1089
; %bb.1086:                             ;   in Loop: Header=BB7_1037 Depth=1
	s_mov_b64 s[20:21], 0
	v_mov_b64_e32 v[22:23], 0
	s_mov_b64 s[22:23], s[0:1]
.LBB7_1087:                             ;   Parent Loop BB7_1037 Depth=1
                                        ; =>  This Inner Loop Header: Depth=2
	global_load_ubyte v4, v33, s[22:23]
	s_add_i32 s24, s24, -1
	s_waitcnt vmcnt(0)
	v_and_b32_e32 v32, 0xffff, v4
	v_lshlrev_b64 v[4:5], s20, v[32:33]
	s_add_u32 s20, s20, 8
	s_addc_u32 s21, s21, 0
	s_add_u32 s22, s22, 1
	s_addc_u32 s23, s23, 0
	v_or_b32_e32 v22, v4, v22
	s_cmp_lg_u32 s24, 0
	v_or_b32_e32 v23, v5, v23
	s_cbranch_scc1 .LBB7_1087
	s_branch .LBB7_1090
.LBB7_1088:                             ;   in Loop: Header=BB7_1037 Depth=1
	s_branch .LBB7_1091
.LBB7_1089:                             ;   in Loop: Header=BB7_1037 Depth=1
	v_mov_b64_e32 v[22:23], 0
.LBB7_1090:                             ;   in Loop: Header=BB7_1037 Depth=1
	s_cbranch_execnz .LBB7_1092
.LBB7_1091:                             ;   in Loop: Header=BB7_1037 Depth=1
	global_load_dwordx2 v[22:23], v33, s[0:1]
.LBB7_1092:                             ;   in Loop: Header=BB7_1037 Depth=1
	v_readfirstlane_b32 s0, v36
	s_waitcnt vmcnt(0)
	v_mov_b64_e32 v[4:5], 0
	v_cmp_eq_u32_e64 s[0:1], s0, v36
	s_and_saveexec_b64 s[20:21], s[0:1]
	s_cbranch_execz .LBB7_1098
; %bb.1093:                             ;   in Loop: Header=BB7_1037 Depth=1
	global_load_dwordx2 v[26:27], v33, s[2:3] offset:24 sc0 sc1
	s_waitcnt vmcnt(0)
	buffer_inv sc0 sc1
	global_load_dwordx2 v[4:5], v33, s[2:3] offset:40
	global_load_dwordx2 v[8:9], v33, s[2:3]
	s_waitcnt vmcnt(1)
	v_and_b32_e32 v4, v4, v26
	v_and_b32_e32 v5, v5, v27
	v_mul_lo_u32 v5, v5, 24
	v_mul_hi_u32 v24, v4, 24
	v_add_u32_e32 v5, v24, v5
	v_mul_lo_u32 v4, v4, 24
	s_waitcnt vmcnt(0)
	v_lshl_add_u64 v[4:5], v[8:9], 0, v[4:5]
	global_load_dwordx2 v[24:25], v[4:5], off sc0 sc1
	s_waitcnt vmcnt(0)
	global_atomic_cmpswap_x2 v[4:5], v33, v[24:27], s[2:3] offset:24 sc0 sc1
	s_waitcnt vmcnt(0)
	buffer_inv sc0 sc1
	v_cmp_ne_u64_e32 vcc, v[4:5], v[26:27]
	s_and_saveexec_b64 s[22:23], vcc
	s_cbranch_execz .LBB7_1097
; %bb.1094:                             ;   in Loop: Header=BB7_1037 Depth=1
	s_mov_b64 s[24:25], 0
.LBB7_1095:                             ;   Parent Loop BB7_1037 Depth=1
                                        ; =>  This Inner Loop Header: Depth=2
	s_sleep 1
	global_load_dwordx2 v[8:9], v33, s[2:3] offset:40
	global_load_dwordx2 v[24:25], v33, s[2:3]
	v_mov_b64_e32 v[26:27], v[4:5]
	s_waitcnt vmcnt(1)
	v_and_b32_e32 v4, v8, v26
	s_waitcnt vmcnt(0)
	v_mad_u64_u32 v[4:5], s[26:27], v4, 24, v[24:25]
	v_and_b32_e32 v9, v9, v27
	v_mov_b32_e32 v8, v5
	v_mad_u64_u32 v[8:9], s[26:27], v9, 24, v[8:9]
	v_mov_b32_e32 v5, v8
	global_load_dwordx2 v[24:25], v[4:5], off sc0 sc1
	s_waitcnt vmcnt(0)
	global_atomic_cmpswap_x2 v[4:5], v33, v[24:27], s[2:3] offset:24 sc0 sc1
	s_waitcnt vmcnt(0)
	buffer_inv sc0 sc1
	v_cmp_eq_u64_e32 vcc, v[4:5], v[26:27]
	s_or_b64 s[24:25], vcc, s[24:25]
	s_andn2_b64 exec, exec, s[24:25]
	s_cbranch_execnz .LBB7_1095
; %bb.1096:                             ;   in Loop: Header=BB7_1037 Depth=1
	s_or_b64 exec, exec, s[24:25]
.LBB7_1097:                             ;   in Loop: Header=BB7_1037 Depth=1
	s_or_b64 exec, exec, s[22:23]
.LBB7_1098:                             ;   in Loop: Header=BB7_1037 Depth=1
	s_or_b64 exec, exec, s[20:21]
	global_load_dwordx2 v[8:9], v33, s[2:3] offset:40
	global_load_dwordx4 v[24:27], v33, s[2:3]
	v_readfirstlane_b32 s20, v4
	v_readfirstlane_b32 s21, v5
	s_mov_b64 s[22:23], exec
	s_waitcnt vmcnt(1)
	v_readfirstlane_b32 s24, v8
	v_readfirstlane_b32 s25, v9
	s_and_b64 s[24:25], s[20:21], s[24:25]
	s_mul_i32 s15, s25, 24
	s_mul_hi_u32 s26, s24, 24
	s_add_i32 s27, s26, s15
	s_mul_i32 s26, s24, 24
	s_waitcnt vmcnt(0)
	v_lshl_add_u64 v[34:35], v[24:25], 0, s[26:27]
	s_and_saveexec_b64 s[26:27], s[0:1]
	s_cbranch_execz .LBB7_1100
; %bb.1099:                             ;   in Loop: Header=BB7_1037 Depth=1
	v_mov_b64_e32 v[4:5], s[22:23]
	global_store_dwordx4 v[34:35], v[4:7], off offset:8
.LBB7_1100:                             ;   in Loop: Header=BB7_1037 Depth=1
	s_or_b64 exec, exec, s[26:27]
	s_nop 0
	v_or_b32_e32 v5, v2, v30
	v_cmp_gt_u64_e64 vcc, s[16:17], 56
	s_lshl_b32 s15, s18, 2
	s_lshl_b64 s[22:23], s[24:25], 12
	v_cndmask_b32_e32 v2, v5, v2, vcc
	s_add_i32 s15, s15, 28
	v_lshl_add_u64 v[26:27], v[26:27], 0, s[22:23]
	v_or_b32_e32 v4, 0, v3
	s_and_b32 s15, s15, 0x1e0
	v_and_b32_e32 v2, 0xffffff1f, v2
	v_cndmask_b32_e32 v9, v4, v3, vcc
	v_or_b32_e32 v8, s15, v2
	v_readfirstlane_b32 s22, v26
	v_readfirstlane_b32 s23, v27
	s_nop 4
	global_store_dwordx4 v28, v[8:11], s[22:23]
	global_store_dwordx4 v28, v[12:15], s[22:23] offset:16
	global_store_dwordx4 v28, v[16:19], s[22:23] offset:32
	;; [unrolled: 1-line block ×3, first 2 shown]
	s_and_saveexec_b64 s[22:23], s[0:1]
	s_cbranch_execz .LBB7_1108
; %bb.1101:                             ;   in Loop: Header=BB7_1037 Depth=1
	global_load_dwordx2 v[12:13], v33, s[2:3] offset:32 sc0 sc1
	global_load_dwordx2 v[2:3], v33, s[2:3] offset:40
	v_mov_b32_e32 v10, s20
	v_mov_b32_e32 v11, s21
	s_waitcnt vmcnt(0)
	v_readfirstlane_b32 s24, v2
	v_readfirstlane_b32 s25, v3
	s_and_b64 s[24:25], s[24:25], s[20:21]
	s_mul_i32 s15, s25, 24
	s_mul_hi_u32 s25, s24, 24
	s_mul_i32 s24, s24, 24
	s_add_i32 s25, s25, s15
	v_lshl_add_u64 v[8:9], v[24:25], 0, s[24:25]
	global_store_dwordx2 v[8:9], v[12:13], off
	buffer_wbl2 sc0 sc1
	s_waitcnt vmcnt(0)
	global_atomic_cmpswap_x2 v[4:5], v33, v[10:13], s[2:3] offset:32 sc0 sc1
	s_waitcnt vmcnt(0)
	v_cmp_ne_u64_e32 vcc, v[4:5], v[12:13]
	s_and_saveexec_b64 s[24:25], vcc
	s_cbranch_execz .LBB7_1104
; %bb.1102:                             ;   in Loop: Header=BB7_1037 Depth=1
	s_mov_b64 s[26:27], 0
.LBB7_1103:                             ;   Parent Loop BB7_1037 Depth=1
                                        ; =>  This Inner Loop Header: Depth=2
	s_sleep 1
	global_store_dwordx2 v[8:9], v[4:5], off
	v_mov_b32_e32 v2, s20
	v_mov_b32_e32 v3, s21
	buffer_wbl2 sc0 sc1
	s_waitcnt vmcnt(0)
	global_atomic_cmpswap_x2 v[2:3], v33, v[2:5], s[2:3] offset:32 sc0 sc1
	s_waitcnt vmcnt(0)
	v_cmp_eq_u64_e32 vcc, v[2:3], v[4:5]
	s_or_b64 s[26:27], vcc, s[26:27]
	v_mov_b64_e32 v[4:5], v[2:3]
	s_andn2_b64 exec, exec, s[26:27]
	s_cbranch_execnz .LBB7_1103
.LBB7_1104:                             ;   in Loop: Header=BB7_1037 Depth=1
	s_or_b64 exec, exec, s[24:25]
	global_load_dwordx2 v[2:3], v33, s[2:3] offset:16
	s_mov_b64 s[26:27], exec
	v_mbcnt_lo_u32_b32 v4, s26, 0
	v_mbcnt_hi_u32_b32 v4, s27, v4
	v_cmp_eq_u32_e32 vcc, 0, v4
	s_and_saveexec_b64 s[24:25], vcc
	s_cbranch_execz .LBB7_1106
; %bb.1105:                             ;   in Loop: Header=BB7_1037 Depth=1
	s_bcnt1_i32_b64 s15, s[26:27]
	v_mov_b32_e32 v32, s15
	buffer_wbl2 sc0 sc1
	s_waitcnt vmcnt(0)
	global_atomic_add_x2 v[2:3], v[32:33], off offset:8 sc1
.LBB7_1106:                             ;   in Loop: Header=BB7_1037 Depth=1
	s_or_b64 exec, exec, s[24:25]
	s_waitcnt vmcnt(0)
	global_load_dwordx2 v[4:5], v[2:3], off offset:16
	s_waitcnt vmcnt(0)
	v_cmp_eq_u64_e32 vcc, 0, v[4:5]
	s_cbranch_vccnz .LBB7_1108
; %bb.1107:                             ;   in Loop: Header=BB7_1037 Depth=1
	global_load_dword v32, v[2:3], off offset:24
	s_waitcnt vmcnt(0)
	v_and_b32_e32 v2, 0xffffff, v32
	s_nop 0
	v_readfirstlane_b32 m0, v2
	buffer_wbl2 sc0 sc1
	global_store_dwordx2 v[4:5], v[32:33], off sc0 sc1
	s_sendmsg sendmsg(MSG_INTERRUPT)
.LBB7_1108:                             ;   in Loop: Header=BB7_1037 Depth=1
	s_or_b64 exec, exec, s[22:23]
	v_mov_b32_e32 v29, v33
	v_lshl_add_u64 v[2:3], v[26:27], 0, v[28:29]
	s_branch .LBB7_1112
.LBB7_1109:                             ;   in Loop: Header=BB7_1112 Depth=2
	s_or_b64 exec, exec, s[22:23]
	v_readfirstlane_b32 s15, v4
	s_cmp_eq_u32 s15, 0
	s_cbranch_scc1 .LBB7_1111
; %bb.1110:                             ;   in Loop: Header=BB7_1112 Depth=2
	s_sleep 1
	s_cbranch_execnz .LBB7_1112
	s_branch .LBB7_1114
.LBB7_1111:                             ;   in Loop: Header=BB7_1037 Depth=1
	s_branch .LBB7_1114
.LBB7_1112:                             ;   Parent Loop BB7_1037 Depth=1
                                        ; =>  This Inner Loop Header: Depth=2
	v_mov_b32_e32 v4, 1
	s_and_saveexec_b64 s[22:23], s[0:1]
	s_cbranch_execz .LBB7_1109
; %bb.1113:                             ;   in Loop: Header=BB7_1112 Depth=2
	global_load_dword v4, v[34:35], off offset:20 sc0 sc1
	s_waitcnt vmcnt(0)
	buffer_inv sc0 sc1
	v_and_b32_e32 v4, 1, v4
	s_branch .LBB7_1109
.LBB7_1114:                             ;   in Loop: Header=BB7_1037 Depth=1
	global_load_dwordx4 v[2:5], v[2:3], off
	s_and_saveexec_b64 s[22:23], s[0:1]
	s_cbranch_execz .LBB7_1036
; %bb.1115:                             ;   in Loop: Header=BB7_1037 Depth=1
	global_load_dwordx2 v[4:5], v33, s[2:3] offset:40
	global_load_dwordx2 v[12:13], v33, s[2:3] offset:24 sc0 sc1
	global_load_dwordx2 v[14:15], v33, s[2:3]
	s_waitcnt vmcnt(2)
	v_lshl_add_u64 v[8:9], v[4:5], 0, 1
	v_lshl_add_u64 v[16:17], v[8:9], 0, s[20:21]
	v_cmp_eq_u64_e32 vcc, 0, v[16:17]
	s_waitcnt vmcnt(1)
	v_mov_b32_e32 v10, v12
	v_cndmask_b32_e32 v9, v17, v9, vcc
	v_cndmask_b32_e32 v8, v16, v8, vcc
	v_and_b32_e32 v5, v9, v5
	v_and_b32_e32 v4, v8, v4
	v_mul_lo_u32 v5, v5, 24
	v_mul_hi_u32 v11, v4, 24
	v_mul_lo_u32 v4, v4, 24
	v_add_u32_e32 v5, v11, v5
	s_waitcnt vmcnt(0)
	v_lshl_add_u64 v[4:5], v[14:15], 0, v[4:5]
	global_store_dwordx2 v[4:5], v[12:13], off
	v_mov_b32_e32 v11, v13
	buffer_wbl2 sc0 sc1
	s_waitcnt vmcnt(0)
	global_atomic_cmpswap_x2 v[10:11], v33, v[8:11], s[2:3] offset:24 sc0 sc1
	s_waitcnt vmcnt(0)
	v_cmp_ne_u64_e32 vcc, v[10:11], v[12:13]
	s_and_b64 exec, exec, vcc
	s_cbranch_execz .LBB7_1036
; %bb.1116:                             ;   in Loop: Header=BB7_1037 Depth=1
	s_mov_b64 s[0:1], 0
.LBB7_1117:                             ;   Parent Loop BB7_1037 Depth=1
                                        ; =>  This Inner Loop Header: Depth=2
	s_sleep 1
	global_store_dwordx2 v[4:5], v[10:11], off
	buffer_wbl2 sc0 sc1
	s_waitcnt vmcnt(0)
	global_atomic_cmpswap_x2 v[12:13], v33, v[8:11], s[2:3] offset:24 sc0 sc1
	s_waitcnt vmcnt(0)
	v_cmp_eq_u64_e32 vcc, v[12:13], v[10:11]
	s_or_b64 s[0:1], vcc, s[0:1]
	v_mov_b64_e32 v[10:11], v[12:13]
	s_andn2_b64 exec, exec, s[0:1]
	s_cbranch_execnz .LBB7_1117
	s_branch .LBB7_1036
.LBB7_1118:
	s_branch .LBB7_1146
.LBB7_1119:
                                        ; implicit-def: $vgpr2_vgpr3
	s_cbranch_execz .LBB7_1146
; %bb.1120:
	v_readfirstlane_b32 s0, v36
	s_waitcnt vmcnt(0)
	v_mov_b64_e32 v[2:3], 0
	v_cmp_eq_u32_e64 s[0:1], s0, v36
	s_and_saveexec_b64 s[10:11], s[0:1]
	s_cbranch_execz .LBB7_1126
; %bb.1121:
	v_mov_b32_e32 v4, 0
	global_load_dwordx2 v[8:9], v4, s[2:3] offset:24 sc0 sc1
	s_waitcnt vmcnt(0)
	buffer_inv sc0 sc1
	global_load_dwordx2 v[2:3], v4, s[2:3] offset:40
	global_load_dwordx2 v[6:7], v4, s[2:3]
	s_waitcnt vmcnt(1)
	v_and_b32_e32 v2, v2, v8
	v_and_b32_e32 v3, v3, v9
	v_mul_lo_u32 v3, v3, 24
	v_mul_hi_u32 v5, v2, 24
	v_add_u32_e32 v3, v5, v3
	v_mul_lo_u32 v2, v2, 24
	s_waitcnt vmcnt(0)
	v_lshl_add_u64 v[2:3], v[6:7], 0, v[2:3]
	global_load_dwordx2 v[6:7], v[2:3], off sc0 sc1
	s_waitcnt vmcnt(0)
	global_atomic_cmpswap_x2 v[2:3], v4, v[6:9], s[2:3] offset:24 sc0 sc1
	s_waitcnt vmcnt(0)
	buffer_inv sc0 sc1
	v_cmp_ne_u64_e32 vcc, v[2:3], v[8:9]
	s_and_saveexec_b64 s[16:17], vcc
	s_cbranch_execz .LBB7_1125
; %bb.1122:
	s_mov_b64 s[18:19], 0
.LBB7_1123:                             ; =>This Inner Loop Header: Depth=1
	s_sleep 1
	global_load_dwordx2 v[6:7], v4, s[2:3] offset:40
	global_load_dwordx2 v[10:11], v4, s[2:3]
	v_mov_b64_e32 v[8:9], v[2:3]
	s_waitcnt vmcnt(1)
	v_and_b32_e32 v2, v6, v8
	s_waitcnt vmcnt(0)
	v_mad_u64_u32 v[2:3], s[20:21], v2, 24, v[10:11]
	v_and_b32_e32 v5, v7, v9
	v_mov_b32_e32 v6, v3
	v_mad_u64_u32 v[6:7], s[20:21], v5, 24, v[6:7]
	v_mov_b32_e32 v3, v6
	global_load_dwordx2 v[6:7], v[2:3], off sc0 sc1
	s_waitcnt vmcnt(0)
	global_atomic_cmpswap_x2 v[2:3], v4, v[6:9], s[2:3] offset:24 sc0 sc1
	s_waitcnt vmcnt(0)
	buffer_inv sc0 sc1
	v_cmp_eq_u64_e32 vcc, v[2:3], v[8:9]
	s_or_b64 s[18:19], vcc, s[18:19]
	s_andn2_b64 exec, exec, s[18:19]
	s_cbranch_execnz .LBB7_1123
; %bb.1124:
	s_or_b64 exec, exec, s[18:19]
.LBB7_1125:
	s_or_b64 exec, exec, s[16:17]
.LBB7_1126:
	s_or_b64 exec, exec, s[10:11]
	v_mov_b32_e32 v29, 0
	global_load_dwordx2 v[8:9], v29, s[2:3] offset:40
	global_load_dwordx4 v[4:7], v29, s[2:3]
	v_readfirstlane_b32 s10, v2
	v_readfirstlane_b32 s11, v3
	s_mov_b64 s[16:17], exec
	s_waitcnt vmcnt(1)
	v_readfirstlane_b32 s18, v8
	v_readfirstlane_b32 s19, v9
	s_and_b64 s[18:19], s[10:11], s[18:19]
	s_mul_i32 s15, s19, 24
	s_mul_hi_u32 s20, s18, 24
	s_add_i32 s21, s20, s15
	s_mul_i32 s20, s18, 24
	s_waitcnt vmcnt(0)
	v_lshl_add_u64 v[8:9], v[4:5], 0, s[20:21]
	s_and_saveexec_b64 s[20:21], s[0:1]
	s_cbranch_execz .LBB7_1128
; %bb.1127:
	v_mov_b64_e32 v[10:11], s[16:17]
	v_mov_b32_e32 v12, 2
	v_mov_b32_e32 v13, 1
	global_store_dwordx4 v[8:9], v[10:13], off offset:8
.LBB7_1128:
	s_or_b64 exec, exec, s[20:21]
	s_lshl_b64 s[16:17], s[18:19], 12
	v_lshl_add_u64 v[6:7], v[6:7], 0, s[16:17]
	s_movk_i32 s15, 0xff1f
	s_mov_b32 s16, 0
	v_and_or_b32 v0, v0, s15, 32
	v_mov_b32_e32 v2, v29
	v_mov_b32_e32 v3, v29
	v_readfirstlane_b32 s20, v6
	v_readfirstlane_b32 s21, v7
	s_mov_b32 s17, s16
	s_mov_b32 s18, s16
	s_mov_b32 s19, s16
	s_nop 1
	global_store_dwordx4 v28, v[0:3], s[20:21]
	s_nop 1
	v_mov_b64_e32 v[0:1], s[16:17]
	v_mov_b64_e32 v[2:3], s[18:19]
	global_store_dwordx4 v28, v[0:3], s[20:21] offset:16
	global_store_dwordx4 v28, v[0:3], s[20:21] offset:32
	;; [unrolled: 1-line block ×3, first 2 shown]
	s_and_saveexec_b64 s[16:17], s[0:1]
	s_cbranch_execz .LBB7_1136
; %bb.1129:
	v_mov_b32_e32 v10, 0
	global_load_dwordx2 v[14:15], v10, s[2:3] offset:32 sc0 sc1
	global_load_dwordx2 v[0:1], v10, s[2:3] offset:40
	v_mov_b32_e32 v12, s10
	v_mov_b32_e32 v13, s11
	s_waitcnt vmcnt(0)
	v_readfirstlane_b32 s18, v0
	v_readfirstlane_b32 s19, v1
	s_and_b64 s[18:19], s[18:19], s[10:11]
	s_mul_i32 s15, s19, 24
	s_mul_hi_u32 s19, s18, 24
	s_mul_i32 s18, s18, 24
	s_add_i32 s19, s19, s15
	v_lshl_add_u64 v[4:5], v[4:5], 0, s[18:19]
	global_store_dwordx2 v[4:5], v[14:15], off
	buffer_wbl2 sc0 sc1
	s_waitcnt vmcnt(0)
	global_atomic_cmpswap_x2 v[2:3], v10, v[12:15], s[2:3] offset:32 sc0 sc1
	s_waitcnt vmcnt(0)
	v_cmp_ne_u64_e32 vcc, v[2:3], v[14:15]
	s_and_saveexec_b64 s[18:19], vcc
	s_cbranch_execz .LBB7_1132
; %bb.1130:
	s_mov_b64 s[20:21], 0
.LBB7_1131:                             ; =>This Inner Loop Header: Depth=1
	s_sleep 1
	global_store_dwordx2 v[4:5], v[2:3], off
	v_mov_b32_e32 v0, s10
	v_mov_b32_e32 v1, s11
	buffer_wbl2 sc0 sc1
	s_waitcnt vmcnt(0)
	global_atomic_cmpswap_x2 v[0:1], v10, v[0:3], s[2:3] offset:32 sc0 sc1
	s_waitcnt vmcnt(0)
	v_cmp_eq_u64_e32 vcc, v[0:1], v[2:3]
	s_or_b64 s[20:21], vcc, s[20:21]
	v_mov_b64_e32 v[2:3], v[0:1]
	s_andn2_b64 exec, exec, s[20:21]
	s_cbranch_execnz .LBB7_1131
.LBB7_1132:
	s_or_b64 exec, exec, s[18:19]
	v_mov_b32_e32 v3, 0
	global_load_dwordx2 v[0:1], v3, s[2:3] offset:16
	s_mov_b64 s[18:19], exec
	v_mbcnt_lo_u32_b32 v2, s18, 0
	v_mbcnt_hi_u32_b32 v2, s19, v2
	v_cmp_eq_u32_e32 vcc, 0, v2
	s_and_saveexec_b64 s[20:21], vcc
	s_cbranch_execz .LBB7_1134
; %bb.1133:
	s_bcnt1_i32_b64 s15, s[18:19]
	v_mov_b32_e32 v2, s15
	buffer_wbl2 sc0 sc1
	s_waitcnt vmcnt(0)
	global_atomic_add_x2 v[0:1], v[2:3], off offset:8 sc1
.LBB7_1134:
	s_or_b64 exec, exec, s[20:21]
	s_waitcnt vmcnt(0)
	global_load_dwordx2 v[2:3], v[0:1], off offset:16
	s_waitcnt vmcnt(0)
	v_cmp_eq_u64_e32 vcc, 0, v[2:3]
	s_cbranch_vccnz .LBB7_1136
; %bb.1135:
	global_load_dword v0, v[0:1], off offset:24
	v_mov_b32_e32 v1, 0
	buffer_wbl2 sc0 sc1
	s_waitcnt vmcnt(0)
	global_store_dwordx2 v[2:3], v[0:1], off sc0 sc1
	v_and_b32_e32 v0, 0xffffff, v0
	s_nop 0
	v_readfirstlane_b32 m0, v0
	s_sendmsg sendmsg(MSG_INTERRUPT)
.LBB7_1136:
	s_or_b64 exec, exec, s[16:17]
	v_lshl_add_u64 v[0:1], v[6:7], 0, v[28:29]
	s_branch .LBB7_1140
.LBB7_1137:                             ;   in Loop: Header=BB7_1140 Depth=1
	s_or_b64 exec, exec, s[16:17]
	v_readfirstlane_b32 s15, v2
	s_cmp_eq_u32 s15, 0
	s_cbranch_scc1 .LBB7_1139
; %bb.1138:                             ;   in Loop: Header=BB7_1140 Depth=1
	s_sleep 1
	s_cbranch_execnz .LBB7_1140
	s_branch .LBB7_1142
.LBB7_1139:
	s_branch .LBB7_1142
.LBB7_1140:                             ; =>This Inner Loop Header: Depth=1
	v_mov_b32_e32 v2, 1
	s_and_saveexec_b64 s[16:17], s[0:1]
	s_cbranch_execz .LBB7_1137
; %bb.1141:                             ;   in Loop: Header=BB7_1140 Depth=1
	global_load_dword v2, v[8:9], off offset:20 sc0 sc1
	s_waitcnt vmcnt(0)
	buffer_inv sc0 sc1
	v_and_b32_e32 v2, 1, v2
	s_branch .LBB7_1137
.LBB7_1142:
	global_load_dwordx2 v[2:3], v[0:1], off
	s_and_saveexec_b64 s[16:17], s[0:1]
	s_cbranch_execz .LBB7_1145
; %bb.1143:
	v_mov_b32_e32 v8, 0
	global_load_dwordx2 v[0:1], v8, s[2:3] offset:40
	global_load_dwordx2 v[10:11], v8, s[2:3] offset:24 sc0 sc1
	global_load_dwordx2 v[12:13], v8, s[2:3]
	s_mov_b64 s[0:1], 0
	s_waitcnt vmcnt(2)
	v_lshl_add_u64 v[4:5], v[0:1], 0, 1
	v_lshl_add_u64 v[14:15], v[4:5], 0, s[10:11]
	v_cmp_eq_u64_e32 vcc, 0, v[14:15]
	s_waitcnt vmcnt(1)
	v_mov_b32_e32 v6, v10
	v_cndmask_b32_e32 v5, v15, v5, vcc
	v_cndmask_b32_e32 v4, v14, v4, vcc
	v_and_b32_e32 v1, v5, v1
	v_and_b32_e32 v0, v4, v0
	v_mul_lo_u32 v1, v1, 24
	v_mul_hi_u32 v7, v0, 24
	v_mul_lo_u32 v0, v0, 24
	v_add_u32_e32 v1, v7, v1
	s_waitcnt vmcnt(0)
	v_lshl_add_u64 v[0:1], v[12:13], 0, v[0:1]
	global_store_dwordx2 v[0:1], v[10:11], off
	v_mov_b32_e32 v7, v11
	buffer_wbl2 sc0 sc1
	s_waitcnt vmcnt(0)
	global_atomic_cmpswap_x2 v[6:7], v8, v[4:7], s[2:3] offset:24 sc0 sc1
	s_waitcnt vmcnt(0)
	v_cmp_ne_u64_e32 vcc, v[6:7], v[10:11]
	s_and_b64 exec, exec, vcc
	s_cbranch_execz .LBB7_1145
.LBB7_1144:                             ; =>This Inner Loop Header: Depth=1
	s_sleep 1
	global_store_dwordx2 v[0:1], v[6:7], off
	buffer_wbl2 sc0 sc1
	s_waitcnt vmcnt(0)
	global_atomic_cmpswap_x2 v[10:11], v8, v[4:7], s[2:3] offset:24 sc0 sc1
	s_waitcnt vmcnt(0)
	v_cmp_eq_u64_e32 vcc, v[10:11], v[6:7]
	s_or_b64 s[0:1], vcc, s[0:1]
	v_mov_b64_e32 v[6:7], v[10:11]
	s_andn2_b64 exec, exec, s[0:1]
	s_cbranch_execnz .LBB7_1144
.LBB7_1145:
	s_or_b64 exec, exec, s[16:17]
.LBB7_1146:
	v_readfirstlane_b32 s0, v36
	s_waitcnt vmcnt(0)
	v_mov_b64_e32 v[0:1], 0
	v_cmp_eq_u32_e64 s[0:1], s0, v36
	s_and_saveexec_b64 s[10:11], s[0:1]
	s_cbranch_execz .LBB7_1152
; %bb.1147:
	v_mov_b32_e32 v4, 0
	global_load_dwordx2 v[8:9], v4, s[2:3] offset:24 sc0 sc1
	s_waitcnt vmcnt(0)
	buffer_inv sc0 sc1
	global_load_dwordx2 v[0:1], v4, s[2:3] offset:40
	global_load_dwordx2 v[6:7], v4, s[2:3]
	s_waitcnt vmcnt(1)
	v_and_b32_e32 v0, v0, v8
	v_and_b32_e32 v1, v1, v9
	v_mul_lo_u32 v1, v1, 24
	v_mul_hi_u32 v5, v0, 24
	v_add_u32_e32 v1, v5, v1
	v_mul_lo_u32 v0, v0, 24
	s_waitcnt vmcnt(0)
	v_lshl_add_u64 v[0:1], v[6:7], 0, v[0:1]
	global_load_dwordx2 v[6:7], v[0:1], off sc0 sc1
	s_waitcnt vmcnt(0)
	global_atomic_cmpswap_x2 v[0:1], v4, v[6:9], s[2:3] offset:24 sc0 sc1
	s_waitcnt vmcnt(0)
	buffer_inv sc0 sc1
	v_cmp_ne_u64_e32 vcc, v[0:1], v[8:9]
	s_and_saveexec_b64 s[16:17], vcc
	s_cbranch_execz .LBB7_1151
; %bb.1148:
	s_mov_b64 s[18:19], 0
.LBB7_1149:                             ; =>This Inner Loop Header: Depth=1
	s_sleep 1
	global_load_dwordx2 v[6:7], v4, s[2:3] offset:40
	global_load_dwordx2 v[10:11], v4, s[2:3]
	v_mov_b64_e32 v[8:9], v[0:1]
	s_waitcnt vmcnt(1)
	v_and_b32_e32 v0, v6, v8
	s_waitcnt vmcnt(0)
	v_mad_u64_u32 v[0:1], s[20:21], v0, 24, v[10:11]
	v_and_b32_e32 v5, v7, v9
	v_mov_b32_e32 v6, v1
	v_mad_u64_u32 v[6:7], s[20:21], v5, 24, v[6:7]
	v_mov_b32_e32 v1, v6
	global_load_dwordx2 v[6:7], v[0:1], off sc0 sc1
	s_waitcnt vmcnt(0)
	global_atomic_cmpswap_x2 v[0:1], v4, v[6:9], s[2:3] offset:24 sc0 sc1
	s_waitcnt vmcnt(0)
	buffer_inv sc0 sc1
	v_cmp_eq_u64_e32 vcc, v[0:1], v[8:9]
	s_or_b64 s[18:19], vcc, s[18:19]
	s_andn2_b64 exec, exec, s[18:19]
	s_cbranch_execnz .LBB7_1149
; %bb.1150:
	s_or_b64 exec, exec, s[18:19]
.LBB7_1151:
	s_or_b64 exec, exec, s[16:17]
.LBB7_1152:
	s_or_b64 exec, exec, s[10:11]
	v_mov_b32_e32 v5, 0
	global_load_dwordx2 v[10:11], v5, s[2:3] offset:40
	global_load_dwordx4 v[6:9], v5, s[2:3]
	v_readfirstlane_b32 s10, v0
	v_readfirstlane_b32 s11, v1
	s_mov_b64 s[16:17], exec
	s_waitcnt vmcnt(1)
	v_readfirstlane_b32 s18, v10
	v_readfirstlane_b32 s19, v11
	s_and_b64 s[18:19], s[10:11], s[18:19]
	s_mul_i32 s15, s19, 24
	s_mul_hi_u32 s20, s18, 24
	s_add_i32 s21, s20, s15
	s_mul_i32 s20, s18, 24
	s_waitcnt vmcnt(0)
	v_lshl_add_u64 v[10:11], v[6:7], 0, s[20:21]
	s_and_saveexec_b64 s[20:21], s[0:1]
	s_cbranch_execz .LBB7_1154
; %bb.1153:
	v_mov_b64_e32 v[12:13], s[16:17]
	v_mov_b32_e32 v14, 2
	v_mov_b32_e32 v15, 1
	global_store_dwordx4 v[10:11], v[12:15], off offset:8
.LBB7_1154:
	s_or_b64 exec, exec, s[20:21]
	s_lshl_b64 s[16:17], s[18:19], 12
	v_lshl_add_u64 v[0:1], v[8:9], 0, s[16:17]
	s_movk_i32 s15, 0xff1d
	s_mov_b32 s16, 0
	v_and_or_b32 v2, v2, s15, 34
	v_mov_b32_e32 v4, 58
	v_readfirstlane_b32 s20, v0
	v_readfirstlane_b32 s21, v1
	s_mov_b32 s17, s16
	s_mov_b32 s18, s16
	;; [unrolled: 1-line block ×3, first 2 shown]
	s_nop 1
	global_store_dwordx4 v28, v[2:5], s[20:21]
	v_mov_b64_e32 v[0:1], s[16:17]
	s_nop 0
	v_mov_b64_e32 v[2:3], s[18:19]
	global_store_dwordx4 v28, v[0:3], s[20:21] offset:16
	global_store_dwordx4 v28, v[0:3], s[20:21] offset:32
	;; [unrolled: 1-line block ×3, first 2 shown]
	s_and_saveexec_b64 s[16:17], s[0:1]
	s_cbranch_execz .LBB7_1162
; %bb.1155:
	v_mov_b32_e32 v8, 0
	global_load_dwordx2 v[14:15], v8, s[2:3] offset:32 sc0 sc1
	global_load_dwordx2 v[0:1], v8, s[2:3] offset:40
	v_mov_b32_e32 v12, s10
	v_mov_b32_e32 v13, s11
	s_waitcnt vmcnt(0)
	v_readfirstlane_b32 s18, v0
	v_readfirstlane_b32 s19, v1
	s_and_b64 s[18:19], s[18:19], s[10:11]
	s_mul_i32 s15, s19, 24
	s_mul_hi_u32 s19, s18, 24
	s_mul_i32 s18, s18, 24
	s_add_i32 s19, s19, s15
	v_lshl_add_u64 v[4:5], v[6:7], 0, s[18:19]
	global_store_dwordx2 v[4:5], v[14:15], off
	buffer_wbl2 sc0 sc1
	s_waitcnt vmcnt(0)
	global_atomic_cmpswap_x2 v[2:3], v8, v[12:15], s[2:3] offset:32 sc0 sc1
	s_waitcnt vmcnt(0)
	v_cmp_ne_u64_e32 vcc, v[2:3], v[14:15]
	s_and_saveexec_b64 s[18:19], vcc
	s_cbranch_execz .LBB7_1158
; %bb.1156:
	s_mov_b64 s[20:21], 0
.LBB7_1157:                             ; =>This Inner Loop Header: Depth=1
	s_sleep 1
	global_store_dwordx2 v[4:5], v[2:3], off
	v_mov_b32_e32 v0, s10
	v_mov_b32_e32 v1, s11
	buffer_wbl2 sc0 sc1
	s_waitcnt vmcnt(0)
	global_atomic_cmpswap_x2 v[0:1], v8, v[0:3], s[2:3] offset:32 sc0 sc1
	s_waitcnt vmcnt(0)
	v_cmp_eq_u64_e32 vcc, v[0:1], v[2:3]
	s_or_b64 s[20:21], vcc, s[20:21]
	v_mov_b64_e32 v[2:3], v[0:1]
	s_andn2_b64 exec, exec, s[20:21]
	s_cbranch_execnz .LBB7_1157
.LBB7_1158:
	s_or_b64 exec, exec, s[18:19]
	v_mov_b32_e32 v3, 0
	global_load_dwordx2 v[0:1], v3, s[2:3] offset:16
	s_mov_b64 s[18:19], exec
	v_mbcnt_lo_u32_b32 v2, s18, 0
	v_mbcnt_hi_u32_b32 v2, s19, v2
	v_cmp_eq_u32_e32 vcc, 0, v2
	s_and_saveexec_b64 s[20:21], vcc
	s_cbranch_execz .LBB7_1160
; %bb.1159:
	s_bcnt1_i32_b64 s15, s[18:19]
	v_mov_b32_e32 v2, s15
	buffer_wbl2 sc0 sc1
	s_waitcnt vmcnt(0)
	global_atomic_add_x2 v[0:1], v[2:3], off offset:8 sc1
.LBB7_1160:
	s_or_b64 exec, exec, s[20:21]
	s_waitcnt vmcnt(0)
	global_load_dwordx2 v[2:3], v[0:1], off offset:16
	s_waitcnt vmcnt(0)
	v_cmp_eq_u64_e32 vcc, 0, v[2:3]
	s_cbranch_vccnz .LBB7_1162
; %bb.1161:
	global_load_dword v0, v[0:1], off offset:24
	v_mov_b32_e32 v1, 0
	buffer_wbl2 sc0 sc1
	s_waitcnt vmcnt(0)
	global_store_dwordx2 v[2:3], v[0:1], off sc0 sc1
	v_and_b32_e32 v0, 0xffffff, v0
	s_nop 0
	v_readfirstlane_b32 m0, v0
	s_sendmsg sendmsg(MSG_INTERRUPT)
.LBB7_1162:
	s_or_b64 exec, exec, s[16:17]
	s_branch .LBB7_1166
.LBB7_1163:                             ;   in Loop: Header=BB7_1166 Depth=1
	s_or_b64 exec, exec, s[16:17]
	v_readfirstlane_b32 s15, v0
	s_cmp_eq_u32 s15, 0
	s_cbranch_scc1 .LBB7_1165
; %bb.1164:                             ;   in Loop: Header=BB7_1166 Depth=1
	s_sleep 1
	s_cbranch_execnz .LBB7_1166
	s_branch .LBB7_1168
.LBB7_1165:
	s_branch .LBB7_1168
.LBB7_1166:                             ; =>This Inner Loop Header: Depth=1
	v_mov_b32_e32 v0, 1
	s_and_saveexec_b64 s[16:17], s[0:1]
	s_cbranch_execz .LBB7_1163
; %bb.1167:                             ;   in Loop: Header=BB7_1166 Depth=1
	global_load_dword v0, v[10:11], off offset:20 sc0 sc1
	s_waitcnt vmcnt(0)
	buffer_inv sc0 sc1
	v_and_b32_e32 v0, 1, v0
	s_branch .LBB7_1163
.LBB7_1168:
	s_and_saveexec_b64 s[16:17], s[0:1]
	s_cbranch_execz .LBB7_1171
; %bb.1169:
	v_mov_b32_e32 v6, 0
	global_load_dwordx2 v[4:5], v6, s[2:3] offset:40
	global_load_dwordx2 v[8:9], v6, s[2:3] offset:24 sc0 sc1
	global_load_dwordx2 v[10:11], v6, s[2:3]
	s_mov_b64 s[0:1], 0
	s_waitcnt vmcnt(2)
	v_lshl_add_u64 v[0:1], v[4:5], 0, 1
	v_lshl_add_u64 v[12:13], v[0:1], 0, s[10:11]
	v_cmp_eq_u64_e32 vcc, 0, v[12:13]
	s_waitcnt vmcnt(1)
	v_mov_b32_e32 v2, v8
	v_cndmask_b32_e32 v1, v13, v1, vcc
	v_cndmask_b32_e32 v0, v12, v0, vcc
	v_and_b32_e32 v3, v1, v5
	v_and_b32_e32 v4, v0, v4
	v_mul_lo_u32 v3, v3, 24
	v_mul_hi_u32 v5, v4, 24
	v_mul_lo_u32 v4, v4, 24
	v_add_u32_e32 v5, v5, v3
	s_waitcnt vmcnt(0)
	v_lshl_add_u64 v[4:5], v[10:11], 0, v[4:5]
	global_store_dwordx2 v[4:5], v[8:9], off
	v_mov_b32_e32 v3, v9
	buffer_wbl2 sc0 sc1
	s_waitcnt vmcnt(0)
	global_atomic_cmpswap_x2 v[2:3], v6, v[0:3], s[2:3] offset:24 sc0 sc1
	s_waitcnt vmcnt(0)
	v_cmp_ne_u64_e32 vcc, v[2:3], v[8:9]
	s_and_b64 exec, exec, vcc
	s_cbranch_execz .LBB7_1171
.LBB7_1170:                             ; =>This Inner Loop Header: Depth=1
	s_sleep 1
	global_store_dwordx2 v[4:5], v[2:3], off
	buffer_wbl2 sc0 sc1
	s_waitcnt vmcnt(0)
	global_atomic_cmpswap_x2 v[8:9], v6, v[0:3], s[2:3] offset:24 sc0 sc1
	s_waitcnt vmcnt(0)
	v_cmp_eq_u64_e32 vcc, v[8:9], v[2:3]
	s_or_b64 s[0:1], vcc, s[0:1]
	v_mov_b64_e32 v[2:3], v[8:9]
	s_andn2_b64 exec, exec, s[0:1]
	s_cbranch_execnz .LBB7_1170
.LBB7_1171:
	s_or_b64 exec, exec, s[16:17]
	v_readfirstlane_b32 s0, v36
	v_mov_b64_e32 v[4:5], 0
	s_nop 0
	v_cmp_eq_u32_e64 s[0:1], s0, v36
	s_and_saveexec_b64 s[10:11], s[0:1]
	s_cbranch_execz .LBB7_1177
; %bb.1172:
	v_mov_b32_e32 v0, 0
	global_load_dwordx2 v[6:7], v0, s[2:3] offset:24 sc0 sc1
	s_waitcnt vmcnt(0)
	buffer_inv sc0 sc1
	global_load_dwordx2 v[2:3], v0, s[2:3] offset:40
	global_load_dwordx2 v[4:5], v0, s[2:3]
	s_waitcnt vmcnt(1)
	v_and_b32_e32 v1, v2, v6
	v_and_b32_e32 v2, v3, v7
	v_mul_lo_u32 v2, v2, 24
	v_mul_hi_u32 v3, v1, 24
	v_add_u32_e32 v3, v3, v2
	v_mul_lo_u32 v2, v1, 24
	s_waitcnt vmcnt(0)
	v_lshl_add_u64 v[2:3], v[4:5], 0, v[2:3]
	global_load_dwordx2 v[4:5], v[2:3], off sc0 sc1
	s_waitcnt vmcnt(0)
	global_atomic_cmpswap_x2 v[4:5], v0, v[4:7], s[2:3] offset:24 sc0 sc1
	s_waitcnt vmcnt(0)
	buffer_inv sc0 sc1
	v_cmp_ne_u64_e32 vcc, v[4:5], v[6:7]
	s_and_saveexec_b64 s[16:17], vcc
	s_cbranch_execz .LBB7_1176
; %bb.1173:
	s_mov_b64 s[18:19], 0
.LBB7_1174:                             ; =>This Inner Loop Header: Depth=1
	s_sleep 1
	global_load_dwordx2 v[2:3], v0, s[2:3] offset:40
	global_load_dwordx2 v[8:9], v0, s[2:3]
	v_mov_b64_e32 v[6:7], v[4:5]
	s_waitcnt vmcnt(1)
	v_and_b32_e32 v2, v2, v6
	v_and_b32_e32 v1, v3, v7
	s_waitcnt vmcnt(0)
	v_mad_u64_u32 v[2:3], s[20:21], v2, 24, v[8:9]
	v_mov_b32_e32 v4, v3
	v_mad_u64_u32 v[4:5], s[20:21], v1, 24, v[4:5]
	v_mov_b32_e32 v3, v4
	global_load_dwordx2 v[4:5], v[2:3], off sc0 sc1
	s_waitcnt vmcnt(0)
	global_atomic_cmpswap_x2 v[4:5], v0, v[4:7], s[2:3] offset:24 sc0 sc1
	s_waitcnt vmcnt(0)
	buffer_inv sc0 sc1
	v_cmp_eq_u64_e32 vcc, v[4:5], v[6:7]
	s_or_b64 s[18:19], vcc, s[18:19]
	s_andn2_b64 exec, exec, s[18:19]
	s_cbranch_execnz .LBB7_1174
; %bb.1175:
	s_or_b64 exec, exec, s[18:19]
.LBB7_1176:
	s_or_b64 exec, exec, s[16:17]
.LBB7_1177:
	s_or_b64 exec, exec, s[10:11]
	v_mov_b32_e32 v29, 0
	global_load_dwordx2 v[6:7], v29, s[2:3] offset:40
	global_load_dwordx4 v[0:3], v29, s[2:3]
	v_readfirstlane_b32 s10, v4
	v_readfirstlane_b32 s11, v5
	s_mov_b64 s[16:17], exec
	s_waitcnt vmcnt(1)
	v_readfirstlane_b32 s18, v6
	v_readfirstlane_b32 s19, v7
	s_and_b64 s[18:19], s[10:11], s[18:19]
	s_mul_i32 s15, s19, 24
	s_mul_hi_u32 s20, s18, 24
	s_add_i32 s21, s20, s15
	s_mul_i32 s20, s18, 24
	s_waitcnt vmcnt(0)
	v_lshl_add_u64 v[4:5], v[0:1], 0, s[20:21]
	s_and_saveexec_b64 s[20:21], s[0:1]
	s_cbranch_execz .LBB7_1179
; %bb.1178:
	v_mov_b64_e32 v[6:7], s[16:17]
	v_mov_b32_e32 v8, 2
	v_mov_b32_e32 v9, 1
	global_store_dwordx4 v[4:5], v[6:9], off offset:8
.LBB7_1179:
	s_or_b64 exec, exec, s[20:21]
	s_lshl_b64 s[16:17], s[18:19], 12
	v_lshl_add_u64 v[6:7], v[2:3], 0, s[16:17]
	s_mov_b32 s16, 0
	v_mov_b32_e32 v8, 33
	v_mov_b32_e32 v9, v29
	;; [unrolled: 1-line block ×4, first 2 shown]
	v_readfirstlane_b32 s20, v6
	v_readfirstlane_b32 s21, v7
	s_mov_b32 s17, s16
	s_mov_b32 s18, s16
	;; [unrolled: 1-line block ×3, first 2 shown]
	s_nop 1
	global_store_dwordx4 v28, v[8:11], s[20:21]
	s_nop 1
	v_mov_b64_e32 v[8:9], s[16:17]
	v_mov_b64_e32 v[10:11], s[18:19]
	global_store_dwordx4 v28, v[8:11], s[20:21] offset:16
	global_store_dwordx4 v28, v[8:11], s[20:21] offset:32
	global_store_dwordx4 v28, v[8:11], s[20:21] offset:48
	s_and_saveexec_b64 s[16:17], s[0:1]
	s_cbranch_execz .LBB7_1187
; %bb.1180:
	v_mov_b32_e32 v10, 0
	global_load_dwordx2 v[14:15], v10, s[2:3] offset:32 sc0 sc1
	global_load_dwordx2 v[2:3], v10, s[2:3] offset:40
	v_mov_b32_e32 v12, s10
	v_mov_b32_e32 v13, s11
	s_waitcnt vmcnt(0)
	v_readfirstlane_b32 s18, v2
	v_readfirstlane_b32 s19, v3
	s_and_b64 s[18:19], s[18:19], s[10:11]
	s_mul_i32 s15, s19, 24
	s_mul_hi_u32 s19, s18, 24
	s_mul_i32 s18, s18, 24
	s_add_i32 s19, s19, s15
	v_lshl_add_u64 v[8:9], v[0:1], 0, s[18:19]
	global_store_dwordx2 v[8:9], v[14:15], off
	buffer_wbl2 sc0 sc1
	s_waitcnt vmcnt(0)
	global_atomic_cmpswap_x2 v[2:3], v10, v[12:15], s[2:3] offset:32 sc0 sc1
	s_waitcnt vmcnt(0)
	v_cmp_ne_u64_e32 vcc, v[2:3], v[14:15]
	s_and_saveexec_b64 s[18:19], vcc
	s_cbranch_execz .LBB7_1183
; %bb.1181:
	s_mov_b64 s[20:21], 0
.LBB7_1182:                             ; =>This Inner Loop Header: Depth=1
	s_sleep 1
	global_store_dwordx2 v[8:9], v[2:3], off
	v_mov_b32_e32 v0, s10
	v_mov_b32_e32 v1, s11
	buffer_wbl2 sc0 sc1
	s_waitcnt vmcnt(0)
	global_atomic_cmpswap_x2 v[0:1], v10, v[0:3], s[2:3] offset:32 sc0 sc1
	s_waitcnt vmcnt(0)
	v_cmp_eq_u64_e32 vcc, v[0:1], v[2:3]
	s_or_b64 s[20:21], vcc, s[20:21]
	v_mov_b64_e32 v[2:3], v[0:1]
	s_andn2_b64 exec, exec, s[20:21]
	s_cbranch_execnz .LBB7_1182
.LBB7_1183:
	s_or_b64 exec, exec, s[18:19]
	v_mov_b32_e32 v3, 0
	global_load_dwordx2 v[0:1], v3, s[2:3] offset:16
	s_mov_b64 s[18:19], exec
	v_mbcnt_lo_u32_b32 v2, s18, 0
	v_mbcnt_hi_u32_b32 v2, s19, v2
	v_cmp_eq_u32_e32 vcc, 0, v2
	s_and_saveexec_b64 s[20:21], vcc
	s_cbranch_execz .LBB7_1185
; %bb.1184:
	s_bcnt1_i32_b64 s15, s[18:19]
	v_mov_b32_e32 v2, s15
	buffer_wbl2 sc0 sc1
	s_waitcnt vmcnt(0)
	global_atomic_add_x2 v[0:1], v[2:3], off offset:8 sc1
.LBB7_1185:
	s_or_b64 exec, exec, s[20:21]
	s_waitcnt vmcnt(0)
	global_load_dwordx2 v[2:3], v[0:1], off offset:16
	s_waitcnt vmcnt(0)
	v_cmp_eq_u64_e32 vcc, 0, v[2:3]
	s_cbranch_vccnz .LBB7_1187
; %bb.1186:
	global_load_dword v0, v[0:1], off offset:24
	v_mov_b32_e32 v1, 0
	buffer_wbl2 sc0 sc1
	s_waitcnt vmcnt(0)
	global_store_dwordx2 v[2:3], v[0:1], off sc0 sc1
	v_and_b32_e32 v0, 0xffffff, v0
	s_nop 0
	v_readfirstlane_b32 m0, v0
	s_sendmsg sendmsg(MSG_INTERRUPT)
.LBB7_1187:
	s_or_b64 exec, exec, s[16:17]
	v_lshl_add_u64 v[0:1], v[6:7], 0, v[28:29]
	s_branch .LBB7_1191
.LBB7_1188:                             ;   in Loop: Header=BB7_1191 Depth=1
	s_or_b64 exec, exec, s[16:17]
	v_readfirstlane_b32 s15, v2
	s_cmp_eq_u32 s15, 0
	s_cbranch_scc1 .LBB7_1190
; %bb.1189:                             ;   in Loop: Header=BB7_1191 Depth=1
	s_sleep 1
	s_cbranch_execnz .LBB7_1191
	s_branch .LBB7_1193
.LBB7_1190:
	s_branch .LBB7_1193
.LBB7_1191:                             ; =>This Inner Loop Header: Depth=1
	v_mov_b32_e32 v2, 1
	s_and_saveexec_b64 s[16:17], s[0:1]
	s_cbranch_execz .LBB7_1188
; %bb.1192:                             ;   in Loop: Header=BB7_1191 Depth=1
	global_load_dword v2, v[4:5], off offset:20 sc0 sc1
	s_waitcnt vmcnt(0)
	buffer_inv sc0 sc1
	v_and_b32_e32 v2, 1, v2
	s_branch .LBB7_1188
.LBB7_1193:
	global_load_dwordx2 v[0:1], v[0:1], off
	s_and_saveexec_b64 s[16:17], s[0:1]
	s_cbranch_execz .LBB7_1196
; %bb.1194:
	v_mov_b32_e32 v8, 0
	global_load_dwordx2 v[6:7], v8, s[2:3] offset:40
	global_load_dwordx2 v[10:11], v8, s[2:3] offset:24 sc0 sc1
	global_load_dwordx2 v[12:13], v8, s[2:3]
	s_mov_b64 s[0:1], 0
	s_waitcnt vmcnt(2)
	v_lshl_add_u64 v[2:3], v[6:7], 0, 1
	v_lshl_add_u64 v[14:15], v[2:3], 0, s[10:11]
	v_cmp_eq_u64_e32 vcc, 0, v[14:15]
	s_waitcnt vmcnt(1)
	v_mov_b32_e32 v4, v10
	v_cndmask_b32_e32 v3, v15, v3, vcc
	v_cndmask_b32_e32 v2, v14, v2, vcc
	v_and_b32_e32 v5, v3, v7
	v_and_b32_e32 v6, v2, v6
	v_mul_lo_u32 v5, v5, 24
	v_mul_hi_u32 v7, v6, 24
	v_mul_lo_u32 v6, v6, 24
	v_add_u32_e32 v7, v7, v5
	s_waitcnt vmcnt(0)
	v_lshl_add_u64 v[6:7], v[12:13], 0, v[6:7]
	global_store_dwordx2 v[6:7], v[10:11], off
	v_mov_b32_e32 v5, v11
	buffer_wbl2 sc0 sc1
	s_waitcnt vmcnt(0)
	global_atomic_cmpswap_x2 v[4:5], v8, v[2:5], s[2:3] offset:24 sc0 sc1
	s_waitcnt vmcnt(0)
	v_cmp_ne_u64_e32 vcc, v[4:5], v[10:11]
	s_and_b64 exec, exec, vcc
	s_cbranch_execz .LBB7_1196
.LBB7_1195:                             ; =>This Inner Loop Header: Depth=1
	s_sleep 1
	global_store_dwordx2 v[6:7], v[4:5], off
	buffer_wbl2 sc0 sc1
	s_waitcnt vmcnt(0)
	global_atomic_cmpswap_x2 v[10:11], v8, v[2:5], s[2:3] offset:24 sc0 sc1
	s_waitcnt vmcnt(0)
	v_cmp_eq_u64_e32 vcc, v[10:11], v[4:5]
	s_or_b64 s[0:1], vcc, s[0:1]
	v_mov_b64_e32 v[4:5], v[10:11]
	s_andn2_b64 exec, exec, s[0:1]
	s_cbranch_execnz .LBB7_1195
.LBB7_1196:
	s_or_b64 exec, exec, s[16:17]
	s_and_b64 vcc, exec, s[6:7]
	s_cbranch_vccz .LBB7_1281
; %bb.1197:
	s_waitcnt vmcnt(0)
	v_and_b32_e32 v30, 2, v0
	v_mov_b32_e32 v33, 0
	v_and_b32_e32 v2, -3, v0
	v_mov_b32_e32 v3, v1
	s_mov_b64 s[10:11], 3
	v_mov_b32_e32 v6, 2
	v_mov_b32_e32 v7, 1
	s_getpc_b64 s[6:7]
	s_add_u32 s6, s6, .str.6@rel32@lo+4
	s_addc_u32 s7, s7, .str.6@rel32@hi+12
	s_branch .LBB7_1199
.LBB7_1198:                             ;   in Loop: Header=BB7_1199 Depth=1
	s_or_b64 exec, exec, s[20:21]
	s_sub_u32 s10, s10, s16
	s_subb_u32 s11, s11, s17
	s_add_u32 s6, s6, s16
	s_addc_u32 s7, s7, s17
	s_cmp_lg_u64 s[10:11], 0
	s_cbranch_scc0 .LBB7_1280
.LBB7_1199:                             ; =>This Loop Header: Depth=1
                                        ;     Child Loop BB7_1202 Depth 2
                                        ;     Child Loop BB7_1209 Depth 2
	;; [unrolled: 1-line block ×11, first 2 shown]
	v_cmp_lt_u64_e64 s[0:1], s[10:11], 56
	s_and_b64 s[0:1], s[0:1], exec
	v_cmp_gt_u64_e64 s[0:1], s[10:11], 7
	s_cselect_b32 s17, s11, 0
	s_cselect_b32 s16, s10, 56
	s_and_b64 vcc, exec, s[0:1]
	s_cbranch_vccnz .LBB7_1204
; %bb.1200:                             ;   in Loop: Header=BB7_1199 Depth=1
	s_mov_b64 s[0:1], 0
	s_cmp_eq_u64 s[10:11], 0
	v_mov_b64_e32 v[10:11], 0
	s_cbranch_scc1 .LBB7_1203
; %bb.1201:                             ;   in Loop: Header=BB7_1199 Depth=1
	s_lshl_b64 s[18:19], s[16:17], 3
	s_mov_b64 s[20:21], 0
	v_mov_b64_e32 v[10:11], 0
	s_mov_b64 s[22:23], s[6:7]
.LBB7_1202:                             ;   Parent Loop BB7_1199 Depth=1
                                        ; =>  This Inner Loop Header: Depth=2
	global_load_ubyte v4, v33, s[22:23]
	s_waitcnt vmcnt(0)
	v_and_b32_e32 v32, 0xffff, v4
	v_lshlrev_b64 v[4:5], s20, v[32:33]
	s_add_u32 s20, s20, 8
	s_addc_u32 s21, s21, 0
	s_add_u32 s22, s22, 1
	s_addc_u32 s23, s23, 0
	v_or_b32_e32 v10, v4, v10
	s_cmp_lg_u32 s18, s20
	v_or_b32_e32 v11, v5, v11
	s_cbranch_scc1 .LBB7_1202
.LBB7_1203:                             ;   in Loop: Header=BB7_1199 Depth=1
	s_mov_b32 s15, 0
	s_andn2_b64 vcc, exec, s[0:1]
	s_mov_b64 s[0:1], s[6:7]
	s_cbranch_vccz .LBB7_1205
	s_branch .LBB7_1206
.LBB7_1204:                             ;   in Loop: Header=BB7_1199 Depth=1
                                        ; implicit-def: $vgpr10_vgpr11
                                        ; implicit-def: $sgpr15
	s_mov_b64 s[0:1], s[6:7]
.LBB7_1205:                             ;   in Loop: Header=BB7_1199 Depth=1
	global_load_dwordx2 v[10:11], v33, s[6:7]
	s_add_i32 s15, s16, -8
	s_add_u32 s0, s6, 8
	s_addc_u32 s1, s7, 0
.LBB7_1206:                             ;   in Loop: Header=BB7_1199 Depth=1
	s_cmp_gt_u32 s15, 7
	s_cbranch_scc1 .LBB7_1210
; %bb.1207:                             ;   in Loop: Header=BB7_1199 Depth=1
	s_cmp_eq_u32 s15, 0
	s_cbranch_scc1 .LBB7_1211
; %bb.1208:                             ;   in Loop: Header=BB7_1199 Depth=1
	s_mov_b64 s[18:19], 0
	v_mov_b64_e32 v[12:13], 0
	s_mov_b64 s[20:21], 0
.LBB7_1209:                             ;   Parent Loop BB7_1199 Depth=1
                                        ; =>  This Inner Loop Header: Depth=2
	s_add_u32 s22, s0, s20
	s_addc_u32 s23, s1, s21
	global_load_ubyte v4, v33, s[22:23]
	s_add_u32 s20, s20, 1
	s_addc_u32 s21, s21, 0
	s_waitcnt vmcnt(0)
	v_and_b32_e32 v32, 0xffff, v4
	v_lshlrev_b64 v[4:5], s18, v[32:33]
	s_add_u32 s18, s18, 8
	s_addc_u32 s19, s19, 0
	v_or_b32_e32 v12, v4, v12
	s_cmp_lg_u32 s15, s20
	v_or_b32_e32 v13, v5, v13
	s_cbranch_scc1 .LBB7_1209
	s_branch .LBB7_1212
.LBB7_1210:                             ;   in Loop: Header=BB7_1199 Depth=1
                                        ; implicit-def: $vgpr12_vgpr13
                                        ; implicit-def: $sgpr22
	s_branch .LBB7_1213
.LBB7_1211:                             ;   in Loop: Header=BB7_1199 Depth=1
	v_mov_b64_e32 v[12:13], 0
.LBB7_1212:                             ;   in Loop: Header=BB7_1199 Depth=1
	s_mov_b32 s22, 0
	s_cbranch_execnz .LBB7_1214
.LBB7_1213:                             ;   in Loop: Header=BB7_1199 Depth=1
	global_load_dwordx2 v[12:13], v33, s[0:1]
	s_add_i32 s22, s15, -8
	s_add_u32 s0, s0, 8
	s_addc_u32 s1, s1, 0
.LBB7_1214:                             ;   in Loop: Header=BB7_1199 Depth=1
	s_cmp_gt_u32 s22, 7
	s_cbranch_scc1 .LBB7_1218
; %bb.1215:                             ;   in Loop: Header=BB7_1199 Depth=1
	s_cmp_eq_u32 s22, 0
	s_cbranch_scc1 .LBB7_1219
; %bb.1216:                             ;   in Loop: Header=BB7_1199 Depth=1
	s_mov_b64 s[18:19], 0
	v_mov_b64_e32 v[14:15], 0
	s_mov_b64 s[20:21], 0
.LBB7_1217:                             ;   Parent Loop BB7_1199 Depth=1
                                        ; =>  This Inner Loop Header: Depth=2
	s_add_u32 s24, s0, s20
	s_addc_u32 s25, s1, s21
	global_load_ubyte v4, v33, s[24:25]
	s_add_u32 s20, s20, 1
	s_addc_u32 s21, s21, 0
	s_waitcnt vmcnt(0)
	v_and_b32_e32 v32, 0xffff, v4
	v_lshlrev_b64 v[4:5], s18, v[32:33]
	s_add_u32 s18, s18, 8
	s_addc_u32 s19, s19, 0
	v_or_b32_e32 v14, v4, v14
	s_cmp_lg_u32 s22, s20
	v_or_b32_e32 v15, v5, v15
	s_cbranch_scc1 .LBB7_1217
	s_branch .LBB7_1220
.LBB7_1218:                             ;   in Loop: Header=BB7_1199 Depth=1
                                        ; implicit-def: $sgpr15
	s_branch .LBB7_1221
.LBB7_1219:                             ;   in Loop: Header=BB7_1199 Depth=1
	v_mov_b64_e32 v[14:15], 0
.LBB7_1220:                             ;   in Loop: Header=BB7_1199 Depth=1
	s_mov_b32 s15, 0
	s_cbranch_execnz .LBB7_1222
.LBB7_1221:                             ;   in Loop: Header=BB7_1199 Depth=1
	global_load_dwordx2 v[14:15], v33, s[0:1]
	s_add_i32 s15, s22, -8
	s_add_u32 s0, s0, 8
	s_addc_u32 s1, s1, 0
.LBB7_1222:                             ;   in Loop: Header=BB7_1199 Depth=1
	s_cmp_gt_u32 s15, 7
	s_cbranch_scc1 .LBB7_1226
; %bb.1223:                             ;   in Loop: Header=BB7_1199 Depth=1
	s_cmp_eq_u32 s15, 0
	s_cbranch_scc1 .LBB7_1227
; %bb.1224:                             ;   in Loop: Header=BB7_1199 Depth=1
	s_mov_b64 s[18:19], 0
	v_mov_b64_e32 v[16:17], 0
	s_mov_b64 s[20:21], 0
.LBB7_1225:                             ;   Parent Loop BB7_1199 Depth=1
                                        ; =>  This Inner Loop Header: Depth=2
	s_add_u32 s22, s0, s20
	s_addc_u32 s23, s1, s21
	global_load_ubyte v4, v33, s[22:23]
	s_add_u32 s20, s20, 1
	s_addc_u32 s21, s21, 0
	s_waitcnt vmcnt(0)
	v_and_b32_e32 v32, 0xffff, v4
	v_lshlrev_b64 v[4:5], s18, v[32:33]
	s_add_u32 s18, s18, 8
	s_addc_u32 s19, s19, 0
	v_or_b32_e32 v16, v4, v16
	s_cmp_lg_u32 s15, s20
	v_or_b32_e32 v17, v5, v17
	s_cbranch_scc1 .LBB7_1225
	s_branch .LBB7_1228
.LBB7_1226:                             ;   in Loop: Header=BB7_1199 Depth=1
                                        ; implicit-def: $vgpr16_vgpr17
                                        ; implicit-def: $sgpr22
	s_branch .LBB7_1229
.LBB7_1227:                             ;   in Loop: Header=BB7_1199 Depth=1
	v_mov_b64_e32 v[16:17], 0
.LBB7_1228:                             ;   in Loop: Header=BB7_1199 Depth=1
	s_mov_b32 s22, 0
	s_cbranch_execnz .LBB7_1230
.LBB7_1229:                             ;   in Loop: Header=BB7_1199 Depth=1
	global_load_dwordx2 v[16:17], v33, s[0:1]
	s_add_i32 s22, s15, -8
	s_add_u32 s0, s0, 8
	s_addc_u32 s1, s1, 0
.LBB7_1230:                             ;   in Loop: Header=BB7_1199 Depth=1
	s_cmp_gt_u32 s22, 7
	s_cbranch_scc1 .LBB7_1234
; %bb.1231:                             ;   in Loop: Header=BB7_1199 Depth=1
	s_cmp_eq_u32 s22, 0
	s_cbranch_scc1 .LBB7_1235
; %bb.1232:                             ;   in Loop: Header=BB7_1199 Depth=1
	s_mov_b64 s[18:19], 0
	v_mov_b64_e32 v[18:19], 0
	s_mov_b64 s[20:21], 0
.LBB7_1233:                             ;   Parent Loop BB7_1199 Depth=1
                                        ; =>  This Inner Loop Header: Depth=2
	s_add_u32 s24, s0, s20
	s_addc_u32 s25, s1, s21
	global_load_ubyte v4, v33, s[24:25]
	s_add_u32 s20, s20, 1
	s_addc_u32 s21, s21, 0
	s_waitcnt vmcnt(0)
	v_and_b32_e32 v32, 0xffff, v4
	v_lshlrev_b64 v[4:5], s18, v[32:33]
	s_add_u32 s18, s18, 8
	s_addc_u32 s19, s19, 0
	v_or_b32_e32 v18, v4, v18
	s_cmp_lg_u32 s22, s20
	v_or_b32_e32 v19, v5, v19
	s_cbranch_scc1 .LBB7_1233
	s_branch .LBB7_1236
.LBB7_1234:                             ;   in Loop: Header=BB7_1199 Depth=1
                                        ; implicit-def: $sgpr15
	s_branch .LBB7_1237
.LBB7_1235:                             ;   in Loop: Header=BB7_1199 Depth=1
	v_mov_b64_e32 v[18:19], 0
.LBB7_1236:                             ;   in Loop: Header=BB7_1199 Depth=1
	s_mov_b32 s15, 0
	s_cbranch_execnz .LBB7_1238
.LBB7_1237:                             ;   in Loop: Header=BB7_1199 Depth=1
	global_load_dwordx2 v[18:19], v33, s[0:1]
	s_add_i32 s15, s22, -8
	s_add_u32 s0, s0, 8
	s_addc_u32 s1, s1, 0
.LBB7_1238:                             ;   in Loop: Header=BB7_1199 Depth=1
	s_cmp_gt_u32 s15, 7
	s_cbranch_scc1 .LBB7_1242
; %bb.1239:                             ;   in Loop: Header=BB7_1199 Depth=1
	s_cmp_eq_u32 s15, 0
	s_cbranch_scc1 .LBB7_1243
; %bb.1240:                             ;   in Loop: Header=BB7_1199 Depth=1
	s_mov_b64 s[18:19], 0
	v_mov_b64_e32 v[20:21], 0
	s_mov_b64 s[20:21], 0
.LBB7_1241:                             ;   Parent Loop BB7_1199 Depth=1
                                        ; =>  This Inner Loop Header: Depth=2
	s_add_u32 s22, s0, s20
	s_addc_u32 s23, s1, s21
	global_load_ubyte v4, v33, s[22:23]
	s_add_u32 s20, s20, 1
	s_addc_u32 s21, s21, 0
	s_waitcnt vmcnt(0)
	v_and_b32_e32 v32, 0xffff, v4
	v_lshlrev_b64 v[4:5], s18, v[32:33]
	s_add_u32 s18, s18, 8
	s_addc_u32 s19, s19, 0
	v_or_b32_e32 v20, v4, v20
	s_cmp_lg_u32 s15, s20
	v_or_b32_e32 v21, v5, v21
	s_cbranch_scc1 .LBB7_1241
	s_branch .LBB7_1244
.LBB7_1242:                             ;   in Loop: Header=BB7_1199 Depth=1
                                        ; implicit-def: $vgpr20_vgpr21
                                        ; implicit-def: $sgpr22
	s_branch .LBB7_1245
.LBB7_1243:                             ;   in Loop: Header=BB7_1199 Depth=1
	v_mov_b64_e32 v[20:21], 0
.LBB7_1244:                             ;   in Loop: Header=BB7_1199 Depth=1
	s_mov_b32 s22, 0
	s_cbranch_execnz .LBB7_1246
.LBB7_1245:                             ;   in Loop: Header=BB7_1199 Depth=1
	global_load_dwordx2 v[20:21], v33, s[0:1]
	s_add_i32 s22, s15, -8
	s_add_u32 s0, s0, 8
	s_addc_u32 s1, s1, 0
.LBB7_1246:                             ;   in Loop: Header=BB7_1199 Depth=1
	s_cmp_gt_u32 s22, 7
	s_cbranch_scc1 .LBB7_1250
; %bb.1247:                             ;   in Loop: Header=BB7_1199 Depth=1
	s_cmp_eq_u32 s22, 0
	s_cbranch_scc1 .LBB7_1251
; %bb.1248:                             ;   in Loop: Header=BB7_1199 Depth=1
	s_mov_b64 s[18:19], 0
	v_mov_b64_e32 v[22:23], 0
	s_mov_b64 s[20:21], s[0:1]
.LBB7_1249:                             ;   Parent Loop BB7_1199 Depth=1
                                        ; =>  This Inner Loop Header: Depth=2
	global_load_ubyte v4, v33, s[20:21]
	s_add_i32 s22, s22, -1
	s_waitcnt vmcnt(0)
	v_and_b32_e32 v32, 0xffff, v4
	v_lshlrev_b64 v[4:5], s18, v[32:33]
	s_add_u32 s18, s18, 8
	s_addc_u32 s19, s19, 0
	s_add_u32 s20, s20, 1
	s_addc_u32 s21, s21, 0
	v_or_b32_e32 v22, v4, v22
	s_cmp_lg_u32 s22, 0
	v_or_b32_e32 v23, v5, v23
	s_cbranch_scc1 .LBB7_1249
	s_branch .LBB7_1252
.LBB7_1250:                             ;   in Loop: Header=BB7_1199 Depth=1
	s_branch .LBB7_1253
.LBB7_1251:                             ;   in Loop: Header=BB7_1199 Depth=1
	v_mov_b64_e32 v[22:23], 0
.LBB7_1252:                             ;   in Loop: Header=BB7_1199 Depth=1
	s_cbranch_execnz .LBB7_1254
.LBB7_1253:                             ;   in Loop: Header=BB7_1199 Depth=1
	global_load_dwordx2 v[22:23], v33, s[0:1]
.LBB7_1254:                             ;   in Loop: Header=BB7_1199 Depth=1
	v_readfirstlane_b32 s0, v36
	s_waitcnt vmcnt(0)
	v_mov_b64_e32 v[4:5], 0
	v_cmp_eq_u32_e64 s[0:1], s0, v36
	s_and_saveexec_b64 s[18:19], s[0:1]
	s_cbranch_execz .LBB7_1260
; %bb.1255:                             ;   in Loop: Header=BB7_1199 Depth=1
	global_load_dwordx2 v[26:27], v33, s[2:3] offset:24 sc0 sc1
	s_waitcnt vmcnt(0)
	buffer_inv sc0 sc1
	global_load_dwordx2 v[4:5], v33, s[2:3] offset:40
	global_load_dwordx2 v[8:9], v33, s[2:3]
	s_waitcnt vmcnt(1)
	v_and_b32_e32 v4, v4, v26
	v_and_b32_e32 v5, v5, v27
	v_mul_lo_u32 v5, v5, 24
	v_mul_hi_u32 v24, v4, 24
	v_add_u32_e32 v5, v24, v5
	v_mul_lo_u32 v4, v4, 24
	s_waitcnt vmcnt(0)
	v_lshl_add_u64 v[4:5], v[8:9], 0, v[4:5]
	global_load_dwordx2 v[24:25], v[4:5], off sc0 sc1
	s_waitcnt vmcnt(0)
	global_atomic_cmpswap_x2 v[4:5], v33, v[24:27], s[2:3] offset:24 sc0 sc1
	s_waitcnt vmcnt(0)
	buffer_inv sc0 sc1
	v_cmp_ne_u64_e32 vcc, v[4:5], v[26:27]
	s_and_saveexec_b64 s[20:21], vcc
	s_cbranch_execz .LBB7_1259
; %bb.1256:                             ;   in Loop: Header=BB7_1199 Depth=1
	s_mov_b64 s[22:23], 0
.LBB7_1257:                             ;   Parent Loop BB7_1199 Depth=1
                                        ; =>  This Inner Loop Header: Depth=2
	s_sleep 1
	global_load_dwordx2 v[8:9], v33, s[2:3] offset:40
	global_load_dwordx2 v[24:25], v33, s[2:3]
	v_mov_b64_e32 v[26:27], v[4:5]
	s_waitcnt vmcnt(1)
	v_and_b32_e32 v4, v8, v26
	s_waitcnt vmcnt(0)
	v_mad_u64_u32 v[4:5], s[24:25], v4, 24, v[24:25]
	v_and_b32_e32 v9, v9, v27
	v_mov_b32_e32 v8, v5
	v_mad_u64_u32 v[8:9], s[24:25], v9, 24, v[8:9]
	v_mov_b32_e32 v5, v8
	global_load_dwordx2 v[24:25], v[4:5], off sc0 sc1
	s_waitcnt vmcnt(0)
	global_atomic_cmpswap_x2 v[4:5], v33, v[24:27], s[2:3] offset:24 sc0 sc1
	s_waitcnt vmcnt(0)
	buffer_inv sc0 sc1
	v_cmp_eq_u64_e32 vcc, v[4:5], v[26:27]
	s_or_b64 s[22:23], vcc, s[22:23]
	s_andn2_b64 exec, exec, s[22:23]
	s_cbranch_execnz .LBB7_1257
; %bb.1258:                             ;   in Loop: Header=BB7_1199 Depth=1
	s_or_b64 exec, exec, s[22:23]
.LBB7_1259:                             ;   in Loop: Header=BB7_1199 Depth=1
	s_or_b64 exec, exec, s[20:21]
.LBB7_1260:                             ;   in Loop: Header=BB7_1199 Depth=1
	s_or_b64 exec, exec, s[18:19]
	global_load_dwordx2 v[8:9], v33, s[2:3] offset:40
	global_load_dwordx4 v[24:27], v33, s[2:3]
	v_readfirstlane_b32 s18, v4
	v_readfirstlane_b32 s19, v5
	s_mov_b64 s[20:21], exec
	s_waitcnt vmcnt(1)
	v_readfirstlane_b32 s22, v8
	v_readfirstlane_b32 s23, v9
	s_and_b64 s[22:23], s[18:19], s[22:23]
	s_mul_i32 s15, s23, 24
	s_mul_hi_u32 s24, s22, 24
	s_add_i32 s25, s24, s15
	s_mul_i32 s24, s22, 24
	s_waitcnt vmcnt(0)
	v_lshl_add_u64 v[34:35], v[24:25], 0, s[24:25]
	s_and_saveexec_b64 s[24:25], s[0:1]
	s_cbranch_execz .LBB7_1262
; %bb.1261:                             ;   in Loop: Header=BB7_1199 Depth=1
	v_mov_b64_e32 v[4:5], s[20:21]
	global_store_dwordx4 v[34:35], v[4:7], off offset:8
.LBB7_1262:                             ;   in Loop: Header=BB7_1199 Depth=1
	s_or_b64 exec, exec, s[24:25]
	s_nop 0
	v_or_b32_e32 v5, v2, v30
	v_cmp_gt_u64_e64 vcc, s[10:11], 56
	s_lshl_b32 s15, s16, 2
	s_lshl_b64 s[20:21], s[22:23], 12
	v_cndmask_b32_e32 v2, v5, v2, vcc
	s_add_i32 s15, s15, 28
	v_lshl_add_u64 v[26:27], v[26:27], 0, s[20:21]
	v_or_b32_e32 v4, 0, v3
	s_and_b32 s15, s15, 0x1e0
	v_and_b32_e32 v2, 0xffffff1f, v2
	v_cndmask_b32_e32 v9, v4, v3, vcc
	v_or_b32_e32 v8, s15, v2
	v_readfirstlane_b32 s20, v26
	v_readfirstlane_b32 s21, v27
	s_nop 4
	global_store_dwordx4 v28, v[8:11], s[20:21]
	global_store_dwordx4 v28, v[12:15], s[20:21] offset:16
	global_store_dwordx4 v28, v[16:19], s[20:21] offset:32
	;; [unrolled: 1-line block ×3, first 2 shown]
	s_and_saveexec_b64 s[20:21], s[0:1]
	s_cbranch_execz .LBB7_1270
; %bb.1263:                             ;   in Loop: Header=BB7_1199 Depth=1
	global_load_dwordx2 v[12:13], v33, s[2:3] offset:32 sc0 sc1
	global_load_dwordx2 v[2:3], v33, s[2:3] offset:40
	v_mov_b32_e32 v10, s18
	v_mov_b32_e32 v11, s19
	s_waitcnt vmcnt(0)
	v_readfirstlane_b32 s22, v2
	v_readfirstlane_b32 s23, v3
	s_and_b64 s[22:23], s[22:23], s[18:19]
	s_mul_i32 s15, s23, 24
	s_mul_hi_u32 s23, s22, 24
	s_mul_i32 s22, s22, 24
	s_add_i32 s23, s23, s15
	v_lshl_add_u64 v[8:9], v[24:25], 0, s[22:23]
	global_store_dwordx2 v[8:9], v[12:13], off
	buffer_wbl2 sc0 sc1
	s_waitcnt vmcnt(0)
	global_atomic_cmpswap_x2 v[4:5], v33, v[10:13], s[2:3] offset:32 sc0 sc1
	s_waitcnt vmcnt(0)
	v_cmp_ne_u64_e32 vcc, v[4:5], v[12:13]
	s_and_saveexec_b64 s[22:23], vcc
	s_cbranch_execz .LBB7_1266
; %bb.1264:                             ;   in Loop: Header=BB7_1199 Depth=1
	s_mov_b64 s[24:25], 0
.LBB7_1265:                             ;   Parent Loop BB7_1199 Depth=1
                                        ; =>  This Inner Loop Header: Depth=2
	s_sleep 1
	global_store_dwordx2 v[8:9], v[4:5], off
	v_mov_b32_e32 v2, s18
	v_mov_b32_e32 v3, s19
	buffer_wbl2 sc0 sc1
	s_waitcnt vmcnt(0)
	global_atomic_cmpswap_x2 v[2:3], v33, v[2:5], s[2:3] offset:32 sc0 sc1
	s_waitcnt vmcnt(0)
	v_cmp_eq_u64_e32 vcc, v[2:3], v[4:5]
	s_or_b64 s[24:25], vcc, s[24:25]
	v_mov_b64_e32 v[4:5], v[2:3]
	s_andn2_b64 exec, exec, s[24:25]
	s_cbranch_execnz .LBB7_1265
.LBB7_1266:                             ;   in Loop: Header=BB7_1199 Depth=1
	s_or_b64 exec, exec, s[22:23]
	global_load_dwordx2 v[2:3], v33, s[2:3] offset:16
	s_mov_b64 s[24:25], exec
	v_mbcnt_lo_u32_b32 v4, s24, 0
	v_mbcnt_hi_u32_b32 v4, s25, v4
	v_cmp_eq_u32_e32 vcc, 0, v4
	s_and_saveexec_b64 s[22:23], vcc
	s_cbranch_execz .LBB7_1268
; %bb.1267:                             ;   in Loop: Header=BB7_1199 Depth=1
	s_bcnt1_i32_b64 s15, s[24:25]
	v_mov_b32_e32 v32, s15
	buffer_wbl2 sc0 sc1
	s_waitcnt vmcnt(0)
	global_atomic_add_x2 v[2:3], v[32:33], off offset:8 sc1
.LBB7_1268:                             ;   in Loop: Header=BB7_1199 Depth=1
	s_or_b64 exec, exec, s[22:23]
	s_waitcnt vmcnt(0)
	global_load_dwordx2 v[4:5], v[2:3], off offset:16
	s_waitcnt vmcnt(0)
	v_cmp_eq_u64_e32 vcc, 0, v[4:5]
	s_cbranch_vccnz .LBB7_1270
; %bb.1269:                             ;   in Loop: Header=BB7_1199 Depth=1
	global_load_dword v32, v[2:3], off offset:24
	s_waitcnt vmcnt(0)
	v_and_b32_e32 v2, 0xffffff, v32
	s_nop 0
	v_readfirstlane_b32 m0, v2
	buffer_wbl2 sc0 sc1
	global_store_dwordx2 v[4:5], v[32:33], off sc0 sc1
	s_sendmsg sendmsg(MSG_INTERRUPT)
.LBB7_1270:                             ;   in Loop: Header=BB7_1199 Depth=1
	s_or_b64 exec, exec, s[20:21]
	v_mov_b32_e32 v29, v33
	v_lshl_add_u64 v[2:3], v[26:27], 0, v[28:29]
	s_branch .LBB7_1274
.LBB7_1271:                             ;   in Loop: Header=BB7_1274 Depth=2
	s_or_b64 exec, exec, s[20:21]
	v_readfirstlane_b32 s15, v4
	s_cmp_eq_u32 s15, 0
	s_cbranch_scc1 .LBB7_1273
; %bb.1272:                             ;   in Loop: Header=BB7_1274 Depth=2
	s_sleep 1
	s_cbranch_execnz .LBB7_1274
	s_branch .LBB7_1276
.LBB7_1273:                             ;   in Loop: Header=BB7_1199 Depth=1
	s_branch .LBB7_1276
.LBB7_1274:                             ;   Parent Loop BB7_1199 Depth=1
                                        ; =>  This Inner Loop Header: Depth=2
	v_mov_b32_e32 v4, 1
	s_and_saveexec_b64 s[20:21], s[0:1]
	s_cbranch_execz .LBB7_1271
; %bb.1275:                             ;   in Loop: Header=BB7_1274 Depth=2
	global_load_dword v4, v[34:35], off offset:20 sc0 sc1
	s_waitcnt vmcnt(0)
	buffer_inv sc0 sc1
	v_and_b32_e32 v4, 1, v4
	s_branch .LBB7_1271
.LBB7_1276:                             ;   in Loop: Header=BB7_1199 Depth=1
	global_load_dwordx4 v[2:5], v[2:3], off
	s_and_saveexec_b64 s[20:21], s[0:1]
	s_cbranch_execz .LBB7_1198
; %bb.1277:                             ;   in Loop: Header=BB7_1199 Depth=1
	global_load_dwordx2 v[4:5], v33, s[2:3] offset:40
	global_load_dwordx2 v[12:13], v33, s[2:3] offset:24 sc0 sc1
	global_load_dwordx2 v[14:15], v33, s[2:3]
	s_waitcnt vmcnt(2)
	v_lshl_add_u64 v[8:9], v[4:5], 0, 1
	v_lshl_add_u64 v[16:17], v[8:9], 0, s[18:19]
	v_cmp_eq_u64_e32 vcc, 0, v[16:17]
	s_waitcnt vmcnt(1)
	v_mov_b32_e32 v10, v12
	v_cndmask_b32_e32 v9, v17, v9, vcc
	v_cndmask_b32_e32 v8, v16, v8, vcc
	v_and_b32_e32 v5, v9, v5
	v_and_b32_e32 v4, v8, v4
	v_mul_lo_u32 v5, v5, 24
	v_mul_hi_u32 v11, v4, 24
	v_mul_lo_u32 v4, v4, 24
	v_add_u32_e32 v5, v11, v5
	s_waitcnt vmcnt(0)
	v_lshl_add_u64 v[4:5], v[14:15], 0, v[4:5]
	global_store_dwordx2 v[4:5], v[12:13], off
	v_mov_b32_e32 v11, v13
	buffer_wbl2 sc0 sc1
	s_waitcnt vmcnt(0)
	global_atomic_cmpswap_x2 v[10:11], v33, v[8:11], s[2:3] offset:24 sc0 sc1
	s_waitcnt vmcnt(0)
	v_cmp_ne_u64_e32 vcc, v[10:11], v[12:13]
	s_and_b64 exec, exec, vcc
	s_cbranch_execz .LBB7_1198
; %bb.1278:                             ;   in Loop: Header=BB7_1199 Depth=1
	s_mov_b64 s[0:1], 0
.LBB7_1279:                             ;   Parent Loop BB7_1199 Depth=1
                                        ; =>  This Inner Loop Header: Depth=2
	s_sleep 1
	global_store_dwordx2 v[4:5], v[10:11], off
	buffer_wbl2 sc0 sc1
	s_waitcnt vmcnt(0)
	global_atomic_cmpswap_x2 v[12:13], v33, v[8:11], s[2:3] offset:24 sc0 sc1
	s_waitcnt vmcnt(0)
	v_cmp_eq_u64_e32 vcc, v[12:13], v[10:11]
	s_or_b64 s[0:1], vcc, s[0:1]
	v_mov_b64_e32 v[10:11], v[12:13]
	s_andn2_b64 exec, exec, s[0:1]
	s_cbranch_execnz .LBB7_1279
	s_branch .LBB7_1198
.LBB7_1280:
	s_branch .LBB7_1308
.LBB7_1281:
                                        ; implicit-def: $vgpr2_vgpr3
	s_cbranch_execz .LBB7_1308
; %bb.1282:
	v_readfirstlane_b32 s0, v36
	s_waitcnt vmcnt(0)
	v_mov_b64_e32 v[2:3], 0
	v_cmp_eq_u32_e64 s[0:1], s0, v36
	s_and_saveexec_b64 s[6:7], s[0:1]
	s_cbranch_execz .LBB7_1288
; %bb.1283:
	v_mov_b32_e32 v4, 0
	global_load_dwordx2 v[8:9], v4, s[2:3] offset:24 sc0 sc1
	s_waitcnt vmcnt(0)
	buffer_inv sc0 sc1
	global_load_dwordx2 v[2:3], v4, s[2:3] offset:40
	global_load_dwordx2 v[6:7], v4, s[2:3]
	s_waitcnt vmcnt(1)
	v_and_b32_e32 v2, v2, v8
	v_and_b32_e32 v3, v3, v9
	v_mul_lo_u32 v3, v3, 24
	v_mul_hi_u32 v5, v2, 24
	v_add_u32_e32 v3, v5, v3
	v_mul_lo_u32 v2, v2, 24
	s_waitcnt vmcnt(0)
	v_lshl_add_u64 v[2:3], v[6:7], 0, v[2:3]
	global_load_dwordx2 v[6:7], v[2:3], off sc0 sc1
	s_waitcnt vmcnt(0)
	global_atomic_cmpswap_x2 v[2:3], v4, v[6:9], s[2:3] offset:24 sc0 sc1
	s_waitcnt vmcnt(0)
	buffer_inv sc0 sc1
	v_cmp_ne_u64_e32 vcc, v[2:3], v[8:9]
	s_and_saveexec_b64 s[10:11], vcc
	s_cbranch_execz .LBB7_1287
; %bb.1284:
	s_mov_b64 s[16:17], 0
.LBB7_1285:                             ; =>This Inner Loop Header: Depth=1
	s_sleep 1
	global_load_dwordx2 v[6:7], v4, s[2:3] offset:40
	global_load_dwordx2 v[10:11], v4, s[2:3]
	v_mov_b64_e32 v[8:9], v[2:3]
	s_waitcnt vmcnt(1)
	v_and_b32_e32 v2, v6, v8
	s_waitcnt vmcnt(0)
	v_mad_u64_u32 v[2:3], s[18:19], v2, 24, v[10:11]
	v_and_b32_e32 v5, v7, v9
	v_mov_b32_e32 v6, v3
	v_mad_u64_u32 v[6:7], s[18:19], v5, 24, v[6:7]
	v_mov_b32_e32 v3, v6
	global_load_dwordx2 v[6:7], v[2:3], off sc0 sc1
	s_waitcnt vmcnt(0)
	global_atomic_cmpswap_x2 v[2:3], v4, v[6:9], s[2:3] offset:24 sc0 sc1
	s_waitcnt vmcnt(0)
	buffer_inv sc0 sc1
	v_cmp_eq_u64_e32 vcc, v[2:3], v[8:9]
	s_or_b64 s[16:17], vcc, s[16:17]
	s_andn2_b64 exec, exec, s[16:17]
	s_cbranch_execnz .LBB7_1285
; %bb.1286:
	s_or_b64 exec, exec, s[16:17]
.LBB7_1287:
	s_or_b64 exec, exec, s[10:11]
.LBB7_1288:
	s_or_b64 exec, exec, s[6:7]
	v_mov_b32_e32 v29, 0
	global_load_dwordx2 v[8:9], v29, s[2:3] offset:40
	global_load_dwordx4 v[4:7], v29, s[2:3]
	v_readfirstlane_b32 s6, v2
	v_readfirstlane_b32 s7, v3
	s_mov_b64 s[10:11], exec
	s_waitcnt vmcnt(1)
	v_readfirstlane_b32 s16, v8
	v_readfirstlane_b32 s17, v9
	s_and_b64 s[16:17], s[6:7], s[16:17]
	s_mul_i32 s15, s17, 24
	s_mul_hi_u32 s18, s16, 24
	s_add_i32 s19, s18, s15
	s_mul_i32 s18, s16, 24
	s_waitcnt vmcnt(0)
	v_lshl_add_u64 v[8:9], v[4:5], 0, s[18:19]
	s_and_saveexec_b64 s[18:19], s[0:1]
	s_cbranch_execz .LBB7_1290
; %bb.1289:
	v_mov_b64_e32 v[10:11], s[10:11]
	v_mov_b32_e32 v12, 2
	v_mov_b32_e32 v13, 1
	global_store_dwordx4 v[8:9], v[10:13], off offset:8
.LBB7_1290:
	s_or_b64 exec, exec, s[18:19]
	s_lshl_b64 s[10:11], s[16:17], 12
	v_lshl_add_u64 v[6:7], v[6:7], 0, s[10:11]
	s_movk_i32 s10, 0xff1f
	s_mov_b32 s16, 0
	v_and_or_b32 v0, v0, s10, 32
	v_mov_b32_e32 v2, v29
	v_mov_b32_e32 v3, v29
	v_readfirstlane_b32 s10, v6
	v_readfirstlane_b32 s11, v7
	s_mov_b32 s17, s16
	s_mov_b32 s18, s16
	;; [unrolled: 1-line block ×3, first 2 shown]
	s_nop 1
	global_store_dwordx4 v28, v[0:3], s[10:11]
	s_nop 1
	v_mov_b64_e32 v[0:1], s[16:17]
	v_mov_b64_e32 v[2:3], s[18:19]
	global_store_dwordx4 v28, v[0:3], s[10:11] offset:16
	global_store_dwordx4 v28, v[0:3], s[10:11] offset:32
	;; [unrolled: 1-line block ×3, first 2 shown]
	s_and_saveexec_b64 s[10:11], s[0:1]
	s_cbranch_execz .LBB7_1298
; %bb.1291:
	v_mov_b32_e32 v10, 0
	global_load_dwordx2 v[14:15], v10, s[2:3] offset:32 sc0 sc1
	global_load_dwordx2 v[0:1], v10, s[2:3] offset:40
	v_mov_b32_e32 v12, s6
	v_mov_b32_e32 v13, s7
	s_waitcnt vmcnt(0)
	v_readfirstlane_b32 s16, v0
	v_readfirstlane_b32 s17, v1
	s_and_b64 s[16:17], s[16:17], s[6:7]
	s_mul_i32 s15, s17, 24
	s_mul_hi_u32 s17, s16, 24
	s_mul_i32 s16, s16, 24
	s_add_i32 s17, s17, s15
	v_lshl_add_u64 v[4:5], v[4:5], 0, s[16:17]
	global_store_dwordx2 v[4:5], v[14:15], off
	buffer_wbl2 sc0 sc1
	s_waitcnt vmcnt(0)
	global_atomic_cmpswap_x2 v[2:3], v10, v[12:15], s[2:3] offset:32 sc0 sc1
	s_waitcnt vmcnt(0)
	v_cmp_ne_u64_e32 vcc, v[2:3], v[14:15]
	s_and_saveexec_b64 s[16:17], vcc
	s_cbranch_execz .LBB7_1294
; %bb.1292:
	s_mov_b64 s[18:19], 0
.LBB7_1293:                             ; =>This Inner Loop Header: Depth=1
	s_sleep 1
	global_store_dwordx2 v[4:5], v[2:3], off
	v_mov_b32_e32 v0, s6
	v_mov_b32_e32 v1, s7
	buffer_wbl2 sc0 sc1
	s_waitcnt vmcnt(0)
	global_atomic_cmpswap_x2 v[0:1], v10, v[0:3], s[2:3] offset:32 sc0 sc1
	s_waitcnt vmcnt(0)
	v_cmp_eq_u64_e32 vcc, v[0:1], v[2:3]
	s_or_b64 s[18:19], vcc, s[18:19]
	v_mov_b64_e32 v[2:3], v[0:1]
	s_andn2_b64 exec, exec, s[18:19]
	s_cbranch_execnz .LBB7_1293
.LBB7_1294:
	s_or_b64 exec, exec, s[16:17]
	v_mov_b32_e32 v3, 0
	global_load_dwordx2 v[0:1], v3, s[2:3] offset:16
	s_mov_b64 s[16:17], exec
	v_mbcnt_lo_u32_b32 v2, s16, 0
	v_mbcnt_hi_u32_b32 v2, s17, v2
	v_cmp_eq_u32_e32 vcc, 0, v2
	s_and_saveexec_b64 s[18:19], vcc
	s_cbranch_execz .LBB7_1296
; %bb.1295:
	s_bcnt1_i32_b64 s15, s[16:17]
	v_mov_b32_e32 v2, s15
	buffer_wbl2 sc0 sc1
	s_waitcnt vmcnt(0)
	global_atomic_add_x2 v[0:1], v[2:3], off offset:8 sc1
.LBB7_1296:
	s_or_b64 exec, exec, s[18:19]
	s_waitcnt vmcnt(0)
	global_load_dwordx2 v[2:3], v[0:1], off offset:16
	s_waitcnt vmcnt(0)
	v_cmp_eq_u64_e32 vcc, 0, v[2:3]
	s_cbranch_vccnz .LBB7_1298
; %bb.1297:
	global_load_dword v0, v[0:1], off offset:24
	v_mov_b32_e32 v1, 0
	buffer_wbl2 sc0 sc1
	s_waitcnt vmcnt(0)
	global_store_dwordx2 v[2:3], v[0:1], off sc0 sc1
	v_and_b32_e32 v0, 0xffffff, v0
	s_nop 0
	v_readfirstlane_b32 m0, v0
	s_sendmsg sendmsg(MSG_INTERRUPT)
.LBB7_1298:
	s_or_b64 exec, exec, s[10:11]
	v_lshl_add_u64 v[0:1], v[6:7], 0, v[28:29]
	s_branch .LBB7_1302
.LBB7_1299:                             ;   in Loop: Header=BB7_1302 Depth=1
	s_or_b64 exec, exec, s[10:11]
	v_readfirstlane_b32 s10, v2
	s_cmp_eq_u32 s10, 0
	s_cbranch_scc1 .LBB7_1301
; %bb.1300:                             ;   in Loop: Header=BB7_1302 Depth=1
	s_sleep 1
	s_cbranch_execnz .LBB7_1302
	s_branch .LBB7_1304
.LBB7_1301:
	s_branch .LBB7_1304
.LBB7_1302:                             ; =>This Inner Loop Header: Depth=1
	v_mov_b32_e32 v2, 1
	s_and_saveexec_b64 s[10:11], s[0:1]
	s_cbranch_execz .LBB7_1299
; %bb.1303:                             ;   in Loop: Header=BB7_1302 Depth=1
	global_load_dword v2, v[8:9], off offset:20 sc0 sc1
	s_waitcnt vmcnt(0)
	buffer_inv sc0 sc1
	v_and_b32_e32 v2, 1, v2
	s_branch .LBB7_1299
.LBB7_1304:
	global_load_dwordx2 v[2:3], v[0:1], off
	s_and_saveexec_b64 s[10:11], s[0:1]
	s_cbranch_execz .LBB7_1307
; %bb.1305:
	v_mov_b32_e32 v8, 0
	global_load_dwordx2 v[0:1], v8, s[2:3] offset:40
	global_load_dwordx2 v[10:11], v8, s[2:3] offset:24 sc0 sc1
	global_load_dwordx2 v[12:13], v8, s[2:3]
	s_mov_b64 s[0:1], 0
	s_waitcnt vmcnt(2)
	v_lshl_add_u64 v[4:5], v[0:1], 0, 1
	v_lshl_add_u64 v[14:15], v[4:5], 0, s[6:7]
	v_cmp_eq_u64_e32 vcc, 0, v[14:15]
	s_waitcnt vmcnt(1)
	v_mov_b32_e32 v6, v10
	v_cndmask_b32_e32 v5, v15, v5, vcc
	v_cndmask_b32_e32 v4, v14, v4, vcc
	v_and_b32_e32 v1, v5, v1
	v_and_b32_e32 v0, v4, v0
	v_mul_lo_u32 v1, v1, 24
	v_mul_hi_u32 v7, v0, 24
	v_mul_lo_u32 v0, v0, 24
	v_add_u32_e32 v1, v7, v1
	s_waitcnt vmcnt(0)
	v_lshl_add_u64 v[0:1], v[12:13], 0, v[0:1]
	global_store_dwordx2 v[0:1], v[10:11], off
	v_mov_b32_e32 v7, v11
	buffer_wbl2 sc0 sc1
	s_waitcnt vmcnt(0)
	global_atomic_cmpswap_x2 v[6:7], v8, v[4:7], s[2:3] offset:24 sc0 sc1
	s_waitcnt vmcnt(0)
	v_cmp_ne_u64_e32 vcc, v[6:7], v[10:11]
	s_and_b64 exec, exec, vcc
	s_cbranch_execz .LBB7_1307
.LBB7_1306:                             ; =>This Inner Loop Header: Depth=1
	s_sleep 1
	global_store_dwordx2 v[0:1], v[6:7], off
	buffer_wbl2 sc0 sc1
	s_waitcnt vmcnt(0)
	global_atomic_cmpswap_x2 v[10:11], v8, v[4:7], s[2:3] offset:24 sc0 sc1
	s_waitcnt vmcnt(0)
	v_cmp_eq_u64_e32 vcc, v[10:11], v[6:7]
	s_or_b64 s[0:1], vcc, s[0:1]
	v_mov_b64_e32 v[6:7], v[10:11]
	s_andn2_b64 exec, exec, s[0:1]
	s_cbranch_execnz .LBB7_1306
.LBB7_1307:
	s_or_b64 exec, exec, s[10:11]
.LBB7_1308:
	v_readfirstlane_b32 s0, v36
	s_waitcnt vmcnt(0)
	v_mov_b64_e32 v[0:1], 0
	v_cmp_eq_u32_e64 s[0:1], s0, v36
	s_and_saveexec_b64 s[6:7], s[0:1]
	s_cbranch_execz .LBB7_1314
; %bb.1309:
	v_mov_b32_e32 v4, 0
	global_load_dwordx2 v[8:9], v4, s[2:3] offset:24 sc0 sc1
	s_waitcnt vmcnt(0)
	buffer_inv sc0 sc1
	global_load_dwordx2 v[0:1], v4, s[2:3] offset:40
	global_load_dwordx2 v[6:7], v4, s[2:3]
	s_waitcnt vmcnt(1)
	v_and_b32_e32 v0, v0, v8
	v_and_b32_e32 v1, v1, v9
	v_mul_lo_u32 v1, v1, 24
	v_mul_hi_u32 v5, v0, 24
	v_add_u32_e32 v1, v5, v1
	v_mul_lo_u32 v0, v0, 24
	s_waitcnt vmcnt(0)
	v_lshl_add_u64 v[0:1], v[6:7], 0, v[0:1]
	global_load_dwordx2 v[6:7], v[0:1], off sc0 sc1
	s_waitcnt vmcnt(0)
	global_atomic_cmpswap_x2 v[0:1], v4, v[6:9], s[2:3] offset:24 sc0 sc1
	s_waitcnt vmcnt(0)
	buffer_inv sc0 sc1
	v_cmp_ne_u64_e32 vcc, v[0:1], v[8:9]
	s_and_saveexec_b64 s[10:11], vcc
	s_cbranch_execz .LBB7_1313
; %bb.1310:
	s_mov_b64 s[16:17], 0
.LBB7_1311:                             ; =>This Inner Loop Header: Depth=1
	s_sleep 1
	global_load_dwordx2 v[6:7], v4, s[2:3] offset:40
	global_load_dwordx2 v[10:11], v4, s[2:3]
	v_mov_b64_e32 v[8:9], v[0:1]
	s_waitcnt vmcnt(1)
	v_and_b32_e32 v0, v6, v8
	s_waitcnt vmcnt(0)
	v_mad_u64_u32 v[0:1], s[18:19], v0, 24, v[10:11]
	v_and_b32_e32 v5, v7, v9
	v_mov_b32_e32 v6, v1
	v_mad_u64_u32 v[6:7], s[18:19], v5, 24, v[6:7]
	v_mov_b32_e32 v1, v6
	global_load_dwordx2 v[6:7], v[0:1], off sc0 sc1
	s_waitcnt vmcnt(0)
	global_atomic_cmpswap_x2 v[0:1], v4, v[6:9], s[2:3] offset:24 sc0 sc1
	s_waitcnt vmcnt(0)
	buffer_inv sc0 sc1
	v_cmp_eq_u64_e32 vcc, v[0:1], v[8:9]
	s_or_b64 s[16:17], vcc, s[16:17]
	s_andn2_b64 exec, exec, s[16:17]
	s_cbranch_execnz .LBB7_1311
; %bb.1312:
	s_or_b64 exec, exec, s[16:17]
.LBB7_1313:
	s_or_b64 exec, exec, s[10:11]
.LBB7_1314:
	s_or_b64 exec, exec, s[6:7]
	v_mov_b32_e32 v5, 0
	global_load_dwordx2 v[10:11], v5, s[2:3] offset:40
	global_load_dwordx4 v[6:9], v5, s[2:3]
	v_readfirstlane_b32 s6, v0
	v_readfirstlane_b32 s7, v1
	s_mov_b64 s[10:11], exec
	s_waitcnt vmcnt(1)
	v_readfirstlane_b32 s16, v10
	v_readfirstlane_b32 s17, v11
	s_and_b64 s[16:17], s[6:7], s[16:17]
	s_mul_i32 s15, s17, 24
	s_mul_hi_u32 s18, s16, 24
	s_add_i32 s19, s18, s15
	s_mul_i32 s18, s16, 24
	s_waitcnt vmcnt(0)
	v_lshl_add_u64 v[10:11], v[6:7], 0, s[18:19]
	s_and_saveexec_b64 s[18:19], s[0:1]
	s_cbranch_execz .LBB7_1316
; %bb.1315:
	v_mov_b64_e32 v[12:13], s[10:11]
	v_mov_b32_e32 v14, 2
	v_mov_b32_e32 v15, 1
	global_store_dwordx4 v[10:11], v[12:15], off offset:8
.LBB7_1316:
	s_or_b64 exec, exec, s[18:19]
	s_lshl_b64 s[10:11], s[16:17], 12
	v_lshl_add_u64 v[0:1], v[8:9], 0, s[10:11]
	s_movk_i32 s10, 0xff1d
	s_mov_b32 s16, 0
	v_and_or_b32 v2, v2, s10, 34
	v_mov_b32_e32 v4, 10
	v_readfirstlane_b32 s10, v0
	v_readfirstlane_b32 s11, v1
	s_mov_b32 s17, s16
	s_mov_b32 s18, s16
	;; [unrolled: 1-line block ×3, first 2 shown]
	s_nop 1
	global_store_dwordx4 v28, v[2:5], s[10:11]
	v_mov_b64_e32 v[0:1], s[16:17]
	s_nop 0
	v_mov_b64_e32 v[2:3], s[18:19]
	global_store_dwordx4 v28, v[0:3], s[10:11] offset:16
	global_store_dwordx4 v28, v[0:3], s[10:11] offset:32
	;; [unrolled: 1-line block ×3, first 2 shown]
	s_and_saveexec_b64 s[10:11], s[0:1]
	s_cbranch_execz .LBB7_1324
; %bb.1317:
	v_mov_b32_e32 v8, 0
	global_load_dwordx2 v[14:15], v8, s[2:3] offset:32 sc0 sc1
	global_load_dwordx2 v[0:1], v8, s[2:3] offset:40
	v_mov_b32_e32 v12, s6
	v_mov_b32_e32 v13, s7
	s_waitcnt vmcnt(0)
	v_readfirstlane_b32 s16, v0
	v_readfirstlane_b32 s17, v1
	s_and_b64 s[16:17], s[16:17], s[6:7]
	s_mul_i32 s15, s17, 24
	s_mul_hi_u32 s17, s16, 24
	s_mul_i32 s16, s16, 24
	s_add_i32 s17, s17, s15
	v_lshl_add_u64 v[4:5], v[6:7], 0, s[16:17]
	global_store_dwordx2 v[4:5], v[14:15], off
	buffer_wbl2 sc0 sc1
	s_waitcnt vmcnt(0)
	global_atomic_cmpswap_x2 v[2:3], v8, v[12:15], s[2:3] offset:32 sc0 sc1
	s_waitcnt vmcnt(0)
	v_cmp_ne_u64_e32 vcc, v[2:3], v[14:15]
	s_and_saveexec_b64 s[16:17], vcc
	s_cbranch_execz .LBB7_1320
; %bb.1318:
	s_mov_b64 s[18:19], 0
.LBB7_1319:                             ; =>This Inner Loop Header: Depth=1
	s_sleep 1
	global_store_dwordx2 v[4:5], v[2:3], off
	v_mov_b32_e32 v0, s6
	v_mov_b32_e32 v1, s7
	buffer_wbl2 sc0 sc1
	s_waitcnt vmcnt(0)
	global_atomic_cmpswap_x2 v[0:1], v8, v[0:3], s[2:3] offset:32 sc0 sc1
	s_waitcnt vmcnt(0)
	v_cmp_eq_u64_e32 vcc, v[0:1], v[2:3]
	s_or_b64 s[18:19], vcc, s[18:19]
	v_mov_b64_e32 v[2:3], v[0:1]
	s_andn2_b64 exec, exec, s[18:19]
	s_cbranch_execnz .LBB7_1319
.LBB7_1320:
	s_or_b64 exec, exec, s[16:17]
	v_mov_b32_e32 v3, 0
	global_load_dwordx2 v[0:1], v3, s[2:3] offset:16
	s_mov_b64 s[16:17], exec
	v_mbcnt_lo_u32_b32 v2, s16, 0
	v_mbcnt_hi_u32_b32 v2, s17, v2
	v_cmp_eq_u32_e32 vcc, 0, v2
	s_and_saveexec_b64 s[18:19], vcc
	s_cbranch_execz .LBB7_1322
; %bb.1321:
	s_bcnt1_i32_b64 s15, s[16:17]
	v_mov_b32_e32 v2, s15
	buffer_wbl2 sc0 sc1
	s_waitcnt vmcnt(0)
	global_atomic_add_x2 v[0:1], v[2:3], off offset:8 sc1
.LBB7_1322:
	s_or_b64 exec, exec, s[18:19]
	s_waitcnt vmcnt(0)
	global_load_dwordx2 v[2:3], v[0:1], off offset:16
	s_waitcnt vmcnt(0)
	v_cmp_eq_u64_e32 vcc, 0, v[2:3]
	s_cbranch_vccnz .LBB7_1324
; %bb.1323:
	global_load_dword v0, v[0:1], off offset:24
	v_mov_b32_e32 v1, 0
	buffer_wbl2 sc0 sc1
	s_waitcnt vmcnt(0)
	global_store_dwordx2 v[2:3], v[0:1], off sc0 sc1
	v_and_b32_e32 v0, 0xffffff, v0
	s_nop 0
	v_readfirstlane_b32 m0, v0
	s_sendmsg sendmsg(MSG_INTERRUPT)
.LBB7_1324:
	s_or_b64 exec, exec, s[10:11]
	s_branch .LBB7_1328
.LBB7_1325:                             ;   in Loop: Header=BB7_1328 Depth=1
	s_or_b64 exec, exec, s[10:11]
	v_readfirstlane_b32 s10, v0
	s_cmp_eq_u32 s10, 0
	s_cbranch_scc1 .LBB7_1327
; %bb.1326:                             ;   in Loop: Header=BB7_1328 Depth=1
	s_sleep 1
	s_cbranch_execnz .LBB7_1328
	s_branch .LBB7_1330
.LBB7_1327:
	s_branch .LBB7_1330
.LBB7_1328:                             ; =>This Inner Loop Header: Depth=1
	v_mov_b32_e32 v0, 1
	s_and_saveexec_b64 s[10:11], s[0:1]
	s_cbranch_execz .LBB7_1325
; %bb.1329:                             ;   in Loop: Header=BB7_1328 Depth=1
	global_load_dword v0, v[10:11], off offset:20 sc0 sc1
	s_waitcnt vmcnt(0)
	buffer_inv sc0 sc1
	v_and_b32_e32 v0, 1, v0
	s_branch .LBB7_1325
.LBB7_1330:
	s_and_saveexec_b64 s[10:11], s[0:1]
	s_cbranch_execz .LBB7_1333
; %bb.1331:
	v_mov_b32_e32 v6, 0
	global_load_dwordx2 v[4:5], v6, s[2:3] offset:40
	global_load_dwordx2 v[8:9], v6, s[2:3] offset:24 sc0 sc1
	global_load_dwordx2 v[10:11], v6, s[2:3]
	s_mov_b64 s[0:1], 0
	s_waitcnt vmcnt(2)
	v_lshl_add_u64 v[0:1], v[4:5], 0, 1
	v_lshl_add_u64 v[12:13], v[0:1], 0, s[6:7]
	v_cmp_eq_u64_e32 vcc, 0, v[12:13]
	s_waitcnt vmcnt(1)
	v_mov_b32_e32 v2, v8
	v_cndmask_b32_e32 v1, v13, v1, vcc
	v_cndmask_b32_e32 v0, v12, v0, vcc
	v_and_b32_e32 v3, v1, v5
	v_and_b32_e32 v4, v0, v4
	v_mul_lo_u32 v3, v3, 24
	v_mul_hi_u32 v5, v4, 24
	v_mul_lo_u32 v4, v4, 24
	v_add_u32_e32 v5, v5, v3
	s_waitcnt vmcnt(0)
	v_lshl_add_u64 v[4:5], v[10:11], 0, v[4:5]
	global_store_dwordx2 v[4:5], v[8:9], off
	v_mov_b32_e32 v3, v9
	buffer_wbl2 sc0 sc1
	s_waitcnt vmcnt(0)
	global_atomic_cmpswap_x2 v[2:3], v6, v[0:3], s[2:3] offset:24 sc0 sc1
	s_waitcnt vmcnt(0)
	v_cmp_ne_u64_e32 vcc, v[2:3], v[8:9]
	s_and_b64 exec, exec, vcc
	s_cbranch_execz .LBB7_1333
.LBB7_1332:                             ; =>This Inner Loop Header: Depth=1
	s_sleep 1
	global_store_dwordx2 v[4:5], v[2:3], off
	buffer_wbl2 sc0 sc1
	s_waitcnt vmcnt(0)
	global_atomic_cmpswap_x2 v[8:9], v6, v[0:3], s[2:3] offset:24 sc0 sc1
	s_waitcnt vmcnt(0)
	v_cmp_eq_u64_e32 vcc, v[8:9], v[2:3]
	s_or_b64 s[0:1], vcc, s[0:1]
	v_mov_b64_e32 v[2:3], v[8:9]
	s_andn2_b64 exec, exec, s[0:1]
	s_cbranch_execnz .LBB7_1332
.LBB7_1333:
	s_or_b64 exec, exec, s[10:11]
	v_readfirstlane_b32 s0, v36
	v_mov_b64_e32 v[4:5], 0
	s_nop 0
	v_cmp_eq_u32_e64 s[0:1], s0, v36
	s_and_saveexec_b64 s[6:7], s[0:1]
	s_cbranch_execz .LBB7_1339
; %bb.1334:
	v_mov_b32_e32 v0, 0
	global_load_dwordx2 v[6:7], v0, s[2:3] offset:24 sc0 sc1
	s_waitcnt vmcnt(0)
	buffer_inv sc0 sc1
	global_load_dwordx2 v[2:3], v0, s[2:3] offset:40
	global_load_dwordx2 v[4:5], v0, s[2:3]
	s_waitcnt vmcnt(1)
	v_and_b32_e32 v1, v2, v6
	v_and_b32_e32 v2, v3, v7
	v_mul_lo_u32 v2, v2, 24
	v_mul_hi_u32 v3, v1, 24
	v_add_u32_e32 v3, v3, v2
	v_mul_lo_u32 v2, v1, 24
	s_waitcnt vmcnt(0)
	v_lshl_add_u64 v[2:3], v[4:5], 0, v[2:3]
	global_load_dwordx2 v[4:5], v[2:3], off sc0 sc1
	s_waitcnt vmcnt(0)
	global_atomic_cmpswap_x2 v[4:5], v0, v[4:7], s[2:3] offset:24 sc0 sc1
	s_waitcnt vmcnt(0)
	buffer_inv sc0 sc1
	v_cmp_ne_u64_e32 vcc, v[4:5], v[6:7]
	s_and_saveexec_b64 s[10:11], vcc
	s_cbranch_execz .LBB7_1338
; %bb.1335:
	s_mov_b64 s[16:17], 0
.LBB7_1336:                             ; =>This Inner Loop Header: Depth=1
	s_sleep 1
	global_load_dwordx2 v[2:3], v0, s[2:3] offset:40
	global_load_dwordx2 v[8:9], v0, s[2:3]
	v_mov_b64_e32 v[6:7], v[4:5]
	s_waitcnt vmcnt(1)
	v_and_b32_e32 v2, v2, v6
	v_and_b32_e32 v1, v3, v7
	s_waitcnt vmcnt(0)
	v_mad_u64_u32 v[2:3], s[18:19], v2, 24, v[8:9]
	v_mov_b32_e32 v4, v3
	v_mad_u64_u32 v[4:5], s[18:19], v1, 24, v[4:5]
	v_mov_b32_e32 v3, v4
	global_load_dwordx2 v[4:5], v[2:3], off sc0 sc1
	s_waitcnt vmcnt(0)
	global_atomic_cmpswap_x2 v[4:5], v0, v[4:7], s[2:3] offset:24 sc0 sc1
	s_waitcnt vmcnt(0)
	buffer_inv sc0 sc1
	v_cmp_eq_u64_e32 vcc, v[4:5], v[6:7]
	s_or_b64 s[16:17], vcc, s[16:17]
	s_andn2_b64 exec, exec, s[16:17]
	s_cbranch_execnz .LBB7_1336
; %bb.1337:
	s_or_b64 exec, exec, s[16:17]
.LBB7_1338:
	s_or_b64 exec, exec, s[10:11]
.LBB7_1339:
	s_or_b64 exec, exec, s[6:7]
	v_mov_b32_e32 v29, 0
	global_load_dwordx2 v[6:7], v29, s[2:3] offset:40
	global_load_dwordx4 v[0:3], v29, s[2:3]
	v_readfirstlane_b32 s6, v4
	v_readfirstlane_b32 s7, v5
	s_mov_b64 s[10:11], exec
	s_waitcnt vmcnt(1)
	v_readfirstlane_b32 s16, v6
	v_readfirstlane_b32 s17, v7
	s_and_b64 s[16:17], s[6:7], s[16:17]
	s_mul_i32 s15, s17, 24
	s_mul_hi_u32 s18, s16, 24
	s_add_i32 s19, s18, s15
	s_mul_i32 s18, s16, 24
	s_waitcnt vmcnt(0)
	v_lshl_add_u64 v[4:5], v[0:1], 0, s[18:19]
	s_and_saveexec_b64 s[18:19], s[0:1]
	s_cbranch_execz .LBB7_1341
; %bb.1340:
	v_mov_b64_e32 v[6:7], s[10:11]
	v_mov_b32_e32 v8, 2
	v_mov_b32_e32 v9, 1
	global_store_dwordx4 v[4:5], v[6:9], off offset:8
.LBB7_1341:
	s_or_b64 exec, exec, s[18:19]
	s_lshl_b64 s[10:11], s[16:17], 12
	v_lshl_add_u64 v[6:7], v[2:3], 0, s[10:11]
	s_mov_b32 s16, 0
	v_mov_b32_e32 v8, 33
	v_mov_b32_e32 v9, v29
	;; [unrolled: 1-line block ×4, first 2 shown]
	v_readfirstlane_b32 s10, v6
	v_readfirstlane_b32 s11, v7
	s_mov_b32 s17, s16
	s_mov_b32 s18, s16
	;; [unrolled: 1-line block ×3, first 2 shown]
	s_nop 1
	global_store_dwordx4 v28, v[8:11], s[10:11]
	s_nop 1
	v_mov_b64_e32 v[8:9], s[16:17]
	v_mov_b64_e32 v[10:11], s[18:19]
	global_store_dwordx4 v28, v[8:11], s[10:11] offset:16
	global_store_dwordx4 v28, v[8:11], s[10:11] offset:32
	;; [unrolled: 1-line block ×3, first 2 shown]
	s_and_saveexec_b64 s[10:11], s[0:1]
	s_cbranch_execz .LBB7_1349
; %bb.1342:
	v_mov_b32_e32 v10, 0
	global_load_dwordx2 v[14:15], v10, s[2:3] offset:32 sc0 sc1
	global_load_dwordx2 v[2:3], v10, s[2:3] offset:40
	v_mov_b32_e32 v12, s6
	v_mov_b32_e32 v13, s7
	s_waitcnt vmcnt(0)
	v_readfirstlane_b32 s16, v2
	v_readfirstlane_b32 s17, v3
	s_and_b64 s[16:17], s[16:17], s[6:7]
	s_mul_i32 s15, s17, 24
	s_mul_hi_u32 s17, s16, 24
	s_mul_i32 s16, s16, 24
	s_add_i32 s17, s17, s15
	v_lshl_add_u64 v[8:9], v[0:1], 0, s[16:17]
	global_store_dwordx2 v[8:9], v[14:15], off
	buffer_wbl2 sc0 sc1
	s_waitcnt vmcnt(0)
	global_atomic_cmpswap_x2 v[2:3], v10, v[12:15], s[2:3] offset:32 sc0 sc1
	s_waitcnt vmcnt(0)
	v_cmp_ne_u64_e32 vcc, v[2:3], v[14:15]
	s_and_saveexec_b64 s[16:17], vcc
	s_cbranch_execz .LBB7_1345
; %bb.1343:
	s_mov_b64 s[18:19], 0
.LBB7_1344:                             ; =>This Inner Loop Header: Depth=1
	s_sleep 1
	global_store_dwordx2 v[8:9], v[2:3], off
	v_mov_b32_e32 v0, s6
	v_mov_b32_e32 v1, s7
	buffer_wbl2 sc0 sc1
	s_waitcnt vmcnt(0)
	global_atomic_cmpswap_x2 v[0:1], v10, v[0:3], s[2:3] offset:32 sc0 sc1
	s_waitcnt vmcnt(0)
	v_cmp_eq_u64_e32 vcc, v[0:1], v[2:3]
	s_or_b64 s[18:19], vcc, s[18:19]
	v_mov_b64_e32 v[2:3], v[0:1]
	s_andn2_b64 exec, exec, s[18:19]
	s_cbranch_execnz .LBB7_1344
.LBB7_1345:
	s_or_b64 exec, exec, s[16:17]
	v_mov_b32_e32 v3, 0
	global_load_dwordx2 v[0:1], v3, s[2:3] offset:16
	s_mov_b64 s[16:17], exec
	v_mbcnt_lo_u32_b32 v2, s16, 0
	v_mbcnt_hi_u32_b32 v2, s17, v2
	v_cmp_eq_u32_e32 vcc, 0, v2
	s_and_saveexec_b64 s[18:19], vcc
	s_cbranch_execz .LBB7_1347
; %bb.1346:
	s_bcnt1_i32_b64 s15, s[16:17]
	v_mov_b32_e32 v2, s15
	buffer_wbl2 sc0 sc1
	s_waitcnt vmcnt(0)
	global_atomic_add_x2 v[0:1], v[2:3], off offset:8 sc1
.LBB7_1347:
	s_or_b64 exec, exec, s[18:19]
	s_waitcnt vmcnt(0)
	global_load_dwordx2 v[2:3], v[0:1], off offset:16
	s_waitcnt vmcnt(0)
	v_cmp_eq_u64_e32 vcc, 0, v[2:3]
	s_cbranch_vccnz .LBB7_1349
; %bb.1348:
	global_load_dword v0, v[0:1], off offset:24
	v_mov_b32_e32 v1, 0
	buffer_wbl2 sc0 sc1
	s_waitcnt vmcnt(0)
	global_store_dwordx2 v[2:3], v[0:1], off sc0 sc1
	v_and_b32_e32 v0, 0xffffff, v0
	s_nop 0
	v_readfirstlane_b32 m0, v0
	s_sendmsg sendmsg(MSG_INTERRUPT)
.LBB7_1349:
	s_or_b64 exec, exec, s[10:11]
	v_lshl_add_u64 v[0:1], v[6:7], 0, v[28:29]
	s_branch .LBB7_1353
.LBB7_1350:                             ;   in Loop: Header=BB7_1353 Depth=1
	s_or_b64 exec, exec, s[10:11]
	v_readfirstlane_b32 s10, v2
	s_cmp_eq_u32 s10, 0
	s_cbranch_scc1 .LBB7_1352
; %bb.1351:                             ;   in Loop: Header=BB7_1353 Depth=1
	s_sleep 1
	s_cbranch_execnz .LBB7_1353
	s_branch .LBB7_1355
.LBB7_1352:
	s_branch .LBB7_1355
.LBB7_1353:                             ; =>This Inner Loop Header: Depth=1
	v_mov_b32_e32 v2, 1
	s_and_saveexec_b64 s[10:11], s[0:1]
	s_cbranch_execz .LBB7_1350
; %bb.1354:                             ;   in Loop: Header=BB7_1353 Depth=1
	global_load_dword v2, v[4:5], off offset:20 sc0 sc1
	s_waitcnt vmcnt(0)
	buffer_inv sc0 sc1
	v_and_b32_e32 v2, 1, v2
	s_branch .LBB7_1350
.LBB7_1355:
	global_load_dwordx2 v[4:5], v[0:1], off
	s_and_saveexec_b64 s[10:11], s[0:1]
	s_cbranch_execz .LBB7_1358
; %bb.1356:
	v_mov_b32_e32 v8, 0
	global_load_dwordx2 v[6:7], v8, s[2:3] offset:40
	global_load_dwordx2 v[10:11], v8, s[2:3] offset:24 sc0 sc1
	global_load_dwordx2 v[12:13], v8, s[2:3]
	s_mov_b64 s[0:1], 0
	s_waitcnt vmcnt(2)
	v_lshl_add_u64 v[0:1], v[6:7], 0, 1
	v_lshl_add_u64 v[14:15], v[0:1], 0, s[6:7]
	v_cmp_eq_u64_e32 vcc, 0, v[14:15]
	s_waitcnt vmcnt(1)
	v_mov_b32_e32 v2, v10
	v_cndmask_b32_e32 v1, v15, v1, vcc
	v_cndmask_b32_e32 v0, v14, v0, vcc
	v_and_b32_e32 v3, v1, v7
	v_and_b32_e32 v6, v0, v6
	v_mul_lo_u32 v3, v3, 24
	v_mul_hi_u32 v7, v6, 24
	v_mul_lo_u32 v6, v6, 24
	v_add_u32_e32 v7, v7, v3
	s_waitcnt vmcnt(0)
	v_lshl_add_u64 v[6:7], v[12:13], 0, v[6:7]
	global_store_dwordx2 v[6:7], v[10:11], off
	v_mov_b32_e32 v3, v11
	buffer_wbl2 sc0 sc1
	s_waitcnt vmcnt(0)
	global_atomic_cmpswap_x2 v[2:3], v8, v[0:3], s[2:3] offset:24 sc0 sc1
	s_waitcnt vmcnt(0)
	v_cmp_ne_u64_e32 vcc, v[2:3], v[10:11]
	s_and_b64 exec, exec, vcc
	s_cbranch_execz .LBB7_1358
.LBB7_1357:                             ; =>This Inner Loop Header: Depth=1
	s_sleep 1
	global_store_dwordx2 v[6:7], v[2:3], off
	buffer_wbl2 sc0 sc1
	s_waitcnt vmcnt(0)
	global_atomic_cmpswap_x2 v[10:11], v8, v[0:3], s[2:3] offset:24 sc0 sc1
	s_waitcnt vmcnt(0)
	v_cmp_eq_u64_e32 vcc, v[10:11], v[2:3]
	s_or_b64 s[0:1], vcc, s[0:1]
	v_mov_b64_e32 v[2:3], v[10:11]
	s_andn2_b64 exec, exec, s[0:1]
	s_cbranch_execnz .LBB7_1357
.LBB7_1358:
	s_or_b64 exec, exec, s[10:11]
	s_and_b64 vcc, exec, s[4:5]
	s_cbranch_vccz .LBB7_1443
; %bb.1359:
	s_waitcnt vmcnt(0)
	v_and_b32_e32 v26, 2, v4
	v_mov_b32_e32 v31, 0
	v_and_b32_e32 v0, -3, v4
	v_mov_b32_e32 v1, v5
	s_mov_b64 s[6:7], 3
	v_mov_b32_e32 v8, 2
	v_mov_b32_e32 v9, 1
	s_getpc_b64 s[4:5]
	s_add_u32 s4, s4, .str.5@rel32@lo+4
	s_addc_u32 s5, s5, .str.5@rel32@hi+12
	s_branch .LBB7_1361
.LBB7_1360:                             ;   in Loop: Header=BB7_1361 Depth=1
	s_or_b64 exec, exec, s[18:19]
	s_sub_u32 s6, s6, s10
	s_subb_u32 s7, s7, s11
	s_add_u32 s4, s4, s10
	s_addc_u32 s5, s5, s11
	s_cmp_lg_u64 s[6:7], 0
	s_cbranch_scc0 .LBB7_1442
.LBB7_1361:                             ; =>This Loop Header: Depth=1
                                        ;     Child Loop BB7_1364 Depth 2
                                        ;     Child Loop BB7_1371 Depth 2
	;; [unrolled: 1-line block ×11, first 2 shown]
	v_cmp_lt_u64_e64 s[0:1], s[6:7], 56
	s_and_b64 s[0:1], s[0:1], exec
	v_cmp_gt_u64_e64 s[0:1], s[6:7], 7
	s_cselect_b32 s11, s7, 0
	s_cselect_b32 s10, s6, 56
	s_and_b64 vcc, exec, s[0:1]
	s_cbranch_vccnz .LBB7_1366
; %bb.1362:                             ;   in Loop: Header=BB7_1361 Depth=1
	s_mov_b64 s[0:1], 0
	s_cmp_eq_u64 s[6:7], 0
	s_waitcnt vmcnt(0)
	v_mov_b64_e32 v[2:3], 0
	s_cbranch_scc1 .LBB7_1365
; %bb.1363:                             ;   in Loop: Header=BB7_1361 Depth=1
	s_lshl_b64 s[16:17], s[10:11], 3
	s_mov_b64 s[18:19], 0
	v_mov_b64_e32 v[2:3], 0
	s_mov_b64 s[20:21], s[4:5]
.LBB7_1364:                             ;   Parent Loop BB7_1361 Depth=1
                                        ; =>  This Inner Loop Header: Depth=2
	global_load_ubyte v6, v31, s[20:21]
	s_waitcnt vmcnt(0)
	v_and_b32_e32 v30, 0xffff, v6
	v_lshlrev_b64 v[6:7], s18, v[30:31]
	s_add_u32 s18, s18, 8
	s_addc_u32 s19, s19, 0
	s_add_u32 s20, s20, 1
	s_addc_u32 s21, s21, 0
	v_or_b32_e32 v2, v6, v2
	s_cmp_lg_u32 s16, s18
	v_or_b32_e32 v3, v7, v3
	s_cbranch_scc1 .LBB7_1364
.LBB7_1365:                             ;   in Loop: Header=BB7_1361 Depth=1
	s_mov_b32 s15, 0
	s_andn2_b64 vcc, exec, s[0:1]
	s_mov_b64 s[0:1], s[4:5]
	s_cbranch_vccz .LBB7_1367
	s_branch .LBB7_1368
.LBB7_1366:                             ;   in Loop: Header=BB7_1361 Depth=1
                                        ; implicit-def: $vgpr2_vgpr3
                                        ; implicit-def: $sgpr15
	s_mov_b64 s[0:1], s[4:5]
.LBB7_1367:                             ;   in Loop: Header=BB7_1361 Depth=1
	global_load_dwordx2 v[2:3], v31, s[4:5]
	s_add_i32 s15, s10, -8
	s_add_u32 s0, s4, 8
	s_addc_u32 s1, s5, 0
.LBB7_1368:                             ;   in Loop: Header=BB7_1361 Depth=1
	s_cmp_gt_u32 s15, 7
	s_cbranch_scc1 .LBB7_1372
; %bb.1369:                             ;   in Loop: Header=BB7_1361 Depth=1
	s_cmp_eq_u32 s15, 0
	s_cbranch_scc1 .LBB7_1373
; %bb.1370:                             ;   in Loop: Header=BB7_1361 Depth=1
	s_mov_b64 s[16:17], 0
	v_mov_b64_e32 v[10:11], 0
	s_mov_b64 s[18:19], 0
.LBB7_1371:                             ;   Parent Loop BB7_1361 Depth=1
                                        ; =>  This Inner Loop Header: Depth=2
	s_add_u32 s20, s0, s18
	s_addc_u32 s21, s1, s19
	global_load_ubyte v6, v31, s[20:21]
	s_add_u32 s18, s18, 1
	s_addc_u32 s19, s19, 0
	s_waitcnt vmcnt(0)
	v_and_b32_e32 v30, 0xffff, v6
	v_lshlrev_b64 v[6:7], s16, v[30:31]
	s_add_u32 s16, s16, 8
	s_addc_u32 s17, s17, 0
	v_or_b32_e32 v10, v6, v10
	s_cmp_lg_u32 s15, s18
	v_or_b32_e32 v11, v7, v11
	s_cbranch_scc1 .LBB7_1371
	s_branch .LBB7_1374
.LBB7_1372:                             ;   in Loop: Header=BB7_1361 Depth=1
                                        ; implicit-def: $vgpr10_vgpr11
                                        ; implicit-def: $sgpr20
	s_branch .LBB7_1375
.LBB7_1373:                             ;   in Loop: Header=BB7_1361 Depth=1
	v_mov_b64_e32 v[10:11], 0
.LBB7_1374:                             ;   in Loop: Header=BB7_1361 Depth=1
	s_mov_b32 s20, 0
	s_cbranch_execnz .LBB7_1376
.LBB7_1375:                             ;   in Loop: Header=BB7_1361 Depth=1
	global_load_dwordx2 v[10:11], v31, s[0:1]
	s_add_i32 s20, s15, -8
	s_add_u32 s0, s0, 8
	s_addc_u32 s1, s1, 0
.LBB7_1376:                             ;   in Loop: Header=BB7_1361 Depth=1
	s_cmp_gt_u32 s20, 7
	s_cbranch_scc1 .LBB7_1380
; %bb.1377:                             ;   in Loop: Header=BB7_1361 Depth=1
	s_cmp_eq_u32 s20, 0
	s_cbranch_scc1 .LBB7_1381
; %bb.1378:                             ;   in Loop: Header=BB7_1361 Depth=1
	s_mov_b64 s[16:17], 0
	v_mov_b64_e32 v[12:13], 0
	s_mov_b64 s[18:19], 0
.LBB7_1379:                             ;   Parent Loop BB7_1361 Depth=1
                                        ; =>  This Inner Loop Header: Depth=2
	s_add_u32 s22, s0, s18
	s_addc_u32 s23, s1, s19
	global_load_ubyte v6, v31, s[22:23]
	s_add_u32 s18, s18, 1
	s_addc_u32 s19, s19, 0
	s_waitcnt vmcnt(0)
	v_and_b32_e32 v30, 0xffff, v6
	v_lshlrev_b64 v[6:7], s16, v[30:31]
	s_add_u32 s16, s16, 8
	s_addc_u32 s17, s17, 0
	v_or_b32_e32 v12, v6, v12
	s_cmp_lg_u32 s20, s18
	v_or_b32_e32 v13, v7, v13
	s_cbranch_scc1 .LBB7_1379
	s_branch .LBB7_1382
.LBB7_1380:                             ;   in Loop: Header=BB7_1361 Depth=1
                                        ; implicit-def: $sgpr15
	s_branch .LBB7_1383
.LBB7_1381:                             ;   in Loop: Header=BB7_1361 Depth=1
	v_mov_b64_e32 v[12:13], 0
.LBB7_1382:                             ;   in Loop: Header=BB7_1361 Depth=1
	s_mov_b32 s15, 0
	s_cbranch_execnz .LBB7_1384
.LBB7_1383:                             ;   in Loop: Header=BB7_1361 Depth=1
	global_load_dwordx2 v[12:13], v31, s[0:1]
	s_add_i32 s15, s20, -8
	s_add_u32 s0, s0, 8
	s_addc_u32 s1, s1, 0
.LBB7_1384:                             ;   in Loop: Header=BB7_1361 Depth=1
	s_cmp_gt_u32 s15, 7
	s_cbranch_scc1 .LBB7_1388
; %bb.1385:                             ;   in Loop: Header=BB7_1361 Depth=1
	s_cmp_eq_u32 s15, 0
	s_cbranch_scc1 .LBB7_1389
; %bb.1386:                             ;   in Loop: Header=BB7_1361 Depth=1
	s_mov_b64 s[16:17], 0
	v_mov_b64_e32 v[14:15], 0
	s_mov_b64 s[18:19], 0
.LBB7_1387:                             ;   Parent Loop BB7_1361 Depth=1
                                        ; =>  This Inner Loop Header: Depth=2
	s_add_u32 s20, s0, s18
	s_addc_u32 s21, s1, s19
	global_load_ubyte v6, v31, s[20:21]
	s_add_u32 s18, s18, 1
	s_addc_u32 s19, s19, 0
	s_waitcnt vmcnt(0)
	v_and_b32_e32 v30, 0xffff, v6
	v_lshlrev_b64 v[6:7], s16, v[30:31]
	s_add_u32 s16, s16, 8
	s_addc_u32 s17, s17, 0
	v_or_b32_e32 v14, v6, v14
	s_cmp_lg_u32 s15, s18
	v_or_b32_e32 v15, v7, v15
	s_cbranch_scc1 .LBB7_1387
	s_branch .LBB7_1390
.LBB7_1388:                             ;   in Loop: Header=BB7_1361 Depth=1
                                        ; implicit-def: $vgpr14_vgpr15
                                        ; implicit-def: $sgpr20
	s_branch .LBB7_1391
.LBB7_1389:                             ;   in Loop: Header=BB7_1361 Depth=1
	v_mov_b64_e32 v[14:15], 0
.LBB7_1390:                             ;   in Loop: Header=BB7_1361 Depth=1
	s_mov_b32 s20, 0
	s_cbranch_execnz .LBB7_1392
.LBB7_1391:                             ;   in Loop: Header=BB7_1361 Depth=1
	global_load_dwordx2 v[14:15], v31, s[0:1]
	s_add_i32 s20, s15, -8
	s_add_u32 s0, s0, 8
	s_addc_u32 s1, s1, 0
.LBB7_1392:                             ;   in Loop: Header=BB7_1361 Depth=1
	s_cmp_gt_u32 s20, 7
	s_cbranch_scc1 .LBB7_1396
; %bb.1393:                             ;   in Loop: Header=BB7_1361 Depth=1
	s_cmp_eq_u32 s20, 0
	s_cbranch_scc1 .LBB7_1397
; %bb.1394:                             ;   in Loop: Header=BB7_1361 Depth=1
	s_mov_b64 s[16:17], 0
	v_mov_b64_e32 v[16:17], 0
	s_mov_b64 s[18:19], 0
.LBB7_1395:                             ;   Parent Loop BB7_1361 Depth=1
                                        ; =>  This Inner Loop Header: Depth=2
	s_add_u32 s22, s0, s18
	s_addc_u32 s23, s1, s19
	global_load_ubyte v6, v31, s[22:23]
	s_add_u32 s18, s18, 1
	s_addc_u32 s19, s19, 0
	s_waitcnt vmcnt(0)
	v_and_b32_e32 v30, 0xffff, v6
	v_lshlrev_b64 v[6:7], s16, v[30:31]
	s_add_u32 s16, s16, 8
	s_addc_u32 s17, s17, 0
	v_or_b32_e32 v16, v6, v16
	s_cmp_lg_u32 s20, s18
	v_or_b32_e32 v17, v7, v17
	s_cbranch_scc1 .LBB7_1395
	s_branch .LBB7_1398
.LBB7_1396:                             ;   in Loop: Header=BB7_1361 Depth=1
                                        ; implicit-def: $sgpr15
	s_branch .LBB7_1399
.LBB7_1397:                             ;   in Loop: Header=BB7_1361 Depth=1
	v_mov_b64_e32 v[16:17], 0
.LBB7_1398:                             ;   in Loop: Header=BB7_1361 Depth=1
	s_mov_b32 s15, 0
	s_cbranch_execnz .LBB7_1400
.LBB7_1399:                             ;   in Loop: Header=BB7_1361 Depth=1
	global_load_dwordx2 v[16:17], v31, s[0:1]
	s_add_i32 s15, s20, -8
	s_add_u32 s0, s0, 8
	s_addc_u32 s1, s1, 0
.LBB7_1400:                             ;   in Loop: Header=BB7_1361 Depth=1
	s_cmp_gt_u32 s15, 7
	s_cbranch_scc1 .LBB7_1404
; %bb.1401:                             ;   in Loop: Header=BB7_1361 Depth=1
	s_cmp_eq_u32 s15, 0
	s_cbranch_scc1 .LBB7_1405
; %bb.1402:                             ;   in Loop: Header=BB7_1361 Depth=1
	s_mov_b64 s[16:17], 0
	v_mov_b64_e32 v[18:19], 0
	s_mov_b64 s[18:19], 0
.LBB7_1403:                             ;   Parent Loop BB7_1361 Depth=1
                                        ; =>  This Inner Loop Header: Depth=2
	s_add_u32 s20, s0, s18
	s_addc_u32 s21, s1, s19
	global_load_ubyte v6, v31, s[20:21]
	s_add_u32 s18, s18, 1
	s_addc_u32 s19, s19, 0
	s_waitcnt vmcnt(0)
	v_and_b32_e32 v30, 0xffff, v6
	v_lshlrev_b64 v[6:7], s16, v[30:31]
	s_add_u32 s16, s16, 8
	s_addc_u32 s17, s17, 0
	v_or_b32_e32 v18, v6, v18
	s_cmp_lg_u32 s15, s18
	v_or_b32_e32 v19, v7, v19
	s_cbranch_scc1 .LBB7_1403
	s_branch .LBB7_1406
.LBB7_1404:                             ;   in Loop: Header=BB7_1361 Depth=1
                                        ; implicit-def: $vgpr18_vgpr19
                                        ; implicit-def: $sgpr20
	s_branch .LBB7_1407
.LBB7_1405:                             ;   in Loop: Header=BB7_1361 Depth=1
	v_mov_b64_e32 v[18:19], 0
.LBB7_1406:                             ;   in Loop: Header=BB7_1361 Depth=1
	s_mov_b32 s20, 0
	s_cbranch_execnz .LBB7_1408
.LBB7_1407:                             ;   in Loop: Header=BB7_1361 Depth=1
	global_load_dwordx2 v[18:19], v31, s[0:1]
	s_add_i32 s20, s15, -8
	s_add_u32 s0, s0, 8
	s_addc_u32 s1, s1, 0
.LBB7_1408:                             ;   in Loop: Header=BB7_1361 Depth=1
	s_cmp_gt_u32 s20, 7
	s_cbranch_scc1 .LBB7_1412
; %bb.1409:                             ;   in Loop: Header=BB7_1361 Depth=1
	s_cmp_eq_u32 s20, 0
	s_cbranch_scc1 .LBB7_1413
; %bb.1410:                             ;   in Loop: Header=BB7_1361 Depth=1
	s_mov_b64 s[16:17], 0
	v_mov_b64_e32 v[20:21], 0
	s_mov_b64 s[18:19], s[0:1]
.LBB7_1411:                             ;   Parent Loop BB7_1361 Depth=1
                                        ; =>  This Inner Loop Header: Depth=2
	global_load_ubyte v6, v31, s[18:19]
	s_add_i32 s20, s20, -1
	s_waitcnt vmcnt(0)
	v_and_b32_e32 v30, 0xffff, v6
	v_lshlrev_b64 v[6:7], s16, v[30:31]
	s_add_u32 s16, s16, 8
	s_addc_u32 s17, s17, 0
	s_add_u32 s18, s18, 1
	s_addc_u32 s19, s19, 0
	v_or_b32_e32 v20, v6, v20
	s_cmp_lg_u32 s20, 0
	v_or_b32_e32 v21, v7, v21
	s_cbranch_scc1 .LBB7_1411
	s_branch .LBB7_1414
.LBB7_1412:                             ;   in Loop: Header=BB7_1361 Depth=1
	s_branch .LBB7_1415
.LBB7_1413:                             ;   in Loop: Header=BB7_1361 Depth=1
	v_mov_b64_e32 v[20:21], 0
.LBB7_1414:                             ;   in Loop: Header=BB7_1361 Depth=1
	s_cbranch_execnz .LBB7_1416
.LBB7_1415:                             ;   in Loop: Header=BB7_1361 Depth=1
	global_load_dwordx2 v[20:21], v31, s[0:1]
.LBB7_1416:                             ;   in Loop: Header=BB7_1361 Depth=1
	v_readfirstlane_b32 s0, v36
	v_mov_b64_e32 v[6:7], 0
	s_nop 0
	v_cmp_eq_u32_e64 s[0:1], s0, v36
	s_and_saveexec_b64 s[16:17], s[0:1]
	s_cbranch_execz .LBB7_1422
; %bb.1417:                             ;   in Loop: Header=BB7_1361 Depth=1
	global_load_dwordx2 v[24:25], v31, s[2:3] offset:24 sc0 sc1
	s_waitcnt vmcnt(0)
	buffer_inv sc0 sc1
	global_load_dwordx2 v[6:7], v31, s[2:3] offset:40
	global_load_dwordx2 v[22:23], v31, s[2:3]
	s_waitcnt vmcnt(1)
	v_and_b32_e32 v6, v6, v24
	v_and_b32_e32 v7, v7, v25
	v_mul_lo_u32 v7, v7, 24
	v_mul_hi_u32 v27, v6, 24
	v_add_u32_e32 v7, v27, v7
	v_mul_lo_u32 v6, v6, 24
	s_waitcnt vmcnt(0)
	v_lshl_add_u64 v[6:7], v[22:23], 0, v[6:7]
	global_load_dwordx2 v[22:23], v[6:7], off sc0 sc1
	s_waitcnt vmcnt(0)
	global_atomic_cmpswap_x2 v[6:7], v31, v[22:25], s[2:3] offset:24 sc0 sc1
	s_waitcnt vmcnt(0)
	buffer_inv sc0 sc1
	v_cmp_ne_u64_e32 vcc, v[6:7], v[24:25]
	s_and_saveexec_b64 s[18:19], vcc
	s_cbranch_execz .LBB7_1421
; %bb.1418:                             ;   in Loop: Header=BB7_1361 Depth=1
	s_mov_b64 s[20:21], 0
.LBB7_1419:                             ;   Parent Loop BB7_1361 Depth=1
                                        ; =>  This Inner Loop Header: Depth=2
	s_sleep 1
	global_load_dwordx2 v[22:23], v31, s[2:3] offset:40
	global_load_dwordx2 v[32:33], v31, s[2:3]
	v_mov_b64_e32 v[24:25], v[6:7]
	s_waitcnt vmcnt(1)
	v_and_b32_e32 v6, v22, v24
	s_waitcnt vmcnt(0)
	v_mad_u64_u32 v[6:7], s[22:23], v6, 24, v[32:33]
	v_and_b32_e32 v23, v23, v25
	v_mov_b32_e32 v22, v7
	v_mad_u64_u32 v[22:23], s[22:23], v23, 24, v[22:23]
	v_mov_b32_e32 v7, v22
	global_load_dwordx2 v[22:23], v[6:7], off sc0 sc1
	s_waitcnt vmcnt(0)
	global_atomic_cmpswap_x2 v[6:7], v31, v[22:25], s[2:3] offset:24 sc0 sc1
	s_waitcnt vmcnt(0)
	buffer_inv sc0 sc1
	v_cmp_eq_u64_e32 vcc, v[6:7], v[24:25]
	s_or_b64 s[20:21], vcc, s[20:21]
	s_andn2_b64 exec, exec, s[20:21]
	s_cbranch_execnz .LBB7_1419
; %bb.1420:                             ;   in Loop: Header=BB7_1361 Depth=1
	s_or_b64 exec, exec, s[20:21]
.LBB7_1421:                             ;   in Loop: Header=BB7_1361 Depth=1
	s_or_b64 exec, exec, s[18:19]
.LBB7_1422:                             ;   in Loop: Header=BB7_1361 Depth=1
	s_or_b64 exec, exec, s[16:17]
	global_load_dwordx2 v[32:33], v31, s[2:3] offset:40
	global_load_dwordx4 v[22:25], v31, s[2:3]
	v_readfirstlane_b32 s16, v6
	v_readfirstlane_b32 s17, v7
	s_mov_b64 s[18:19], exec
	s_waitcnt vmcnt(1)
	v_readfirstlane_b32 s20, v32
	v_readfirstlane_b32 s21, v33
	s_and_b64 s[20:21], s[16:17], s[20:21]
	s_mul_i32 s15, s21, 24
	s_mul_hi_u32 s22, s20, 24
	s_add_i32 s23, s22, s15
	s_mul_i32 s22, s20, 24
	s_waitcnt vmcnt(0)
	v_lshl_add_u64 v[32:33], v[22:23], 0, s[22:23]
	s_and_saveexec_b64 s[22:23], s[0:1]
	s_cbranch_execz .LBB7_1424
; %bb.1423:                             ;   in Loop: Header=BB7_1361 Depth=1
	v_mov_b64_e32 v[6:7], s[18:19]
	global_store_dwordx4 v[32:33], v[6:9], off offset:8
.LBB7_1424:                             ;   in Loop: Header=BB7_1361 Depth=1
	s_or_b64 exec, exec, s[22:23]
	s_lshl_b64 s[18:19], s[20:21], 12
	v_lshl_add_u64 v[6:7], v[24:25], 0, s[18:19]
	v_or_b32_e32 v25, v0, v26
	v_cmp_gt_u64_e64 vcc, s[6:7], 56
	s_lshl_b32 s15, s10, 2
	s_add_i32 s15, s15, 28
	v_cndmask_b32_e32 v0, v25, v0, vcc
	v_or_b32_e32 v24, 0, v1
	s_and_b32 s15, s15, 0x1e0
	v_and_b32_e32 v0, 0xffffff1f, v0
	v_cndmask_b32_e32 v1, v24, v1, vcc
	v_or_b32_e32 v0, s15, v0
	v_readfirstlane_b32 s18, v6
	v_readfirstlane_b32 s19, v7
	s_nop 4
	global_store_dwordx4 v28, v[0:3], s[18:19]
	global_store_dwordx4 v28, v[10:13], s[18:19] offset:16
	global_store_dwordx4 v28, v[14:17], s[18:19] offset:32
	;; [unrolled: 1-line block ×3, first 2 shown]
	s_and_saveexec_b64 s[18:19], s[0:1]
	s_cbranch_execz .LBB7_1432
; %bb.1425:                             ;   in Loop: Header=BB7_1361 Depth=1
	global_load_dwordx2 v[14:15], v31, s[2:3] offset:32 sc0 sc1
	global_load_dwordx2 v[0:1], v31, s[2:3] offset:40
	v_mov_b32_e32 v12, s16
	v_mov_b32_e32 v13, s17
	s_waitcnt vmcnt(0)
	v_readfirstlane_b32 s20, v0
	v_readfirstlane_b32 s21, v1
	s_and_b64 s[20:21], s[20:21], s[16:17]
	s_mul_i32 s15, s21, 24
	s_mul_hi_u32 s21, s20, 24
	s_mul_i32 s20, s20, 24
	s_add_i32 s21, s21, s15
	v_lshl_add_u64 v[10:11], v[22:23], 0, s[20:21]
	global_store_dwordx2 v[10:11], v[14:15], off
	buffer_wbl2 sc0 sc1
	s_waitcnt vmcnt(0)
	global_atomic_cmpswap_x2 v[2:3], v31, v[12:15], s[2:3] offset:32 sc0 sc1
	s_waitcnt vmcnt(0)
	v_cmp_ne_u64_e32 vcc, v[2:3], v[14:15]
	s_and_saveexec_b64 s[20:21], vcc
	s_cbranch_execz .LBB7_1428
; %bb.1426:                             ;   in Loop: Header=BB7_1361 Depth=1
	s_mov_b64 s[22:23], 0
.LBB7_1427:                             ;   Parent Loop BB7_1361 Depth=1
                                        ; =>  This Inner Loop Header: Depth=2
	s_sleep 1
	global_store_dwordx2 v[10:11], v[2:3], off
	v_mov_b32_e32 v0, s16
	v_mov_b32_e32 v1, s17
	buffer_wbl2 sc0 sc1
	s_waitcnt vmcnt(0)
	global_atomic_cmpswap_x2 v[0:1], v31, v[0:3], s[2:3] offset:32 sc0 sc1
	s_waitcnt vmcnt(0)
	v_cmp_eq_u64_e32 vcc, v[0:1], v[2:3]
	s_or_b64 s[22:23], vcc, s[22:23]
	v_mov_b64_e32 v[2:3], v[0:1]
	s_andn2_b64 exec, exec, s[22:23]
	s_cbranch_execnz .LBB7_1427
.LBB7_1428:                             ;   in Loop: Header=BB7_1361 Depth=1
	s_or_b64 exec, exec, s[20:21]
	global_load_dwordx2 v[0:1], v31, s[2:3] offset:16
	s_mov_b64 s[22:23], exec
	v_mbcnt_lo_u32_b32 v2, s22, 0
	v_mbcnt_hi_u32_b32 v2, s23, v2
	v_cmp_eq_u32_e32 vcc, 0, v2
	s_and_saveexec_b64 s[20:21], vcc
	s_cbranch_execz .LBB7_1430
; %bb.1429:                             ;   in Loop: Header=BB7_1361 Depth=1
	s_bcnt1_i32_b64 s15, s[22:23]
	v_mov_b32_e32 v30, s15
	buffer_wbl2 sc0 sc1
	s_waitcnt vmcnt(0)
	global_atomic_add_x2 v[0:1], v[30:31], off offset:8 sc1
.LBB7_1430:                             ;   in Loop: Header=BB7_1361 Depth=1
	s_or_b64 exec, exec, s[20:21]
	s_waitcnt vmcnt(0)
	global_load_dwordx2 v[2:3], v[0:1], off offset:16
	s_waitcnt vmcnt(0)
	v_cmp_eq_u64_e32 vcc, 0, v[2:3]
	s_cbranch_vccnz .LBB7_1432
; %bb.1431:                             ;   in Loop: Header=BB7_1361 Depth=1
	global_load_dword v30, v[0:1], off offset:24
	s_waitcnt vmcnt(0)
	v_and_b32_e32 v0, 0xffffff, v30
	s_nop 0
	v_readfirstlane_b32 m0, v0
	buffer_wbl2 sc0 sc1
	global_store_dwordx2 v[2:3], v[30:31], off sc0 sc1
	s_sendmsg sendmsg(MSG_INTERRUPT)
.LBB7_1432:                             ;   in Loop: Header=BB7_1361 Depth=1
	s_or_b64 exec, exec, s[18:19]
	v_mov_b32_e32 v29, v31
	v_lshl_add_u64 v[0:1], v[6:7], 0, v[28:29]
	s_branch .LBB7_1436
.LBB7_1433:                             ;   in Loop: Header=BB7_1436 Depth=2
	s_or_b64 exec, exec, s[18:19]
	v_readfirstlane_b32 s15, v2
	s_cmp_eq_u32 s15, 0
	s_cbranch_scc1 .LBB7_1435
; %bb.1434:                             ;   in Loop: Header=BB7_1436 Depth=2
	s_sleep 1
	s_cbranch_execnz .LBB7_1436
	s_branch .LBB7_1438
.LBB7_1435:                             ;   in Loop: Header=BB7_1361 Depth=1
	s_branch .LBB7_1438
.LBB7_1436:                             ;   Parent Loop BB7_1361 Depth=1
                                        ; =>  This Inner Loop Header: Depth=2
	v_mov_b32_e32 v2, 1
	s_and_saveexec_b64 s[18:19], s[0:1]
	s_cbranch_execz .LBB7_1433
; %bb.1437:                             ;   in Loop: Header=BB7_1436 Depth=2
	global_load_dword v2, v[32:33], off offset:20 sc0 sc1
	s_waitcnt vmcnt(0)
	buffer_inv sc0 sc1
	v_and_b32_e32 v2, 1, v2
	s_branch .LBB7_1433
.LBB7_1438:                             ;   in Loop: Header=BB7_1361 Depth=1
	global_load_dwordx4 v[0:3], v[0:1], off
	s_and_saveexec_b64 s[18:19], s[0:1]
	s_cbranch_execz .LBB7_1360
; %bb.1439:                             ;   in Loop: Header=BB7_1361 Depth=1
	global_load_dwordx2 v[2:3], v31, s[2:3] offset:40
	global_load_dwordx2 v[6:7], v31, s[2:3] offset:24 sc0 sc1
	global_load_dwordx2 v[14:15], v31, s[2:3]
	s_waitcnt vmcnt(2)
	v_lshl_add_u64 v[10:11], v[2:3], 0, 1
	v_lshl_add_u64 v[16:17], v[10:11], 0, s[16:17]
	v_cmp_eq_u64_e32 vcc, 0, v[16:17]
	s_waitcnt vmcnt(1)
	v_mov_b32_e32 v12, v6
	v_cndmask_b32_e32 v11, v17, v11, vcc
	v_cndmask_b32_e32 v10, v16, v10, vcc
	v_and_b32_e32 v3, v11, v3
	v_and_b32_e32 v2, v10, v2
	v_mul_lo_u32 v3, v3, 24
	v_mul_hi_u32 v13, v2, 24
	v_mul_lo_u32 v2, v2, 24
	v_add_u32_e32 v3, v13, v3
	s_waitcnt vmcnt(0)
	v_lshl_add_u64 v[2:3], v[14:15], 0, v[2:3]
	global_store_dwordx2 v[2:3], v[6:7], off
	v_mov_b32_e32 v13, v7
	buffer_wbl2 sc0 sc1
	s_waitcnt vmcnt(0)
	global_atomic_cmpswap_x2 v[12:13], v31, v[10:13], s[2:3] offset:24 sc0 sc1
	s_waitcnt vmcnt(0)
	v_cmp_ne_u64_e32 vcc, v[12:13], v[6:7]
	s_and_b64 exec, exec, vcc
	s_cbranch_execz .LBB7_1360
; %bb.1440:                             ;   in Loop: Header=BB7_1361 Depth=1
	s_mov_b64 s[0:1], 0
.LBB7_1441:                             ;   Parent Loop BB7_1361 Depth=1
                                        ; =>  This Inner Loop Header: Depth=2
	s_sleep 1
	global_store_dwordx2 v[2:3], v[12:13], off
	buffer_wbl2 sc0 sc1
	s_waitcnt vmcnt(0)
	global_atomic_cmpswap_x2 v[6:7], v31, v[10:13], s[2:3] offset:24 sc0 sc1
	s_waitcnt vmcnt(0)
	v_cmp_eq_u64_e32 vcc, v[6:7], v[12:13]
	s_or_b64 s[0:1], vcc, s[0:1]
	v_mov_b64_e32 v[12:13], v[6:7]
	s_andn2_b64 exec, exec, s[0:1]
	s_cbranch_execnz .LBB7_1441
	s_branch .LBB7_1360
.LBB7_1442:
	s_branch .LBB7_1470
.LBB7_1443:
                                        ; implicit-def: $vgpr0_vgpr1
	s_cbranch_execz .LBB7_1470
; %bb.1444:
	v_readfirstlane_b32 s0, v36
	v_mov_b64_e32 v[6:7], 0
	s_nop 0
	v_cmp_eq_u32_e64 s[0:1], s0, v36
	s_and_saveexec_b64 s[4:5], s[0:1]
	s_cbranch_execz .LBB7_1450
; %bb.1445:
	s_waitcnt vmcnt(0)
	v_mov_b32_e32 v0, 0
	global_load_dwordx2 v[8:9], v0, s[2:3] offset:24 sc0 sc1
	s_waitcnt vmcnt(0)
	buffer_inv sc0 sc1
	global_load_dwordx2 v[2:3], v0, s[2:3] offset:40
	global_load_dwordx2 v[6:7], v0, s[2:3]
	s_waitcnt vmcnt(1)
	v_and_b32_e32 v1, v2, v8
	v_and_b32_e32 v2, v3, v9
	v_mul_lo_u32 v2, v2, 24
	v_mul_hi_u32 v3, v1, 24
	v_add_u32_e32 v3, v3, v2
	v_mul_lo_u32 v2, v1, 24
	s_waitcnt vmcnt(0)
	v_lshl_add_u64 v[2:3], v[6:7], 0, v[2:3]
	global_load_dwordx2 v[6:7], v[2:3], off sc0 sc1
	s_waitcnt vmcnt(0)
	global_atomic_cmpswap_x2 v[6:7], v0, v[6:9], s[2:3] offset:24 sc0 sc1
	s_waitcnt vmcnt(0)
	buffer_inv sc0 sc1
	v_cmp_ne_u64_e32 vcc, v[6:7], v[8:9]
	s_and_saveexec_b64 s[6:7], vcc
	s_cbranch_execz .LBB7_1449
; %bb.1446:
	s_mov_b64 s[10:11], 0
.LBB7_1447:                             ; =>This Inner Loop Header: Depth=1
	s_sleep 1
	global_load_dwordx2 v[2:3], v0, s[2:3] offset:40
	global_load_dwordx2 v[10:11], v0, s[2:3]
	v_mov_b64_e32 v[8:9], v[6:7]
	s_waitcnt vmcnt(1)
	v_and_b32_e32 v2, v2, v8
	v_and_b32_e32 v1, v3, v9
	s_waitcnt vmcnt(0)
	v_mad_u64_u32 v[2:3], s[16:17], v2, 24, v[10:11]
	v_mov_b32_e32 v6, v3
	v_mad_u64_u32 v[6:7], s[16:17], v1, 24, v[6:7]
	v_mov_b32_e32 v3, v6
	global_load_dwordx2 v[6:7], v[2:3], off sc0 sc1
	s_waitcnt vmcnt(0)
	global_atomic_cmpswap_x2 v[6:7], v0, v[6:9], s[2:3] offset:24 sc0 sc1
	s_waitcnt vmcnt(0)
	buffer_inv sc0 sc1
	v_cmp_eq_u64_e32 vcc, v[6:7], v[8:9]
	s_or_b64 s[10:11], vcc, s[10:11]
	s_andn2_b64 exec, exec, s[10:11]
	s_cbranch_execnz .LBB7_1447
; %bb.1448:
	s_or_b64 exec, exec, s[10:11]
.LBB7_1449:
	s_or_b64 exec, exec, s[6:7]
.LBB7_1450:
	s_or_b64 exec, exec, s[4:5]
	v_mov_b32_e32 v29, 0
	global_load_dwordx2 v[8:9], v29, s[2:3] offset:40
	global_load_dwordx4 v[0:3], v29, s[2:3]
	v_readfirstlane_b32 s4, v6
	v_readfirstlane_b32 s5, v7
	s_mov_b64 s[6:7], exec
	s_waitcnt vmcnt(1)
	v_readfirstlane_b32 s10, v8
	v_readfirstlane_b32 s11, v9
	s_and_b64 s[10:11], s[4:5], s[10:11]
	s_mul_i32 s15, s11, 24
	s_mul_hi_u32 s16, s10, 24
	s_add_i32 s17, s16, s15
	s_mul_i32 s16, s10, 24
	s_waitcnt vmcnt(0)
	v_lshl_add_u64 v[8:9], v[0:1], 0, s[16:17]
	s_and_saveexec_b64 s[16:17], s[0:1]
	s_cbranch_execz .LBB7_1452
; %bb.1451:
	v_mov_b64_e32 v[10:11], s[6:7]
	v_mov_b32_e32 v12, 2
	v_mov_b32_e32 v13, 1
	global_store_dwordx4 v[8:9], v[10:13], off offset:8
.LBB7_1452:
	s_or_b64 exec, exec, s[16:17]
	s_lshl_b64 s[6:7], s[10:11], 12
	v_lshl_add_u64 v[10:11], v[2:3], 0, s[6:7]
	s_movk_i32 s6, 0xff1f
	s_mov_b32 s16, 0
	v_and_or_b32 v4, v4, s6, 32
	v_mov_b32_e32 v6, v29
	v_mov_b32_e32 v7, v29
	v_readfirstlane_b32 s6, v10
	v_readfirstlane_b32 s7, v11
	s_mov_b32 s17, s16
	s_mov_b32 s18, s16
	;; [unrolled: 1-line block ×3, first 2 shown]
	s_nop 1
	global_store_dwordx4 v28, v[4:7], s[6:7]
	v_mov_b64_e32 v[2:3], s[16:17]
	s_nop 0
	v_mov_b64_e32 v[4:5], s[18:19]
	global_store_dwordx4 v28, v[2:5], s[6:7] offset:16
	global_store_dwordx4 v28, v[2:5], s[6:7] offset:32
	;; [unrolled: 1-line block ×3, first 2 shown]
	s_and_saveexec_b64 s[6:7], s[0:1]
	s_cbranch_execz .LBB7_1460
; %bb.1453:
	v_mov_b32_e32 v6, 0
	global_load_dwordx2 v[14:15], v6, s[2:3] offset:32 sc0 sc1
	global_load_dwordx2 v[2:3], v6, s[2:3] offset:40
	v_mov_b32_e32 v12, s4
	v_mov_b32_e32 v13, s5
	s_waitcnt vmcnt(0)
	v_readfirstlane_b32 s10, v2
	v_readfirstlane_b32 s11, v3
	s_and_b64 s[10:11], s[10:11], s[4:5]
	s_mul_i32 s11, s11, 24
	s_mul_hi_u32 s15, s10, 24
	s_mul_i32 s10, s10, 24
	s_add_i32 s11, s15, s11
	v_lshl_add_u64 v[4:5], v[0:1], 0, s[10:11]
	global_store_dwordx2 v[4:5], v[14:15], off
	buffer_wbl2 sc0 sc1
	s_waitcnt vmcnt(0)
	global_atomic_cmpswap_x2 v[2:3], v6, v[12:15], s[2:3] offset:32 sc0 sc1
	s_waitcnt vmcnt(0)
	v_cmp_ne_u64_e32 vcc, v[2:3], v[14:15]
	s_and_saveexec_b64 s[10:11], vcc
	s_cbranch_execz .LBB7_1456
; %bb.1454:
	s_mov_b64 s[16:17], 0
.LBB7_1455:                             ; =>This Inner Loop Header: Depth=1
	s_sleep 1
	global_store_dwordx2 v[4:5], v[2:3], off
	v_mov_b32_e32 v0, s4
	v_mov_b32_e32 v1, s5
	buffer_wbl2 sc0 sc1
	s_waitcnt vmcnt(0)
	global_atomic_cmpswap_x2 v[0:1], v6, v[0:3], s[2:3] offset:32 sc0 sc1
	s_waitcnt vmcnt(0)
	v_cmp_eq_u64_e32 vcc, v[0:1], v[2:3]
	s_or_b64 s[16:17], vcc, s[16:17]
	v_mov_b64_e32 v[2:3], v[0:1]
	s_andn2_b64 exec, exec, s[16:17]
	s_cbranch_execnz .LBB7_1455
.LBB7_1456:
	s_or_b64 exec, exec, s[10:11]
	v_mov_b32_e32 v3, 0
	global_load_dwordx2 v[0:1], v3, s[2:3] offset:16
	s_mov_b64 s[10:11], exec
	v_mbcnt_lo_u32_b32 v2, s10, 0
	v_mbcnt_hi_u32_b32 v2, s11, v2
	v_cmp_eq_u32_e32 vcc, 0, v2
	s_and_saveexec_b64 s[16:17], vcc
	s_cbranch_execz .LBB7_1458
; %bb.1457:
	s_bcnt1_i32_b64 s10, s[10:11]
	v_mov_b32_e32 v2, s10
	buffer_wbl2 sc0 sc1
	s_waitcnt vmcnt(0)
	global_atomic_add_x2 v[0:1], v[2:3], off offset:8 sc1
.LBB7_1458:
	s_or_b64 exec, exec, s[16:17]
	s_waitcnt vmcnt(0)
	global_load_dwordx2 v[2:3], v[0:1], off offset:16
	s_waitcnt vmcnt(0)
	v_cmp_eq_u64_e32 vcc, 0, v[2:3]
	s_cbranch_vccnz .LBB7_1460
; %bb.1459:
	global_load_dword v0, v[0:1], off offset:24
	v_mov_b32_e32 v1, 0
	buffer_wbl2 sc0 sc1
	s_waitcnt vmcnt(0)
	global_store_dwordx2 v[2:3], v[0:1], off sc0 sc1
	v_and_b32_e32 v0, 0xffffff, v0
	s_nop 0
	v_readfirstlane_b32 m0, v0
	s_sendmsg sendmsg(MSG_INTERRUPT)
.LBB7_1460:
	s_or_b64 exec, exec, s[6:7]
	v_lshl_add_u64 v[0:1], v[10:11], 0, v[28:29]
	s_branch .LBB7_1464
.LBB7_1461:                             ;   in Loop: Header=BB7_1464 Depth=1
	s_or_b64 exec, exec, s[6:7]
	v_readfirstlane_b32 s6, v2
	s_cmp_eq_u32 s6, 0
	s_cbranch_scc1 .LBB7_1463
; %bb.1462:                             ;   in Loop: Header=BB7_1464 Depth=1
	s_sleep 1
	s_cbranch_execnz .LBB7_1464
	s_branch .LBB7_1466
.LBB7_1463:
	s_branch .LBB7_1466
.LBB7_1464:                             ; =>This Inner Loop Header: Depth=1
	v_mov_b32_e32 v2, 1
	s_and_saveexec_b64 s[6:7], s[0:1]
	s_cbranch_execz .LBB7_1461
; %bb.1465:                             ;   in Loop: Header=BB7_1464 Depth=1
	global_load_dword v2, v[8:9], off offset:20 sc0 sc1
	s_waitcnt vmcnt(0)
	buffer_inv sc0 sc1
	v_and_b32_e32 v2, 1, v2
	s_branch .LBB7_1461
.LBB7_1466:
	global_load_dwordx2 v[0:1], v[0:1], off
	s_and_saveexec_b64 s[6:7], s[0:1]
	s_cbranch_execz .LBB7_1469
; %bb.1467:
	v_mov_b32_e32 v8, 0
	global_load_dwordx2 v[6:7], v8, s[2:3] offset:40
	global_load_dwordx2 v[10:11], v8, s[2:3] offset:24 sc0 sc1
	global_load_dwordx2 v[12:13], v8, s[2:3]
	s_mov_b64 s[0:1], 0
	s_waitcnt vmcnt(2)
	v_lshl_add_u64 v[2:3], v[6:7], 0, 1
	v_lshl_add_u64 v[14:15], v[2:3], 0, s[4:5]
	v_cmp_eq_u64_e32 vcc, 0, v[14:15]
	s_waitcnt vmcnt(1)
	v_mov_b32_e32 v4, v10
	v_cndmask_b32_e32 v3, v15, v3, vcc
	v_cndmask_b32_e32 v2, v14, v2, vcc
	v_and_b32_e32 v5, v3, v7
	v_and_b32_e32 v6, v2, v6
	v_mul_lo_u32 v5, v5, 24
	v_mul_hi_u32 v7, v6, 24
	v_mul_lo_u32 v6, v6, 24
	v_add_u32_e32 v7, v7, v5
	s_waitcnt vmcnt(0)
	v_lshl_add_u64 v[6:7], v[12:13], 0, v[6:7]
	global_store_dwordx2 v[6:7], v[10:11], off
	v_mov_b32_e32 v5, v11
	buffer_wbl2 sc0 sc1
	s_waitcnt vmcnt(0)
	global_atomic_cmpswap_x2 v[4:5], v8, v[2:5], s[2:3] offset:24 sc0 sc1
	s_waitcnt vmcnt(0)
	v_cmp_ne_u64_e32 vcc, v[4:5], v[10:11]
	s_and_b64 exec, exec, vcc
	s_cbranch_execz .LBB7_1469
.LBB7_1468:                             ; =>This Inner Loop Header: Depth=1
	s_sleep 1
	global_store_dwordx2 v[6:7], v[4:5], off
	buffer_wbl2 sc0 sc1
	s_waitcnt vmcnt(0)
	global_atomic_cmpswap_x2 v[10:11], v8, v[2:5], s[2:3] offset:24 sc0 sc1
	s_waitcnt vmcnt(0)
	v_cmp_eq_u64_e32 vcc, v[10:11], v[4:5]
	s_or_b64 s[0:1], vcc, s[0:1]
	v_mov_b64_e32 v[4:5], v[10:11]
	s_andn2_b64 exec, exec, s[0:1]
	s_cbranch_execnz .LBB7_1468
.LBB7_1469:
	s_or_b64 exec, exec, s[6:7]
.LBB7_1470:
	s_getpc_b64 s[4:5]
	s_add_u32 s4, s4, .str.2@rel32@lo+4
	s_addc_u32 s5, s5, .str.2@rel32@hi+12
	s_cmp_lg_u64 s[4:5], 0
	s_cbranch_scc0 .LBB7_1555
; %bb.1471:
	s_waitcnt vmcnt(0)
	v_and_b32_e32 v6, -3, v0
	v_mov_b32_e32 v7, v1
	s_mov_b64 s[6:7], 13
	v_mov_b32_e32 v27, 0
	v_mov_b32_e32 v4, 2
	;; [unrolled: 1-line block ×3, first 2 shown]
	s_branch .LBB7_1473
.LBB7_1472:                             ;   in Loop: Header=BB7_1473 Depth=1
	s_or_b64 exec, exec, s[18:19]
	s_sub_u32 s6, s6, s10
	s_subb_u32 s7, s7, s11
	s_add_u32 s4, s4, s10
	s_addc_u32 s5, s5, s11
	s_cmp_lg_u64 s[6:7], 0
	s_cbranch_scc0 .LBB7_1554
.LBB7_1473:                             ; =>This Loop Header: Depth=1
                                        ;     Child Loop BB7_1476 Depth 2
                                        ;     Child Loop BB7_1483 Depth 2
                                        ;     Child Loop BB7_1491 Depth 2
                                        ;     Child Loop BB7_1499 Depth 2
                                        ;     Child Loop BB7_1507 Depth 2
                                        ;     Child Loop BB7_1515 Depth 2
                                        ;     Child Loop BB7_1523 Depth 2
                                        ;     Child Loop BB7_1531 Depth 2
                                        ;     Child Loop BB7_1539 Depth 2
                                        ;     Child Loop BB7_1548 Depth 2
                                        ;     Child Loop BB7_1553 Depth 2
	v_cmp_lt_u64_e64 s[0:1], s[6:7], 56
	s_and_b64 s[0:1], s[0:1], exec
	v_cmp_gt_u64_e64 s[0:1], s[6:7], 7
	s_cselect_b32 s11, s7, 0
	s_cselect_b32 s10, s6, 56
	s_and_b64 vcc, exec, s[0:1]
	s_cbranch_vccnz .LBB7_1478
; %bb.1474:                             ;   in Loop: Header=BB7_1473 Depth=1
	s_mov_b64 s[0:1], 0
	s_cmp_eq_u64 s[6:7], 0
	s_waitcnt vmcnt(0)
	v_mov_b64_e32 v[8:9], 0
	s_cbranch_scc1 .LBB7_1477
; %bb.1475:                             ;   in Loop: Header=BB7_1473 Depth=1
	s_lshl_b64 s[16:17], s[10:11], 3
	s_mov_b64 s[18:19], 0
	v_mov_b64_e32 v[8:9], 0
	s_mov_b64 s[20:21], s[4:5]
.LBB7_1476:                             ;   Parent Loop BB7_1473 Depth=1
                                        ; =>  This Inner Loop Header: Depth=2
	global_load_ubyte v2, v27, s[20:21]
	s_waitcnt vmcnt(0)
	v_and_b32_e32 v26, 0xffff, v2
	v_lshlrev_b64 v[2:3], s18, v[26:27]
	s_add_u32 s18, s18, 8
	s_addc_u32 s19, s19, 0
	s_add_u32 s20, s20, 1
	s_addc_u32 s21, s21, 0
	v_or_b32_e32 v8, v2, v8
	s_cmp_lg_u32 s16, s18
	v_or_b32_e32 v9, v3, v9
	s_cbranch_scc1 .LBB7_1476
.LBB7_1477:                             ;   in Loop: Header=BB7_1473 Depth=1
	s_mov_b32 s15, 0
	s_andn2_b64 vcc, exec, s[0:1]
	s_mov_b64 s[0:1], s[4:5]
	s_cbranch_vccz .LBB7_1479
	s_branch .LBB7_1480
.LBB7_1478:                             ;   in Loop: Header=BB7_1473 Depth=1
                                        ; implicit-def: $sgpr15
	s_mov_b64 s[0:1], s[4:5]
.LBB7_1479:                             ;   in Loop: Header=BB7_1473 Depth=1
	global_load_dwordx2 v[8:9], v27, s[4:5]
	s_add_i32 s15, s10, -8
	s_add_u32 s0, s4, 8
	s_addc_u32 s1, s5, 0
.LBB7_1480:                             ;   in Loop: Header=BB7_1473 Depth=1
	s_cmp_gt_u32 s15, 7
	s_cbranch_scc1 .LBB7_1484
; %bb.1481:                             ;   in Loop: Header=BB7_1473 Depth=1
	s_cmp_eq_u32 s15, 0
	s_cbranch_scc1 .LBB7_1485
; %bb.1482:                             ;   in Loop: Header=BB7_1473 Depth=1
	s_mov_b64 s[16:17], 0
	v_mov_b64_e32 v[10:11], 0
	s_mov_b64 s[18:19], 0
.LBB7_1483:                             ;   Parent Loop BB7_1473 Depth=1
                                        ; =>  This Inner Loop Header: Depth=2
	s_add_u32 s20, s0, s18
	s_addc_u32 s21, s1, s19
	global_load_ubyte v2, v27, s[20:21]
	s_add_u32 s18, s18, 1
	s_addc_u32 s19, s19, 0
	s_waitcnt vmcnt(0)
	v_and_b32_e32 v26, 0xffff, v2
	v_lshlrev_b64 v[2:3], s16, v[26:27]
	s_add_u32 s16, s16, 8
	s_addc_u32 s17, s17, 0
	v_or_b32_e32 v10, v2, v10
	s_cmp_lg_u32 s15, s18
	v_or_b32_e32 v11, v3, v11
	s_cbranch_scc1 .LBB7_1483
	s_branch .LBB7_1486
.LBB7_1484:                             ;   in Loop: Header=BB7_1473 Depth=1
                                        ; implicit-def: $vgpr10_vgpr11
                                        ; implicit-def: $sgpr20
	s_branch .LBB7_1487
.LBB7_1485:                             ;   in Loop: Header=BB7_1473 Depth=1
	v_mov_b64_e32 v[10:11], 0
.LBB7_1486:                             ;   in Loop: Header=BB7_1473 Depth=1
	s_mov_b32 s20, 0
	s_cbranch_execnz .LBB7_1488
.LBB7_1487:                             ;   in Loop: Header=BB7_1473 Depth=1
	global_load_dwordx2 v[10:11], v27, s[0:1]
	s_add_i32 s20, s15, -8
	s_add_u32 s0, s0, 8
	s_addc_u32 s1, s1, 0
.LBB7_1488:                             ;   in Loop: Header=BB7_1473 Depth=1
	s_cmp_gt_u32 s20, 7
	s_cbranch_scc1 .LBB7_1492
; %bb.1489:                             ;   in Loop: Header=BB7_1473 Depth=1
	s_cmp_eq_u32 s20, 0
	s_cbranch_scc1 .LBB7_1493
; %bb.1490:                             ;   in Loop: Header=BB7_1473 Depth=1
	s_mov_b64 s[16:17], 0
	v_mov_b64_e32 v[12:13], 0
	s_mov_b64 s[18:19], 0
.LBB7_1491:                             ;   Parent Loop BB7_1473 Depth=1
                                        ; =>  This Inner Loop Header: Depth=2
	s_add_u32 s22, s0, s18
	s_addc_u32 s23, s1, s19
	global_load_ubyte v2, v27, s[22:23]
	s_add_u32 s18, s18, 1
	s_addc_u32 s19, s19, 0
	s_waitcnt vmcnt(0)
	v_and_b32_e32 v26, 0xffff, v2
	v_lshlrev_b64 v[2:3], s16, v[26:27]
	s_add_u32 s16, s16, 8
	s_addc_u32 s17, s17, 0
	v_or_b32_e32 v12, v2, v12
	s_cmp_lg_u32 s20, s18
	v_or_b32_e32 v13, v3, v13
	s_cbranch_scc1 .LBB7_1491
	s_branch .LBB7_1494
.LBB7_1492:                             ;   in Loop: Header=BB7_1473 Depth=1
                                        ; implicit-def: $sgpr15
	s_branch .LBB7_1495
.LBB7_1493:                             ;   in Loop: Header=BB7_1473 Depth=1
	v_mov_b64_e32 v[12:13], 0
.LBB7_1494:                             ;   in Loop: Header=BB7_1473 Depth=1
	s_mov_b32 s15, 0
	s_cbranch_execnz .LBB7_1496
.LBB7_1495:                             ;   in Loop: Header=BB7_1473 Depth=1
	global_load_dwordx2 v[12:13], v27, s[0:1]
	s_add_i32 s15, s20, -8
	s_add_u32 s0, s0, 8
	s_addc_u32 s1, s1, 0
.LBB7_1496:                             ;   in Loop: Header=BB7_1473 Depth=1
	s_cmp_gt_u32 s15, 7
	s_cbranch_scc1 .LBB7_1500
; %bb.1497:                             ;   in Loop: Header=BB7_1473 Depth=1
	s_cmp_eq_u32 s15, 0
	s_cbranch_scc1 .LBB7_1501
; %bb.1498:                             ;   in Loop: Header=BB7_1473 Depth=1
	s_mov_b64 s[16:17], 0
	v_mov_b64_e32 v[14:15], 0
	s_mov_b64 s[18:19], 0
.LBB7_1499:                             ;   Parent Loop BB7_1473 Depth=1
                                        ; =>  This Inner Loop Header: Depth=2
	s_add_u32 s20, s0, s18
	s_addc_u32 s21, s1, s19
	global_load_ubyte v2, v27, s[20:21]
	s_add_u32 s18, s18, 1
	s_addc_u32 s19, s19, 0
	s_waitcnt vmcnt(0)
	v_and_b32_e32 v26, 0xffff, v2
	v_lshlrev_b64 v[2:3], s16, v[26:27]
	s_add_u32 s16, s16, 8
	s_addc_u32 s17, s17, 0
	v_or_b32_e32 v14, v2, v14
	s_cmp_lg_u32 s15, s18
	v_or_b32_e32 v15, v3, v15
	s_cbranch_scc1 .LBB7_1499
	s_branch .LBB7_1502
.LBB7_1500:                             ;   in Loop: Header=BB7_1473 Depth=1
                                        ; implicit-def: $vgpr14_vgpr15
                                        ; implicit-def: $sgpr20
	s_branch .LBB7_1503
.LBB7_1501:                             ;   in Loop: Header=BB7_1473 Depth=1
	v_mov_b64_e32 v[14:15], 0
.LBB7_1502:                             ;   in Loop: Header=BB7_1473 Depth=1
	s_mov_b32 s20, 0
	s_cbranch_execnz .LBB7_1504
.LBB7_1503:                             ;   in Loop: Header=BB7_1473 Depth=1
	global_load_dwordx2 v[14:15], v27, s[0:1]
	s_add_i32 s20, s15, -8
	s_add_u32 s0, s0, 8
	s_addc_u32 s1, s1, 0
.LBB7_1504:                             ;   in Loop: Header=BB7_1473 Depth=1
	s_cmp_gt_u32 s20, 7
	s_cbranch_scc1 .LBB7_1508
; %bb.1505:                             ;   in Loop: Header=BB7_1473 Depth=1
	s_cmp_eq_u32 s20, 0
	s_cbranch_scc1 .LBB7_1509
; %bb.1506:                             ;   in Loop: Header=BB7_1473 Depth=1
	s_mov_b64 s[16:17], 0
	v_mov_b64_e32 v[16:17], 0
	s_mov_b64 s[18:19], 0
.LBB7_1507:                             ;   Parent Loop BB7_1473 Depth=1
                                        ; =>  This Inner Loop Header: Depth=2
	s_add_u32 s22, s0, s18
	s_addc_u32 s23, s1, s19
	global_load_ubyte v2, v27, s[22:23]
	s_add_u32 s18, s18, 1
	s_addc_u32 s19, s19, 0
	s_waitcnt vmcnt(0)
	v_and_b32_e32 v26, 0xffff, v2
	v_lshlrev_b64 v[2:3], s16, v[26:27]
	s_add_u32 s16, s16, 8
	s_addc_u32 s17, s17, 0
	v_or_b32_e32 v16, v2, v16
	s_cmp_lg_u32 s20, s18
	v_or_b32_e32 v17, v3, v17
	s_cbranch_scc1 .LBB7_1507
	s_branch .LBB7_1510
.LBB7_1508:                             ;   in Loop: Header=BB7_1473 Depth=1
                                        ; implicit-def: $sgpr15
	s_branch .LBB7_1511
.LBB7_1509:                             ;   in Loop: Header=BB7_1473 Depth=1
	v_mov_b64_e32 v[16:17], 0
.LBB7_1510:                             ;   in Loop: Header=BB7_1473 Depth=1
	s_mov_b32 s15, 0
	s_cbranch_execnz .LBB7_1512
.LBB7_1511:                             ;   in Loop: Header=BB7_1473 Depth=1
	global_load_dwordx2 v[16:17], v27, s[0:1]
	s_add_i32 s15, s20, -8
	s_add_u32 s0, s0, 8
	s_addc_u32 s1, s1, 0
.LBB7_1512:                             ;   in Loop: Header=BB7_1473 Depth=1
	s_cmp_gt_u32 s15, 7
	s_cbranch_scc1 .LBB7_1516
; %bb.1513:                             ;   in Loop: Header=BB7_1473 Depth=1
	s_cmp_eq_u32 s15, 0
	s_cbranch_scc1 .LBB7_1517
; %bb.1514:                             ;   in Loop: Header=BB7_1473 Depth=1
	s_mov_b64 s[16:17], 0
	v_mov_b64_e32 v[18:19], 0
	s_mov_b64 s[18:19], 0
.LBB7_1515:                             ;   Parent Loop BB7_1473 Depth=1
                                        ; =>  This Inner Loop Header: Depth=2
	s_add_u32 s20, s0, s18
	s_addc_u32 s21, s1, s19
	global_load_ubyte v2, v27, s[20:21]
	s_add_u32 s18, s18, 1
	s_addc_u32 s19, s19, 0
	s_waitcnt vmcnt(0)
	v_and_b32_e32 v26, 0xffff, v2
	v_lshlrev_b64 v[2:3], s16, v[26:27]
	s_add_u32 s16, s16, 8
	s_addc_u32 s17, s17, 0
	v_or_b32_e32 v18, v2, v18
	s_cmp_lg_u32 s15, s18
	v_or_b32_e32 v19, v3, v19
	s_cbranch_scc1 .LBB7_1515
	s_branch .LBB7_1518
.LBB7_1516:                             ;   in Loop: Header=BB7_1473 Depth=1
                                        ; implicit-def: $vgpr18_vgpr19
                                        ; implicit-def: $sgpr20
	s_branch .LBB7_1519
.LBB7_1517:                             ;   in Loop: Header=BB7_1473 Depth=1
	v_mov_b64_e32 v[18:19], 0
.LBB7_1518:                             ;   in Loop: Header=BB7_1473 Depth=1
	s_mov_b32 s20, 0
	s_cbranch_execnz .LBB7_1520
.LBB7_1519:                             ;   in Loop: Header=BB7_1473 Depth=1
	global_load_dwordx2 v[18:19], v27, s[0:1]
	s_add_i32 s20, s15, -8
	s_add_u32 s0, s0, 8
	s_addc_u32 s1, s1, 0
.LBB7_1520:                             ;   in Loop: Header=BB7_1473 Depth=1
	s_cmp_gt_u32 s20, 7
	s_cbranch_scc1 .LBB7_1524
; %bb.1521:                             ;   in Loop: Header=BB7_1473 Depth=1
	s_cmp_eq_u32 s20, 0
	s_cbranch_scc1 .LBB7_1525
; %bb.1522:                             ;   in Loop: Header=BB7_1473 Depth=1
	s_mov_b64 s[16:17], 0
	v_mov_b64_e32 v[20:21], 0
	s_mov_b64 s[18:19], s[0:1]
.LBB7_1523:                             ;   Parent Loop BB7_1473 Depth=1
                                        ; =>  This Inner Loop Header: Depth=2
	global_load_ubyte v2, v27, s[18:19]
	s_add_i32 s20, s20, -1
	s_waitcnt vmcnt(0)
	v_and_b32_e32 v26, 0xffff, v2
	v_lshlrev_b64 v[2:3], s16, v[26:27]
	s_add_u32 s16, s16, 8
	s_addc_u32 s17, s17, 0
	s_add_u32 s18, s18, 1
	s_addc_u32 s19, s19, 0
	v_or_b32_e32 v20, v2, v20
	s_cmp_lg_u32 s20, 0
	v_or_b32_e32 v21, v3, v21
	s_cbranch_scc1 .LBB7_1523
	s_branch .LBB7_1526
.LBB7_1524:                             ;   in Loop: Header=BB7_1473 Depth=1
	s_branch .LBB7_1527
.LBB7_1525:                             ;   in Loop: Header=BB7_1473 Depth=1
	v_mov_b64_e32 v[20:21], 0
.LBB7_1526:                             ;   in Loop: Header=BB7_1473 Depth=1
	s_cbranch_execnz .LBB7_1528
.LBB7_1527:                             ;   in Loop: Header=BB7_1473 Depth=1
	global_load_dwordx2 v[20:21], v27, s[0:1]
.LBB7_1528:                             ;   in Loop: Header=BB7_1473 Depth=1
	v_readfirstlane_b32 s0, v36
	v_mov_b64_e32 v[2:3], 0
	s_nop 0
	v_cmp_eq_u32_e64 s[0:1], s0, v36
	s_and_saveexec_b64 s[16:17], s[0:1]
	s_cbranch_execz .LBB7_1534
; %bb.1529:                             ;   in Loop: Header=BB7_1473 Depth=1
	global_load_dwordx2 v[24:25], v27, s[2:3] offset:24 sc0 sc1
	s_waitcnt vmcnt(0)
	buffer_inv sc0 sc1
	global_load_dwordx2 v[2:3], v27, s[2:3] offset:40
	global_load_dwordx2 v[22:23], v27, s[2:3]
	s_waitcnt vmcnt(1)
	v_and_b32_e32 v2, v2, v24
	v_and_b32_e32 v3, v3, v25
	v_mul_lo_u32 v3, v3, 24
	v_mul_hi_u32 v26, v2, 24
	v_add_u32_e32 v3, v26, v3
	v_mul_lo_u32 v2, v2, 24
	s_waitcnt vmcnt(0)
	v_lshl_add_u64 v[2:3], v[22:23], 0, v[2:3]
	global_load_dwordx2 v[22:23], v[2:3], off sc0 sc1
	s_waitcnt vmcnt(0)
	global_atomic_cmpswap_x2 v[2:3], v27, v[22:25], s[2:3] offset:24 sc0 sc1
	s_waitcnt vmcnt(0)
	buffer_inv sc0 sc1
	v_cmp_ne_u64_e32 vcc, v[2:3], v[24:25]
	s_and_saveexec_b64 s[18:19], vcc
	s_cbranch_execz .LBB7_1533
; %bb.1530:                             ;   in Loop: Header=BB7_1473 Depth=1
	s_mov_b64 s[20:21], 0
.LBB7_1531:                             ;   Parent Loop BB7_1473 Depth=1
                                        ; =>  This Inner Loop Header: Depth=2
	s_sleep 1
	global_load_dwordx2 v[22:23], v27, s[2:3] offset:40
	global_load_dwordx2 v[30:31], v27, s[2:3]
	v_mov_b64_e32 v[24:25], v[2:3]
	s_waitcnt vmcnt(1)
	v_and_b32_e32 v2, v22, v24
	s_waitcnt vmcnt(0)
	v_mad_u64_u32 v[2:3], s[22:23], v2, 24, v[30:31]
	v_and_b32_e32 v23, v23, v25
	v_mov_b32_e32 v22, v3
	v_mad_u64_u32 v[22:23], s[22:23], v23, 24, v[22:23]
	v_mov_b32_e32 v3, v22
	global_load_dwordx2 v[22:23], v[2:3], off sc0 sc1
	s_waitcnt vmcnt(0)
	global_atomic_cmpswap_x2 v[2:3], v27, v[22:25], s[2:3] offset:24 sc0 sc1
	s_waitcnt vmcnt(0)
	buffer_inv sc0 sc1
	v_cmp_eq_u64_e32 vcc, v[2:3], v[24:25]
	s_or_b64 s[20:21], vcc, s[20:21]
	s_andn2_b64 exec, exec, s[20:21]
	s_cbranch_execnz .LBB7_1531
; %bb.1532:                             ;   in Loop: Header=BB7_1473 Depth=1
	s_or_b64 exec, exec, s[20:21]
.LBB7_1533:                             ;   in Loop: Header=BB7_1473 Depth=1
	s_or_b64 exec, exec, s[18:19]
.LBB7_1534:                             ;   in Loop: Header=BB7_1473 Depth=1
	s_or_b64 exec, exec, s[16:17]
	global_load_dwordx2 v[30:31], v27, s[2:3] offset:40
	global_load_dwordx4 v[22:25], v27, s[2:3]
	v_readfirstlane_b32 s16, v2
	v_readfirstlane_b32 s17, v3
	s_mov_b64 s[18:19], exec
	s_waitcnt vmcnt(1)
	v_readfirstlane_b32 s20, v30
	v_readfirstlane_b32 s21, v31
	s_and_b64 s[20:21], s[16:17], s[20:21]
	s_mul_i32 s15, s21, 24
	s_mul_hi_u32 s22, s20, 24
	s_add_i32 s23, s22, s15
	s_mul_i32 s22, s20, 24
	s_waitcnt vmcnt(0)
	v_lshl_add_u64 v[30:31], v[22:23], 0, s[22:23]
	s_and_saveexec_b64 s[22:23], s[0:1]
	s_cbranch_execz .LBB7_1536
; %bb.1535:                             ;   in Loop: Header=BB7_1473 Depth=1
	v_mov_b64_e32 v[2:3], s[18:19]
	global_store_dwordx4 v[30:31], v[2:5], off offset:8
.LBB7_1536:                             ;   in Loop: Header=BB7_1473 Depth=1
	s_or_b64 exec, exec, s[22:23]
	s_lshl_b64 s[18:19], s[20:21], 12
	v_lshl_add_u64 v[2:3], v[24:25], 0, s[18:19]
	v_or_b32_e32 v24, 2, v6
	v_cmp_gt_u64_e64 vcc, s[6:7], 56
	s_lshl_b32 s15, s10, 2
	s_add_i32 s15, s15, 28
	v_cndmask_b32_e32 v6, v24, v6, vcc
	s_and_b32 s15, s15, 0x1e0
	v_and_b32_e32 v6, 0xffffff1f, v6
	v_or_b32_e32 v6, s15, v6
	v_readfirstlane_b32 s18, v2
	v_readfirstlane_b32 s19, v3
	s_nop 4
	global_store_dwordx4 v28, v[6:9], s[18:19]
	global_store_dwordx4 v28, v[10:13], s[18:19] offset:16
	global_store_dwordx4 v28, v[14:17], s[18:19] offset:32
	;; [unrolled: 1-line block ×3, first 2 shown]
	s_and_saveexec_b64 s[18:19], s[0:1]
	s_cbranch_execz .LBB7_1544
; %bb.1537:                             ;   in Loop: Header=BB7_1473 Depth=1
	global_load_dwordx2 v[14:15], v27, s[2:3] offset:32 sc0 sc1
	global_load_dwordx2 v[6:7], v27, s[2:3] offset:40
	v_mov_b32_e32 v12, s16
	v_mov_b32_e32 v13, s17
	s_waitcnt vmcnt(0)
	v_readfirstlane_b32 s20, v6
	v_readfirstlane_b32 s21, v7
	s_and_b64 s[20:21], s[20:21], s[16:17]
	s_mul_i32 s15, s21, 24
	s_mul_hi_u32 s21, s20, 24
	s_mul_i32 s20, s20, 24
	s_add_i32 s21, s21, s15
	v_lshl_add_u64 v[10:11], v[22:23], 0, s[20:21]
	global_store_dwordx2 v[10:11], v[14:15], off
	buffer_wbl2 sc0 sc1
	s_waitcnt vmcnt(0)
	global_atomic_cmpswap_x2 v[8:9], v27, v[12:15], s[2:3] offset:32 sc0 sc1
	s_waitcnt vmcnt(0)
	v_cmp_ne_u64_e32 vcc, v[8:9], v[14:15]
	s_and_saveexec_b64 s[20:21], vcc
	s_cbranch_execz .LBB7_1540
; %bb.1538:                             ;   in Loop: Header=BB7_1473 Depth=1
	s_mov_b64 s[22:23], 0
.LBB7_1539:                             ;   Parent Loop BB7_1473 Depth=1
                                        ; =>  This Inner Loop Header: Depth=2
	s_sleep 1
	global_store_dwordx2 v[10:11], v[8:9], off
	v_mov_b32_e32 v6, s16
	v_mov_b32_e32 v7, s17
	buffer_wbl2 sc0 sc1
	s_waitcnt vmcnt(0)
	global_atomic_cmpswap_x2 v[6:7], v27, v[6:9], s[2:3] offset:32 sc0 sc1
	s_waitcnt vmcnt(0)
	v_cmp_eq_u64_e32 vcc, v[6:7], v[8:9]
	s_or_b64 s[22:23], vcc, s[22:23]
	v_mov_b64_e32 v[8:9], v[6:7]
	s_andn2_b64 exec, exec, s[22:23]
	s_cbranch_execnz .LBB7_1539
.LBB7_1540:                             ;   in Loop: Header=BB7_1473 Depth=1
	s_or_b64 exec, exec, s[20:21]
	global_load_dwordx2 v[6:7], v27, s[2:3] offset:16
	s_mov_b64 s[22:23], exec
	v_mbcnt_lo_u32_b32 v8, s22, 0
	v_mbcnt_hi_u32_b32 v8, s23, v8
	v_cmp_eq_u32_e32 vcc, 0, v8
	s_and_saveexec_b64 s[20:21], vcc
	s_cbranch_execz .LBB7_1542
; %bb.1541:                             ;   in Loop: Header=BB7_1473 Depth=1
	s_bcnt1_i32_b64 s15, s[22:23]
	v_mov_b32_e32 v26, s15
	buffer_wbl2 sc0 sc1
	s_waitcnt vmcnt(0)
	global_atomic_add_x2 v[6:7], v[26:27], off offset:8 sc1
.LBB7_1542:                             ;   in Loop: Header=BB7_1473 Depth=1
	s_or_b64 exec, exec, s[20:21]
	s_waitcnt vmcnt(0)
	global_load_dwordx2 v[8:9], v[6:7], off offset:16
	s_waitcnt vmcnt(0)
	v_cmp_eq_u64_e32 vcc, 0, v[8:9]
	s_cbranch_vccnz .LBB7_1544
; %bb.1543:                             ;   in Loop: Header=BB7_1473 Depth=1
	global_load_dword v26, v[6:7], off offset:24
	s_waitcnt vmcnt(0)
	v_and_b32_e32 v6, 0xffffff, v26
	s_nop 0
	v_readfirstlane_b32 m0, v6
	buffer_wbl2 sc0 sc1
	global_store_dwordx2 v[8:9], v[26:27], off sc0 sc1
	s_sendmsg sendmsg(MSG_INTERRUPT)
.LBB7_1544:                             ;   in Loop: Header=BB7_1473 Depth=1
	s_or_b64 exec, exec, s[18:19]
	v_mov_b32_e32 v29, v27
	v_lshl_add_u64 v[2:3], v[2:3], 0, v[28:29]
	s_branch .LBB7_1548
.LBB7_1545:                             ;   in Loop: Header=BB7_1548 Depth=2
	s_or_b64 exec, exec, s[18:19]
	v_readfirstlane_b32 s15, v6
	s_cmp_eq_u32 s15, 0
	s_cbranch_scc1 .LBB7_1547
; %bb.1546:                             ;   in Loop: Header=BB7_1548 Depth=2
	s_sleep 1
	s_cbranch_execnz .LBB7_1548
	s_branch .LBB7_1550
.LBB7_1547:                             ;   in Loop: Header=BB7_1473 Depth=1
	s_branch .LBB7_1550
.LBB7_1548:                             ;   Parent Loop BB7_1473 Depth=1
                                        ; =>  This Inner Loop Header: Depth=2
	v_mov_b32_e32 v6, 1
	s_and_saveexec_b64 s[18:19], s[0:1]
	s_cbranch_execz .LBB7_1545
; %bb.1549:                             ;   in Loop: Header=BB7_1548 Depth=2
	global_load_dword v6, v[30:31], off offset:20 sc0 sc1
	s_waitcnt vmcnt(0)
	buffer_inv sc0 sc1
	v_and_b32_e32 v6, 1, v6
	s_branch .LBB7_1545
.LBB7_1550:                             ;   in Loop: Header=BB7_1473 Depth=1
	global_load_dwordx4 v[6:9], v[2:3], off
	s_and_saveexec_b64 s[18:19], s[0:1]
	s_cbranch_execz .LBB7_1472
; %bb.1551:                             ;   in Loop: Header=BB7_1473 Depth=1
	global_load_dwordx2 v[2:3], v27, s[2:3] offset:40
	global_load_dwordx2 v[12:13], v27, s[2:3] offset:24 sc0 sc1
	global_load_dwordx2 v[14:15], v27, s[2:3]
	s_waitcnt vmcnt(2)
	v_lshl_add_u64 v[8:9], v[2:3], 0, 1
	v_lshl_add_u64 v[16:17], v[8:9], 0, s[16:17]
	v_cmp_eq_u64_e32 vcc, 0, v[16:17]
	s_waitcnt vmcnt(1)
	v_mov_b32_e32 v10, v12
	v_cndmask_b32_e32 v9, v17, v9, vcc
	v_cndmask_b32_e32 v8, v16, v8, vcc
	v_and_b32_e32 v3, v9, v3
	v_and_b32_e32 v2, v8, v2
	v_mul_lo_u32 v3, v3, 24
	v_mul_hi_u32 v11, v2, 24
	v_mul_lo_u32 v2, v2, 24
	v_add_u32_e32 v3, v11, v3
	s_waitcnt vmcnt(0)
	v_lshl_add_u64 v[2:3], v[14:15], 0, v[2:3]
	global_store_dwordx2 v[2:3], v[12:13], off
	v_mov_b32_e32 v11, v13
	buffer_wbl2 sc0 sc1
	s_waitcnt vmcnt(0)
	global_atomic_cmpswap_x2 v[10:11], v27, v[8:11], s[2:3] offset:24 sc0 sc1
	s_waitcnt vmcnt(0)
	v_cmp_ne_u64_e32 vcc, v[10:11], v[12:13]
	s_and_b64 exec, exec, vcc
	s_cbranch_execz .LBB7_1472
; %bb.1552:                             ;   in Loop: Header=BB7_1473 Depth=1
	s_mov_b64 s[0:1], 0
.LBB7_1553:                             ;   Parent Loop BB7_1473 Depth=1
                                        ; =>  This Inner Loop Header: Depth=2
	s_sleep 1
	global_store_dwordx2 v[2:3], v[10:11], off
	buffer_wbl2 sc0 sc1
	s_waitcnt vmcnt(0)
	global_atomic_cmpswap_x2 v[12:13], v27, v[8:11], s[2:3] offset:24 sc0 sc1
	s_waitcnt vmcnt(0)
	v_cmp_eq_u64_e32 vcc, v[12:13], v[10:11]
	s_or_b64 s[0:1], vcc, s[0:1]
	v_mov_b64_e32 v[10:11], v[12:13]
	s_andn2_b64 exec, exec, s[0:1]
	s_cbranch_execnz .LBB7_1553
	s_branch .LBB7_1472
.LBB7_1554:
	s_mov_b64 s[0:1], 0
	s_branch .LBB7_1556
.LBB7_1555:
	s_mov_b64 s[0:1], -1
.LBB7_1556:
	s_mov_b32 s42, s12
	s_mov_b32 s43, s13
	;; [unrolled: 1-line block ×3, first 2 shown]
	s_and_b64 vcc, exec, s[0:1]
	s_cbranch_vccz .LBB7_1583
; %bb.1557:
	v_readfirstlane_b32 s0, v36
	s_waitcnt vmcnt(0)
	v_mov_b64_e32 v[8:9], 0
	v_cmp_eq_u32_e64 s[0:1], s0, v36
	s_and_saveexec_b64 s[4:5], s[0:1]
	s_cbranch_execz .LBB7_1563
; %bb.1558:
	v_mov_b32_e32 v2, 0
	global_load_dwordx2 v[6:7], v2, s[2:3] offset:24 sc0 sc1
	s_waitcnt vmcnt(0)
	buffer_inv sc0 sc1
	global_load_dwordx2 v[4:5], v2, s[2:3] offset:40
	global_load_dwordx2 v[8:9], v2, s[2:3]
	s_waitcnt vmcnt(1)
	v_and_b32_e32 v3, v4, v6
	v_and_b32_e32 v4, v5, v7
	v_mul_lo_u32 v4, v4, 24
	v_mul_hi_u32 v5, v3, 24
	v_add_u32_e32 v5, v5, v4
	v_mul_lo_u32 v4, v3, 24
	s_waitcnt vmcnt(0)
	v_lshl_add_u64 v[4:5], v[8:9], 0, v[4:5]
	global_load_dwordx2 v[4:5], v[4:5], off sc0 sc1
	s_waitcnt vmcnt(0)
	global_atomic_cmpswap_x2 v[8:9], v2, v[4:7], s[2:3] offset:24 sc0 sc1
	s_waitcnt vmcnt(0)
	buffer_inv sc0 sc1
	v_cmp_ne_u64_e32 vcc, v[8:9], v[6:7]
	s_and_saveexec_b64 s[6:7], vcc
	s_cbranch_execz .LBB7_1562
; %bb.1559:
	s_mov_b64 s[10:11], 0
.LBB7_1560:                             ; =>This Inner Loop Header: Depth=1
	s_sleep 1
	global_load_dwordx2 v[4:5], v2, s[2:3] offset:40
	global_load_dwordx2 v[10:11], v2, s[2:3]
	v_mov_b64_e32 v[6:7], v[8:9]
	s_waitcnt vmcnt(1)
	v_and_b32_e32 v4, v4, v6
	v_and_b32_e32 v3, v5, v7
	s_waitcnt vmcnt(0)
	v_mad_u64_u32 v[4:5], s[12:13], v4, 24, v[10:11]
	v_mov_b32_e32 v8, v5
	v_mad_u64_u32 v[8:9], s[12:13], v3, 24, v[8:9]
	v_mov_b32_e32 v5, v8
	global_load_dwordx2 v[4:5], v[4:5], off sc0 sc1
	s_waitcnt vmcnt(0)
	global_atomic_cmpswap_x2 v[8:9], v2, v[4:7], s[2:3] offset:24 sc0 sc1
	s_waitcnt vmcnt(0)
	buffer_inv sc0 sc1
	v_cmp_eq_u64_e32 vcc, v[8:9], v[6:7]
	s_or_b64 s[10:11], vcc, s[10:11]
	s_andn2_b64 exec, exec, s[10:11]
	s_cbranch_execnz .LBB7_1560
; %bb.1561:
	s_or_b64 exec, exec, s[10:11]
.LBB7_1562:
	s_or_b64 exec, exec, s[6:7]
.LBB7_1563:
	s_or_b64 exec, exec, s[4:5]
	v_mov_b32_e32 v2, 0
	global_load_dwordx2 v[10:11], v2, s[2:3] offset:40
	global_load_dwordx4 v[4:7], v2, s[2:3]
	v_readfirstlane_b32 s4, v8
	v_readfirstlane_b32 s5, v9
	s_mov_b64 s[6:7], exec
	s_waitcnt vmcnt(1)
	v_readfirstlane_b32 s10, v10
	v_readfirstlane_b32 s11, v11
	s_and_b64 s[10:11], s[4:5], s[10:11]
	s_mul_i32 s12, s11, 24
	s_mul_hi_u32 s13, s10, 24
	s_add_i32 s13, s13, s12
	s_mul_i32 s12, s10, 24
	s_waitcnt vmcnt(0)
	v_lshl_add_u64 v[8:9], v[4:5], 0, s[12:13]
	s_and_saveexec_b64 s[12:13], s[0:1]
	s_cbranch_execz .LBB7_1565
; %bb.1564:
	v_mov_b64_e32 v[10:11], s[6:7]
	v_mov_b32_e32 v12, 2
	v_mov_b32_e32 v13, 1
	global_store_dwordx4 v[8:9], v[10:13], off offset:8
.LBB7_1565:
	s_or_b64 exec, exec, s[12:13]
	s_lshl_b64 s[6:7], s[10:11], 12
	v_lshl_add_u64 v[6:7], v[6:7], 0, s[6:7]
	s_movk_i32 s6, 0xff1d
	s_mov_b32 s12, 0
	v_and_or_b32 v0, v0, s6, 34
	v_mov_b32_e32 v3, v2
	v_readfirstlane_b32 s6, v6
	v_readfirstlane_b32 s7, v7
	s_mov_b32 s13, s12
	s_mov_b32 s14, s12
	;; [unrolled: 1-line block ×3, first 2 shown]
	s_nop 1
	global_store_dwordx4 v28, v[0:3], s[6:7]
	s_nop 1
	v_mov_b64_e32 v[0:1], s[12:13]
	v_mov_b64_e32 v[2:3], s[14:15]
	global_store_dwordx4 v28, v[0:3], s[6:7] offset:16
	global_store_dwordx4 v28, v[0:3], s[6:7] offset:32
	;; [unrolled: 1-line block ×3, first 2 shown]
	s_and_saveexec_b64 s[6:7], s[0:1]
	s_cbranch_execz .LBB7_1573
; %bb.1566:
	v_mov_b32_e32 v6, 0
	global_load_dwordx2 v[12:13], v6, s[2:3] offset:32 sc0 sc1
	global_load_dwordx2 v[0:1], v6, s[2:3] offset:40
	v_mov_b32_e32 v10, s4
	v_mov_b32_e32 v11, s5
	s_waitcnt vmcnt(0)
	v_readfirstlane_b32 s10, v0
	v_readfirstlane_b32 s11, v1
	s_and_b64 s[10:11], s[10:11], s[4:5]
	s_mul_i32 s11, s11, 24
	s_mul_hi_u32 s12, s10, 24
	s_mul_i32 s10, s10, 24
	s_add_i32 s11, s12, s11
	v_lshl_add_u64 v[4:5], v[4:5], 0, s[10:11]
	global_store_dwordx2 v[4:5], v[12:13], off
	buffer_wbl2 sc0 sc1
	s_waitcnt vmcnt(0)
	global_atomic_cmpswap_x2 v[2:3], v6, v[10:13], s[2:3] offset:32 sc0 sc1
	s_waitcnt vmcnt(0)
	v_cmp_ne_u64_e32 vcc, v[2:3], v[12:13]
	s_and_saveexec_b64 s[10:11], vcc
	s_cbranch_execz .LBB7_1569
; %bb.1567:
	s_mov_b64 s[12:13], 0
.LBB7_1568:                             ; =>This Inner Loop Header: Depth=1
	s_sleep 1
	global_store_dwordx2 v[4:5], v[2:3], off
	v_mov_b32_e32 v0, s4
	v_mov_b32_e32 v1, s5
	buffer_wbl2 sc0 sc1
	s_waitcnt vmcnt(0)
	global_atomic_cmpswap_x2 v[0:1], v6, v[0:3], s[2:3] offset:32 sc0 sc1
	s_waitcnt vmcnt(0)
	v_cmp_eq_u64_e32 vcc, v[0:1], v[2:3]
	s_or_b64 s[12:13], vcc, s[12:13]
	v_mov_b64_e32 v[2:3], v[0:1]
	s_andn2_b64 exec, exec, s[12:13]
	s_cbranch_execnz .LBB7_1568
.LBB7_1569:
	s_or_b64 exec, exec, s[10:11]
	v_mov_b32_e32 v3, 0
	global_load_dwordx2 v[0:1], v3, s[2:3] offset:16
	s_mov_b64 s[10:11], exec
	v_mbcnt_lo_u32_b32 v2, s10, 0
	v_mbcnt_hi_u32_b32 v2, s11, v2
	v_cmp_eq_u32_e32 vcc, 0, v2
	s_and_saveexec_b64 s[12:13], vcc
	s_cbranch_execz .LBB7_1571
; %bb.1570:
	s_bcnt1_i32_b64 s10, s[10:11]
	v_mov_b32_e32 v2, s10
	buffer_wbl2 sc0 sc1
	s_waitcnt vmcnt(0)
	global_atomic_add_x2 v[0:1], v[2:3], off offset:8 sc1
.LBB7_1571:
	s_or_b64 exec, exec, s[12:13]
	s_waitcnt vmcnt(0)
	global_load_dwordx2 v[2:3], v[0:1], off offset:16
	s_waitcnt vmcnt(0)
	v_cmp_eq_u64_e32 vcc, 0, v[2:3]
	s_cbranch_vccnz .LBB7_1573
; %bb.1572:
	global_load_dword v0, v[0:1], off offset:24
	v_mov_b32_e32 v1, 0
	buffer_wbl2 sc0 sc1
	s_waitcnt vmcnt(0)
	global_store_dwordx2 v[2:3], v[0:1], off sc0 sc1
	v_and_b32_e32 v0, 0xffffff, v0
	s_nop 0
	v_readfirstlane_b32 m0, v0
	s_sendmsg sendmsg(MSG_INTERRUPT)
.LBB7_1573:
	s_or_b64 exec, exec, s[6:7]
	s_branch .LBB7_1577
.LBB7_1574:                             ;   in Loop: Header=BB7_1577 Depth=1
	s_or_b64 exec, exec, s[6:7]
	v_readfirstlane_b32 s6, v0
	s_cmp_eq_u32 s6, 0
	s_cbranch_scc1 .LBB7_1576
; %bb.1575:                             ;   in Loop: Header=BB7_1577 Depth=1
	s_sleep 1
	s_cbranch_execnz .LBB7_1577
	s_branch .LBB7_1579
.LBB7_1576:
	s_branch .LBB7_1579
.LBB7_1577:                             ; =>This Inner Loop Header: Depth=1
	v_mov_b32_e32 v0, 1
	s_and_saveexec_b64 s[6:7], s[0:1]
	s_cbranch_execz .LBB7_1574
; %bb.1578:                             ;   in Loop: Header=BB7_1577 Depth=1
	global_load_dword v0, v[8:9], off offset:20 sc0 sc1
	s_waitcnt vmcnt(0)
	buffer_inv sc0 sc1
	v_and_b32_e32 v0, 1, v0
	s_branch .LBB7_1574
.LBB7_1579:
	s_and_saveexec_b64 s[6:7], s[0:1]
	s_cbranch_execz .LBB7_1582
; %bb.1580:
	v_mov_b32_e32 v6, 0
	global_load_dwordx2 v[4:5], v6, s[2:3] offset:40
	global_load_dwordx2 v[8:9], v6, s[2:3] offset:24 sc0 sc1
	global_load_dwordx2 v[10:11], v6, s[2:3]
	s_mov_b64 s[0:1], 0
	s_waitcnt vmcnt(2)
	v_lshl_add_u64 v[0:1], v[4:5], 0, 1
	v_lshl_add_u64 v[12:13], v[0:1], 0, s[4:5]
	v_cmp_eq_u64_e32 vcc, 0, v[12:13]
	s_waitcnt vmcnt(1)
	v_mov_b32_e32 v2, v8
	v_cndmask_b32_e32 v1, v13, v1, vcc
	v_cndmask_b32_e32 v0, v12, v0, vcc
	v_and_b32_e32 v3, v1, v5
	v_and_b32_e32 v4, v0, v4
	v_mul_lo_u32 v3, v3, 24
	v_mul_hi_u32 v5, v4, 24
	v_mul_lo_u32 v4, v4, 24
	v_add_u32_e32 v5, v5, v3
	s_waitcnt vmcnt(0)
	v_lshl_add_u64 v[4:5], v[10:11], 0, v[4:5]
	global_store_dwordx2 v[4:5], v[8:9], off
	v_mov_b32_e32 v3, v9
	buffer_wbl2 sc0 sc1
	s_waitcnt vmcnt(0)
	global_atomic_cmpswap_x2 v[2:3], v6, v[0:3], s[2:3] offset:24 sc0 sc1
	s_waitcnt vmcnt(0)
	v_cmp_ne_u64_e32 vcc, v[2:3], v[8:9]
	s_and_b64 exec, exec, vcc
	s_cbranch_execz .LBB7_1582
.LBB7_1581:                             ; =>This Inner Loop Header: Depth=1
	s_sleep 1
	global_store_dwordx2 v[4:5], v[2:3], off
	buffer_wbl2 sc0 sc1
	s_waitcnt vmcnt(0)
	global_atomic_cmpswap_x2 v[8:9], v6, v[0:3], s[2:3] offset:24 sc0 sc1
	s_waitcnt vmcnt(0)
	v_cmp_eq_u64_e32 vcc, v[8:9], v[2:3]
	s_or_b64 s[0:1], vcc, s[0:1]
	v_mov_b64_e32 v[2:3], v[8:9]
	s_andn2_b64 exec, exec, s[0:1]
	s_cbranch_execnz .LBB7_1581
.LBB7_1582:
	s_or_b64 exec, exec, s[6:7]
.LBB7_1583:
	s_getpc_b64 s[0:1]
	s_add_u32 s0, s0, .str@rel32@lo+4
	s_addc_u32 s1, s1, .str@rel32@hi+12
	s_waitcnt vmcnt(0)
	v_mov_b32_e32 v0, s0
	v_mov_b32_e32 v1, s1
	s_mov_b64 s[18:19], src_private_base
	s_getpc_b64 s[46:47]
	s_add_u32 s46, s46, _ZNK8migraphx13basic_printerIZNS_4coutEvEUlT_E_ElsEPKc@rel32@lo+4
	s_addc_u32 s47, s47, _ZNK8migraphx13basic_printerIZNS_4coutEvEUlT_E_ElsEPKc@rel32@hi+12
	s_mov_b64 s[36:37], s[8:9]
	s_swappc_b64 s[30:31], s[46:47]
	s_getpc_b64 s[0:1]
	s_add_u32 s0, s0, .str.3@rel32@lo+4
	s_addc_u32 s1, s1, .str.3@rel32@hi+12
	s_mov_b64 s[8:9], s[36:37]
	v_mov_b32_e32 v0, s0
	v_mov_b32_e32 v1, s1
	s_swappc_b64 s[30:31], s[46:47]
	s_getpc_b64 s[0:1]
	s_add_u32 s0, s0, _ZN8migraphx4testlsIKNS_13basic_printerIZNS_4coutEvEUlT_E_EEEERS3_S7_RKNS0_10expressionINS0_14lhs_expressionIRNS_5arrayIiLj8EEENS0_3nopEEESC_NS0_5equalEEE@rel32@lo+4
	s_addc_u32 s1, s1, _ZN8migraphx4testlsIKNS_13basic_printerIZNS_4coutEvEUlT_E_EEEERS3_S7_RKNS0_10expressionINS0_14lhs_expressionIRNS_5arrayIiLj8EEENS0_3nopEEESC_NS0_5equalEEE@rel32@hi+12
	s_add_i32 s2, s33, 0x60
	s_mov_b64 s[8:9], s[36:37]
	v_mov_b32_e32 v0, s2
	v_mov_b32_e32 v1, s19
	s_swappc_b64 s[30:31], s[0:1]
	s_getpc_b64 s[0:1]
	s_add_u32 s0, s0, .str.4@rel32@lo+4
	s_addc_u32 s1, s1, .str.4@rel32@hi+12
	s_mov_b64 s[8:9], s[36:37]
	v_mov_b32_e32 v0, s0
	v_mov_b32_e32 v1, s1
	s_swappc_b64 s[30:31], s[46:47]
	s_mov_b64 s[8:9], s[36:37]
	v_mov_b32_e32 v0, 10
	s_getpc_b64 s[0:1]
	s_add_u32 s0, s0, _ZNK8migraphx13basic_printerIZNS_4coutEvEUlT_E_ElsEc@rel32@lo+4
	s_addc_u32 s1, s1, _ZNK8migraphx13basic_printerIZNS_4coutEvEUlT_E_ElsEc@rel32@hi+12
	s_swappc_b64 s[30:31], s[0:1]
	v_accvgpr_read_b32 v0, a0
	v_accvgpr_read_b32 v1, a1
	flat_load_dwordx2 v[0:1], v[0:1]
	s_mov_b64 s[8:9], s[36:37]
	s_mov_b32 s14, s44
	s_mov_b32 s13, s43
	;; [unrolled: 1-line block ×3, first 2 shown]
	s_waitcnt vmcnt(0) lgkmcnt(0)
	flat_load_dword v2, v[0:1]
	s_waitcnt vmcnt(0) lgkmcnt(0)
	v_add_u32_e32 v2, 1, v2
	flat_store_dword v[0:1], v2
.LBB7_1584:
	s_or_b64 exec, exec, s[40:41]
	s_getpc_b64 s[0:1]
	s_add_u32 s0, s0, _ZN8migraphx4test4failEv@rel32@lo+4
	s_addc_u32 s1, s1, _ZN8migraphx4test4failEv@rel32@hi+12
	s_swappc_b64 s[30:31], s[0:1]
	; divergent unreachable
.LBB7_1585:
	s_andn2_saveexec_b64 s[0:1], s[38:39]
	s_or_b64 exec, exec, s[0:1]
	v_readlane_b32 s30, v47, 0
	v_readlane_b32 s31, v47, 1
	;; [unrolled: 1-line block ×3, first 2 shown]
	s_or_saveexec_b64 s[2:3], -1
	scratch_load_dword v47, off, s33 offset:112 ; 4-byte Folded Reload
	s_mov_b64 exec, s[2:3]
	s_addk_i32 s32, 0xff80
	s_mov_b32 s33, s0
	s_waitcnt vmcnt(0)
	s_setpc_b64 s[30:31]
.Lfunc_end7:
	.size	_ZL21merge_many_duplicatesRN8migraphx4test12test_managerE, .Lfunc_end7-_ZL21merge_many_duplicatesRN8migraphx4test12test_managerE
                                        ; -- End function
	.section	.AMDGPU.csdata,"",@progbits
; Function info:
; codeLenInByte = 54232
; NumSgprs: 54
; NumVgprs: 62
; NumAgprs: 2
; TotalNumVgprs: 66
; ScratchSize: 144
; MemoryBound: 0
	.text
	.p2align	2                               ; -- Begin function _ZN8migraphx4testlsIKNS_13basic_printerIZNS_4coutEvEUlT_E_EEEERS3_S7_RKNS0_10expressionINS0_14lhs_expressionIRNS_5arrayIiLj5EEENS0_3nopEEESC_NS0_5equalEEE
	.type	_ZN8migraphx4testlsIKNS_13basic_printerIZNS_4coutEvEUlT_E_EEEERS3_S7_RKNS0_10expressionINS0_14lhs_expressionIRNS_5arrayIiLj5EEENS0_3nopEEESC_NS0_5equalEEE,@function
_ZN8migraphx4testlsIKNS_13basic_printerIZNS_4coutEvEUlT_E_EEEERS3_S7_RKNS0_10expressionINS0_14lhs_expressionIRNS_5arrayIiLj5EEENS0_3nopEEESC_NS0_5equalEEE: ; @_ZN8migraphx4testlsIKNS_13basic_printerIZNS_4coutEvEUlT_E_EEEERS3_S7_RKNS0_10expressionINS0_14lhs_expressionIRNS_5arrayIiLj5EEENS0_3nopEEESC_NS0_5equalEEE
; %bb.0:
	s_waitcnt vmcnt(0) expcnt(0) lgkmcnt(0)
	s_mov_b32 s0, s33
	s_mov_b32 s33, s32
	s_xor_saveexec_b64 s[2:3], -1
	scratch_store_dword off, v37, s33       ; 4-byte Folded Spill
	s_mov_b64 exec, s[2:3]
	v_writelane_b32 v37, s0, 2
	v_writelane_b32 v37, s30, 0
	s_add_i32 s32, s32, 16
	s_nop 0
	v_writelane_b32 v37, s31, 1
	v_mov_b32_e32 v39, v1
	v_mov_b32_e32 v38, v0
	flat_load_dwordx2 v[44:45], v[38:39]
	s_getpc_b64 s[0:1]
	s_add_u32 s0, s0, .str.7@rel32@lo+4
	s_addc_u32 s1, s1, .str.7@rel32@hi+12
	v_mbcnt_lo_u32_b32 v0, -1, 0
	s_mov_b32 s29, 0
	s_cmp_lg_u64 s[0:1], 0
	v_mov_b32_e32 v55, 0
	v_mbcnt_hi_u32_b32 v46, -1, v0
	s_mov_b64 s[18:19], s[8:9]
	s_cselect_b64 s[24:25], -1, 0
	v_mov_b32_e32 v50, 2
	v_lshlrev_b32_e32 v56, 6, v46
	v_mov_b32_e32 v40, 33
	s_mov_b32 s20, s29
	s_mov_b32 s21, s29
	;; [unrolled: 1-line block ×4, first 2 shown]
	s_movk_i32 s34, 0xff1f
	s_movk_i32 s35, 0xff1d
	v_mov_b32_e32 v51, 1
	v_mov_b32_e32 v41, v55
	;; [unrolled: 1-line block ×4, first 2 shown]
	s_mov_b32 s28, s29
	s_branch .LBB8_2
.LBB8_1:                                ;   in Loop: Header=BB8_2 Depth=1
	s_or_b64 exec, exec, s[4:5]
	s_add_i32 s28, s28, 1
	s_cmp_lg_u32 s28, 5
	s_cbranch_scc0 .LBB8_169
.LBB8_2:                                ; =>This Loop Header: Depth=1
                                        ;     Child Loop BB8_7 Depth 2
                                        ;     Child Loop BB8_15 Depth 2
	;; [unrolled: 1-line block ×9, first 2 shown]
                                        ;       Child Loop BB8_36 Depth 3
                                        ;       Child Loop BB8_43 Depth 3
                                        ;       Child Loop BB8_51 Depth 3
                                        ;       Child Loop BB8_59 Depth 3
                                        ;       Child Loop BB8_67 Depth 3
                                        ;       Child Loop BB8_75 Depth 3
                                        ;       Child Loop BB8_83 Depth 3
                                        ;       Child Loop BB8_91 Depth 3
                                        ;       Child Loop BB8_99 Depth 3
                                        ;       Child Loop BB8_108 Depth 3
                                        ;       Child Loop BB8_113 Depth 3
                                        ;     Child Loop BB8_146 Depth 2
                                        ;     Child Loop BB8_154 Depth 2
	;; [unrolled: 1-line block ×4, first 2 shown]
	s_cmp_eq_u32 s28, 0
	s_cbranch_scc1 .LBB8_4
; %bb.3:                                ;   in Loop: Header=BB8_2 Depth=1
	s_getpc_b64 s[0:1]
	s_add_u32 s0, s0, .str.11@rel32@lo+4
	s_addc_u32 s1, s1, .str.11@rel32@hi+12
	s_mov_b64 s[8:9], s[18:19]
	v_mov_b32_e32 v0, s0
	v_mov_b32_e32 v1, s1
	s_getpc_b64 s[2:3]
	s_add_u32 s2, s2, _ZNK8migraphx13basic_printerIZNS_4coutEvEUlT_E_ElsEPKc@rel32@lo+4
	s_addc_u32 s3, s3, _ZNK8migraphx13basic_printerIZNS_4coutEvEUlT_E_ElsEPKc@rel32@hi+12
	s_swappc_b64 s[30:31], s[2:3]
.LBB8_4:                                ;   in Loop: Header=BB8_2 Depth=1
	s_waitcnt vmcnt(0) lgkmcnt(0)
	v_lshl_add_u64 v[0:1], s[28:29], 2, v[44:45]
	flat_load_dword v21, v[0:1]
	s_load_dwordx2 s[26:27], s[18:19], 0x50
	v_readfirstlane_b32 s0, v46
	v_mov_b64_e32 v[4:5], 0
	s_nop 0
	v_cmp_eq_u32_e64 s[0:1], s0, v46
	s_and_saveexec_b64 s[2:3], s[0:1]
	s_cbranch_execz .LBB8_10
; %bb.5:                                ;   in Loop: Header=BB8_2 Depth=1
	s_waitcnt lgkmcnt(0)
	global_load_dwordx2 v[2:3], v55, s[26:27] offset:24 sc0 sc1
	s_waitcnt vmcnt(0)
	buffer_inv sc0 sc1
	global_load_dwordx2 v[0:1], v55, s[26:27] offset:40
	global_load_dwordx2 v[4:5], v55, s[26:27]
	s_waitcnt vmcnt(1)
	v_and_b32_e32 v0, v0, v2
	v_and_b32_e32 v1, v1, v3
	v_mul_lo_u32 v1, v1, 24
	v_mul_hi_u32 v6, v0, 24
	v_add_u32_e32 v1, v6, v1
	v_mul_lo_u32 v0, v0, 24
	s_waitcnt vmcnt(0)
	v_lshl_add_u64 v[0:1], v[4:5], 0, v[0:1]
	global_load_dwordx2 v[0:1], v[0:1], off sc0 sc1
	s_waitcnt vmcnt(0)
	global_atomic_cmpswap_x2 v[4:5], v55, v[0:3], s[26:27] offset:24 sc0 sc1
	s_waitcnt vmcnt(0)
	buffer_inv sc0 sc1
	v_cmp_ne_u64_e32 vcc, v[4:5], v[2:3]
	s_and_saveexec_b64 s[4:5], vcc
	s_cbranch_execz .LBB8_9
; %bb.6:                                ;   in Loop: Header=BB8_2 Depth=1
	s_mov_b64 s[6:7], 0
.LBB8_7:                                ;   Parent Loop BB8_2 Depth=1
                                        ; =>  This Inner Loop Header: Depth=2
	s_sleep 1
	global_load_dwordx2 v[0:1], v55, s[26:27] offset:40
	global_load_dwordx2 v[6:7], v55, s[26:27]
	v_mov_b64_e32 v[2:3], v[4:5]
	s_waitcnt vmcnt(1)
	v_and_b32_e32 v0, v0, v2
	v_and_b32_e32 v5, v1, v3
	s_waitcnt vmcnt(0)
	v_mad_u64_u32 v[0:1], s[8:9], v0, 24, v[6:7]
	v_mov_b32_e32 v4, v1
	v_mad_u64_u32 v[4:5], s[8:9], v5, 24, v[4:5]
	v_mov_b32_e32 v1, v4
	global_load_dwordx2 v[0:1], v[0:1], off sc0 sc1
	s_waitcnt vmcnt(0)
	global_atomic_cmpswap_x2 v[4:5], v55, v[0:3], s[26:27] offset:24 sc0 sc1
	s_waitcnt vmcnt(0)
	buffer_inv sc0 sc1
	v_cmp_eq_u64_e32 vcc, v[4:5], v[2:3]
	s_or_b64 s[6:7], vcc, s[6:7]
	s_andn2_b64 exec, exec, s[6:7]
	s_cbranch_execnz .LBB8_7
; %bb.8:                                ;   in Loop: Header=BB8_2 Depth=1
	s_or_b64 exec, exec, s[6:7]
.LBB8_9:                                ;   in Loop: Header=BB8_2 Depth=1
	s_or_b64 exec, exec, s[4:5]
.LBB8_10:                               ;   in Loop: Header=BB8_2 Depth=1
	s_or_b64 exec, exec, s[2:3]
	s_waitcnt lgkmcnt(0)
	global_load_dwordx2 v[6:7], v55, s[26:27] offset:40
	global_load_dwordx4 v[0:3], v55, s[26:27]
	v_readfirstlane_b32 s2, v4
	v_readfirstlane_b32 s3, v5
	s_mov_b64 s[4:5], exec
	s_waitcnt vmcnt(0)
	v_readfirstlane_b32 s6, v6
	v_readfirstlane_b32 s7, v7
	s_and_b64 s[6:7], s[2:3], s[6:7]
	s_mul_i32 s8, s7, 24
	s_mul_hi_u32 s9, s6, 24
	s_add_i32 s9, s9, s8
	s_mul_i32 s8, s6, 24
	v_lshl_add_u64 v[4:5], v[0:1], 0, s[8:9]
	s_and_saveexec_b64 s[8:9], s[0:1]
	s_cbranch_execz .LBB8_12
; %bb.11:                               ;   in Loop: Header=BB8_2 Depth=1
	v_mov_b64_e32 v[48:49], s[4:5]
	global_store_dwordx4 v[4:5], v[48:51], off offset:8
.LBB8_12:                               ;   in Loop: Header=BB8_2 Depth=1
	s_or_b64 exec, exec, s[8:9]
	s_lshl_b64 s[4:5], s[6:7], 12
	v_lshl_add_u64 v[6:7], v[2:3], 0, s[4:5]
	v_mov_b64_e32 v[8:9], s[20:21]
	v_readfirstlane_b32 s4, v6
	v_readfirstlane_b32 s5, v7
	v_mov_b64_e32 v[10:11], s[22:23]
	s_nop 3
	global_store_dwordx4 v56, v[40:43], s[4:5]
	global_store_dwordx4 v56, v[8:11], s[4:5] offset:16
	global_store_dwordx4 v56, v[8:11], s[4:5] offset:32
	;; [unrolled: 1-line block ×3, first 2 shown]
	s_and_saveexec_b64 s[4:5], s[0:1]
	s_cbranch_execz .LBB8_20
; %bb.13:                               ;   in Loop: Header=BB8_2 Depth=1
	global_load_dwordx2 v[12:13], v55, s[26:27] offset:32 sc0 sc1
	global_load_dwordx2 v[2:3], v55, s[26:27] offset:40
	v_mov_b32_e32 v10, s2
	v_mov_b32_e32 v11, s3
	s_waitcnt vmcnt(0)
	v_and_b32_e32 v2, s2, v2
	v_and_b32_e32 v3, s3, v3
	v_mul_lo_u32 v3, v3, 24
	v_mul_hi_u32 v8, v2, 24
	v_mul_lo_u32 v2, v2, 24
	v_add_u32_e32 v3, v8, v3
	v_lshl_add_u64 v[8:9], v[0:1], 0, v[2:3]
	global_store_dwordx2 v[8:9], v[12:13], off
	buffer_wbl2 sc0 sc1
	s_waitcnt vmcnt(0)
	global_atomic_cmpswap_x2 v[2:3], v55, v[10:13], s[26:27] offset:32 sc0 sc1
	s_waitcnt vmcnt(0)
	v_cmp_ne_u64_e32 vcc, v[2:3], v[12:13]
	s_and_saveexec_b64 s[6:7], vcc
	s_cbranch_execz .LBB8_16
; %bb.14:                               ;   in Loop: Header=BB8_2 Depth=1
	s_mov_b64 s[8:9], 0
.LBB8_15:                               ;   Parent Loop BB8_2 Depth=1
                                        ; =>  This Inner Loop Header: Depth=2
	s_sleep 1
	global_store_dwordx2 v[8:9], v[2:3], off
	v_mov_b32_e32 v0, s2
	v_mov_b32_e32 v1, s3
	buffer_wbl2 sc0 sc1
	s_waitcnt vmcnt(0)
	global_atomic_cmpswap_x2 v[0:1], v55, v[0:3], s[26:27] offset:32 sc0 sc1
	s_waitcnt vmcnt(0)
	v_cmp_eq_u64_e32 vcc, v[0:1], v[2:3]
	s_or_b64 s[8:9], vcc, s[8:9]
	v_mov_b64_e32 v[2:3], v[0:1]
	s_andn2_b64 exec, exec, s[8:9]
	s_cbranch_execnz .LBB8_15
.LBB8_16:                               ;   in Loop: Header=BB8_2 Depth=1
	s_or_b64 exec, exec, s[6:7]
	global_load_dwordx2 v[0:1], v55, s[26:27] offset:16
	s_mov_b64 s[8:9], exec
	v_mbcnt_lo_u32_b32 v2, s8, 0
	v_mbcnt_hi_u32_b32 v2, s9, v2
	v_cmp_eq_u32_e32 vcc, 0, v2
	s_and_saveexec_b64 s[6:7], vcc
	s_cbranch_execz .LBB8_18
; %bb.17:                               ;   in Loop: Header=BB8_2 Depth=1
	s_bcnt1_i32_b64 s8, s[8:9]
	v_mov_b32_e32 v54, s8
	buffer_wbl2 sc0 sc1
	s_waitcnt vmcnt(0)
	global_atomic_add_x2 v[0:1], v[54:55], off offset:8 sc1
.LBB8_18:                               ;   in Loop: Header=BB8_2 Depth=1
	s_or_b64 exec, exec, s[6:7]
	s_waitcnt vmcnt(0)
	global_load_dwordx2 v[2:3], v[0:1], off offset:16
	s_waitcnt vmcnt(0)
	v_cmp_eq_u64_e32 vcc, 0, v[2:3]
	s_cbranch_vccnz .LBB8_20
; %bb.19:                               ;   in Loop: Header=BB8_2 Depth=1
	global_load_dword v54, v[0:1], off offset:24
	s_waitcnt vmcnt(0)
	v_and_b32_e32 v0, 0xffffff, v54
	s_nop 0
	v_readfirstlane_b32 m0, v0
	buffer_wbl2 sc0 sc1
	global_store_dwordx2 v[2:3], v[54:55], off sc0 sc1
	s_sendmsg sendmsg(MSG_INTERRUPT)
.LBB8_20:                               ;   in Loop: Header=BB8_2 Depth=1
	s_or_b64 exec, exec, s[4:5]
	v_mov_b32_e32 v57, v55
	v_lshl_add_u64 v[0:1], v[6:7], 0, v[56:57]
	s_branch .LBB8_24
.LBB8_21:                               ;   in Loop: Header=BB8_24 Depth=2
	s_or_b64 exec, exec, s[4:5]
	v_readfirstlane_b32 s4, v2
	s_cmp_eq_u32 s4, 0
	s_cbranch_scc1 .LBB8_23
; %bb.22:                               ;   in Loop: Header=BB8_24 Depth=2
	s_sleep 1
	s_cbranch_execnz .LBB8_24
	s_branch .LBB8_26
.LBB8_23:                               ;   in Loop: Header=BB8_2 Depth=1
	s_branch .LBB8_26
.LBB8_24:                               ;   Parent Loop BB8_2 Depth=1
                                        ; =>  This Inner Loop Header: Depth=2
	v_mov_b32_e32 v2, 1
	s_and_saveexec_b64 s[4:5], s[0:1]
	s_cbranch_execz .LBB8_21
; %bb.25:                               ;   in Loop: Header=BB8_24 Depth=2
	global_load_dword v2, v[4:5], off offset:20 sc0 sc1
	s_waitcnt vmcnt(0)
	buffer_inv sc0 sc1
	v_and_b32_e32 v2, 1, v2
	s_branch .LBB8_21
.LBB8_26:                               ;   in Loop: Header=BB8_2 Depth=1
	global_load_dwordx2 v[52:53], v[0:1], off
	s_and_saveexec_b64 s[4:5], s[0:1]
	s_cbranch_execz .LBB8_30
; %bb.27:                               ;   in Loop: Header=BB8_2 Depth=1
	global_load_dwordx2 v[4:5], v55, s[26:27] offset:40
	global_load_dwordx2 v[6:7], v55, s[26:27] offset:24 sc0 sc1
	global_load_dwordx2 v[8:9], v55, s[26:27]
	s_waitcnt vmcnt(2)
	v_lshl_add_u64 v[0:1], v[4:5], 0, 1
	v_lshl_add_u64 v[10:11], v[0:1], 0, s[2:3]
	v_cmp_eq_u64_e32 vcc, 0, v[10:11]
	s_waitcnt vmcnt(1)
	v_mov_b32_e32 v2, v6
	v_cndmask_b32_e32 v1, v11, v1, vcc
	v_cndmask_b32_e32 v0, v10, v0, vcc
	v_and_b32_e32 v3, v1, v5
	v_and_b32_e32 v4, v0, v4
	v_mul_lo_u32 v3, v3, 24
	v_mul_hi_u32 v5, v4, 24
	v_mul_lo_u32 v4, v4, 24
	v_add_u32_e32 v5, v5, v3
	s_waitcnt vmcnt(0)
	v_lshl_add_u64 v[4:5], v[8:9], 0, v[4:5]
	global_store_dwordx2 v[4:5], v[6:7], off
	v_mov_b32_e32 v3, v7
	buffer_wbl2 sc0 sc1
	s_waitcnt vmcnt(0)
	global_atomic_cmpswap_x2 v[2:3], v55, v[0:3], s[26:27] offset:24 sc0 sc1
	s_waitcnt vmcnt(0)
	v_cmp_ne_u64_e32 vcc, v[2:3], v[6:7]
	s_and_b64 exec, exec, vcc
	s_cbranch_execz .LBB8_30
; %bb.28:                               ;   in Loop: Header=BB8_2 Depth=1
	s_mov_b64 s[0:1], 0
.LBB8_29:                               ;   Parent Loop BB8_2 Depth=1
                                        ; =>  This Inner Loop Header: Depth=2
	s_sleep 1
	global_store_dwordx2 v[4:5], v[2:3], off
	buffer_wbl2 sc0 sc1
	s_waitcnt vmcnt(0)
	global_atomic_cmpswap_x2 v[6:7], v55, v[0:3], s[26:27] offset:24 sc0 sc1
	s_waitcnt vmcnt(0)
	v_cmp_eq_u64_e32 vcc, v[6:7], v[2:3]
	s_or_b64 s[0:1], vcc, s[0:1]
	v_mov_b64_e32 v[2:3], v[6:7]
	s_andn2_b64 exec, exec, s[0:1]
	s_cbranch_execnz .LBB8_29
.LBB8_30:                               ;   in Loop: Header=BB8_2 Depth=1
	s_or_b64 exec, exec, s[4:5]
	s_and_b64 vcc, exec, s[24:25]
	s_cbranch_vccz .LBB8_115
; %bb.31:                               ;   in Loop: Header=BB8_2 Depth=1
	s_waitcnt vmcnt(0)
	v_and_b32_e32 v20, 2, v52
	v_and_b32_e32 v0, -3, v52
	v_mov_b32_e32 v1, v53
	s_mov_b64 s[4:5], 4
	s_getpc_b64 s[2:3]
	s_add_u32 s2, s2, .str.7@rel32@lo+4
	s_addc_u32 s3, s3, .str.7@rel32@hi+12
	s_branch .LBB8_33
.LBB8_32:                               ;   in Loop: Header=BB8_33 Depth=2
	s_or_b64 exec, exec, s[10:11]
	s_sub_u32 s4, s4, s6
	s_subb_u32 s5, s5, s7
	s_add_u32 s2, s2, s6
	s_addc_u32 s3, s3, s7
	s_cmp_lg_u64 s[4:5], 0
	s_cbranch_scc0 .LBB8_114
.LBB8_33:                               ;   Parent Loop BB8_2 Depth=1
                                        ; =>  This Loop Header: Depth=2
                                        ;       Child Loop BB8_36 Depth 3
                                        ;       Child Loop BB8_43 Depth 3
	;; [unrolled: 1-line block ×11, first 2 shown]
	v_cmp_lt_u64_e64 s[0:1], s[4:5], 56
	s_and_b64 s[0:1], s[0:1], exec
	v_cmp_gt_u64_e64 s[0:1], s[4:5], 7
	s_cselect_b32 s7, s5, 0
	s_cselect_b32 s6, s4, 56
	s_and_b64 vcc, exec, s[0:1]
	s_cbranch_vccnz .LBB8_38
; %bb.34:                               ;   in Loop: Header=BB8_33 Depth=2
	s_mov_b64 s[0:1], 0
	s_cmp_eq_u64 s[4:5], 0
	s_waitcnt vmcnt(0)
	v_mov_b64_e32 v[2:3], 0
	s_cbranch_scc1 .LBB8_37
; %bb.35:                               ;   in Loop: Header=BB8_33 Depth=2
	s_lshl_b64 s[8:9], s[6:7], 3
	s_mov_b64 s[10:11], 0
	v_mov_b64_e32 v[2:3], 0
	s_mov_b64 s[12:13], s[2:3]
.LBB8_36:                               ;   Parent Loop BB8_2 Depth=1
                                        ;     Parent Loop BB8_33 Depth=2
                                        ; =>    This Inner Loop Header: Depth=3
	global_load_ubyte v4, v55, s[12:13]
	s_waitcnt vmcnt(0)
	v_and_b32_e32 v54, 0xffff, v4
	v_lshlrev_b64 v[4:5], s10, v[54:55]
	s_add_u32 s10, s10, 8
	s_addc_u32 s11, s11, 0
	s_add_u32 s12, s12, 1
	s_addc_u32 s13, s13, 0
	v_or_b32_e32 v2, v4, v2
	s_cmp_lg_u32 s8, s10
	v_or_b32_e32 v3, v5, v3
	s_cbranch_scc1 .LBB8_36
.LBB8_37:                               ;   in Loop: Header=BB8_33 Depth=2
	s_mov_b32 s12, 0
	s_andn2_b64 vcc, exec, s[0:1]
	s_mov_b64 s[0:1], s[2:3]
	s_cbranch_vccz .LBB8_39
	s_branch .LBB8_40
.LBB8_38:                               ;   in Loop: Header=BB8_33 Depth=2
                                        ; implicit-def: $vgpr2_vgpr3
                                        ; implicit-def: $sgpr12
	s_mov_b64 s[0:1], s[2:3]
.LBB8_39:                               ;   in Loop: Header=BB8_33 Depth=2
	global_load_dwordx2 v[2:3], v55, s[2:3]
	s_add_i32 s12, s6, -8
	s_add_u32 s0, s2, 8
	s_addc_u32 s1, s3, 0
.LBB8_40:                               ;   in Loop: Header=BB8_33 Depth=2
	s_cmp_gt_u32 s12, 7
	s_cbranch_scc1 .LBB8_44
; %bb.41:                               ;   in Loop: Header=BB8_33 Depth=2
	s_cmp_eq_u32 s12, 0
	s_cbranch_scc1 .LBB8_45
; %bb.42:                               ;   in Loop: Header=BB8_33 Depth=2
	s_mov_b64 s[8:9], 0
	v_mov_b64_e32 v[4:5], 0
	s_mov_b64 s[10:11], 0
.LBB8_43:                               ;   Parent Loop BB8_2 Depth=1
                                        ;     Parent Loop BB8_33 Depth=2
                                        ; =>    This Inner Loop Header: Depth=3
	s_add_u32 s14, s0, s10
	s_addc_u32 s15, s1, s11
	global_load_ubyte v6, v55, s[14:15]
	s_add_u32 s10, s10, 1
	s_addc_u32 s11, s11, 0
	s_waitcnt vmcnt(0)
	v_and_b32_e32 v54, 0xffff, v6
	v_lshlrev_b64 v[6:7], s8, v[54:55]
	s_add_u32 s8, s8, 8
	s_addc_u32 s9, s9, 0
	v_or_b32_e32 v4, v6, v4
	s_cmp_lg_u32 s12, s10
	v_or_b32_e32 v5, v7, v5
	s_cbranch_scc1 .LBB8_43
	s_branch .LBB8_46
.LBB8_44:                               ;   in Loop: Header=BB8_33 Depth=2
                                        ; implicit-def: $vgpr4_vgpr5
                                        ; implicit-def: $sgpr13
	s_branch .LBB8_47
.LBB8_45:                               ;   in Loop: Header=BB8_33 Depth=2
	v_mov_b64_e32 v[4:5], 0
.LBB8_46:                               ;   in Loop: Header=BB8_33 Depth=2
	s_mov_b32 s13, 0
	s_cbranch_execnz .LBB8_48
.LBB8_47:                               ;   in Loop: Header=BB8_33 Depth=2
	global_load_dwordx2 v[4:5], v55, s[0:1]
	s_add_i32 s13, s12, -8
	s_add_u32 s0, s0, 8
	s_addc_u32 s1, s1, 0
.LBB8_48:                               ;   in Loop: Header=BB8_33 Depth=2
	s_cmp_gt_u32 s13, 7
	s_cbranch_scc1 .LBB8_52
; %bb.49:                               ;   in Loop: Header=BB8_33 Depth=2
	s_cmp_eq_u32 s13, 0
	s_cbranch_scc1 .LBB8_53
; %bb.50:                               ;   in Loop: Header=BB8_33 Depth=2
	s_mov_b64 s[8:9], 0
	v_mov_b64_e32 v[6:7], 0
	s_mov_b64 s[10:11], 0
.LBB8_51:                               ;   Parent Loop BB8_2 Depth=1
                                        ;     Parent Loop BB8_33 Depth=2
                                        ; =>    This Inner Loop Header: Depth=3
	s_add_u32 s14, s0, s10
	s_addc_u32 s15, s1, s11
	global_load_ubyte v8, v55, s[14:15]
	s_add_u32 s10, s10, 1
	s_addc_u32 s11, s11, 0
	s_waitcnt vmcnt(0)
	v_and_b32_e32 v54, 0xffff, v8
	v_lshlrev_b64 v[8:9], s8, v[54:55]
	s_add_u32 s8, s8, 8
	s_addc_u32 s9, s9, 0
	v_or_b32_e32 v6, v8, v6
	s_cmp_lg_u32 s13, s10
	v_or_b32_e32 v7, v9, v7
	s_cbranch_scc1 .LBB8_51
	s_branch .LBB8_54
.LBB8_52:                               ;   in Loop: Header=BB8_33 Depth=2
                                        ; implicit-def: $sgpr12
	s_branch .LBB8_55
.LBB8_53:                               ;   in Loop: Header=BB8_33 Depth=2
	v_mov_b64_e32 v[6:7], 0
.LBB8_54:                               ;   in Loop: Header=BB8_33 Depth=2
	s_mov_b32 s12, 0
	s_cbranch_execnz .LBB8_56
.LBB8_55:                               ;   in Loop: Header=BB8_33 Depth=2
	global_load_dwordx2 v[6:7], v55, s[0:1]
	s_add_i32 s12, s13, -8
	s_add_u32 s0, s0, 8
	s_addc_u32 s1, s1, 0
.LBB8_56:                               ;   in Loop: Header=BB8_33 Depth=2
	s_cmp_gt_u32 s12, 7
	s_cbranch_scc1 .LBB8_60
; %bb.57:                               ;   in Loop: Header=BB8_33 Depth=2
	s_cmp_eq_u32 s12, 0
	s_cbranch_scc1 .LBB8_61
; %bb.58:                               ;   in Loop: Header=BB8_33 Depth=2
	s_mov_b64 s[8:9], 0
	v_mov_b64_e32 v[8:9], 0
	s_mov_b64 s[10:11], 0
.LBB8_59:                               ;   Parent Loop BB8_2 Depth=1
                                        ;     Parent Loop BB8_33 Depth=2
                                        ; =>    This Inner Loop Header: Depth=3
	s_add_u32 s14, s0, s10
	s_addc_u32 s15, s1, s11
	global_load_ubyte v10, v55, s[14:15]
	s_add_u32 s10, s10, 1
	s_addc_u32 s11, s11, 0
	s_waitcnt vmcnt(0)
	v_and_b32_e32 v54, 0xffff, v10
	v_lshlrev_b64 v[10:11], s8, v[54:55]
	s_add_u32 s8, s8, 8
	s_addc_u32 s9, s9, 0
	v_or_b32_e32 v8, v10, v8
	s_cmp_lg_u32 s12, s10
	v_or_b32_e32 v9, v11, v9
	s_cbranch_scc1 .LBB8_59
	s_branch .LBB8_62
.LBB8_60:                               ;   in Loop: Header=BB8_33 Depth=2
                                        ; implicit-def: $vgpr8_vgpr9
                                        ; implicit-def: $sgpr13
	s_branch .LBB8_63
.LBB8_61:                               ;   in Loop: Header=BB8_33 Depth=2
	v_mov_b64_e32 v[8:9], 0
.LBB8_62:                               ;   in Loop: Header=BB8_33 Depth=2
	s_mov_b32 s13, 0
	s_cbranch_execnz .LBB8_64
.LBB8_63:                               ;   in Loop: Header=BB8_33 Depth=2
	global_load_dwordx2 v[8:9], v55, s[0:1]
	s_add_i32 s13, s12, -8
	s_add_u32 s0, s0, 8
	s_addc_u32 s1, s1, 0
.LBB8_64:                               ;   in Loop: Header=BB8_33 Depth=2
	s_cmp_gt_u32 s13, 7
	s_cbranch_scc1 .LBB8_68
; %bb.65:                               ;   in Loop: Header=BB8_33 Depth=2
	s_cmp_eq_u32 s13, 0
	s_cbranch_scc1 .LBB8_69
; %bb.66:                               ;   in Loop: Header=BB8_33 Depth=2
	s_mov_b64 s[8:9], 0
	v_mov_b64_e32 v[10:11], 0
	s_mov_b64 s[10:11], 0
.LBB8_67:                               ;   Parent Loop BB8_2 Depth=1
                                        ;     Parent Loop BB8_33 Depth=2
                                        ; =>    This Inner Loop Header: Depth=3
	s_add_u32 s14, s0, s10
	s_addc_u32 s15, s1, s11
	global_load_ubyte v12, v55, s[14:15]
	s_add_u32 s10, s10, 1
	s_addc_u32 s11, s11, 0
	s_waitcnt vmcnt(0)
	v_and_b32_e32 v54, 0xffff, v12
	v_lshlrev_b64 v[12:13], s8, v[54:55]
	s_add_u32 s8, s8, 8
	s_addc_u32 s9, s9, 0
	v_or_b32_e32 v10, v12, v10
	s_cmp_lg_u32 s13, s10
	v_or_b32_e32 v11, v13, v11
	s_cbranch_scc1 .LBB8_67
	s_branch .LBB8_70
.LBB8_68:                               ;   in Loop: Header=BB8_33 Depth=2
                                        ; implicit-def: $sgpr12
	s_branch .LBB8_71
.LBB8_69:                               ;   in Loop: Header=BB8_33 Depth=2
	v_mov_b64_e32 v[10:11], 0
.LBB8_70:                               ;   in Loop: Header=BB8_33 Depth=2
	s_mov_b32 s12, 0
	s_cbranch_execnz .LBB8_72
.LBB8_71:                               ;   in Loop: Header=BB8_33 Depth=2
	global_load_dwordx2 v[10:11], v55, s[0:1]
	s_add_i32 s12, s13, -8
	s_add_u32 s0, s0, 8
	s_addc_u32 s1, s1, 0
.LBB8_72:                               ;   in Loop: Header=BB8_33 Depth=2
	s_cmp_gt_u32 s12, 7
	s_cbranch_scc1 .LBB8_76
; %bb.73:                               ;   in Loop: Header=BB8_33 Depth=2
	s_cmp_eq_u32 s12, 0
	s_cbranch_scc1 .LBB8_77
; %bb.74:                               ;   in Loop: Header=BB8_33 Depth=2
	s_mov_b64 s[8:9], 0
	v_mov_b64_e32 v[12:13], 0
	s_mov_b64 s[10:11], 0
.LBB8_75:                               ;   Parent Loop BB8_2 Depth=1
                                        ;     Parent Loop BB8_33 Depth=2
                                        ; =>    This Inner Loop Header: Depth=3
	s_add_u32 s14, s0, s10
	s_addc_u32 s15, s1, s11
	global_load_ubyte v14, v55, s[14:15]
	s_add_u32 s10, s10, 1
	s_addc_u32 s11, s11, 0
	s_waitcnt vmcnt(0)
	v_and_b32_e32 v54, 0xffff, v14
	v_lshlrev_b64 v[14:15], s8, v[54:55]
	s_add_u32 s8, s8, 8
	s_addc_u32 s9, s9, 0
	v_or_b32_e32 v12, v14, v12
	s_cmp_lg_u32 s12, s10
	v_or_b32_e32 v13, v15, v13
	s_cbranch_scc1 .LBB8_75
	s_branch .LBB8_78
.LBB8_76:                               ;   in Loop: Header=BB8_33 Depth=2
                                        ; implicit-def: $vgpr12_vgpr13
                                        ; implicit-def: $sgpr13
	s_branch .LBB8_79
.LBB8_77:                               ;   in Loop: Header=BB8_33 Depth=2
	v_mov_b64_e32 v[12:13], 0
.LBB8_78:                               ;   in Loop: Header=BB8_33 Depth=2
	s_mov_b32 s13, 0
	s_cbranch_execnz .LBB8_80
.LBB8_79:                               ;   in Loop: Header=BB8_33 Depth=2
	global_load_dwordx2 v[12:13], v55, s[0:1]
	s_add_i32 s13, s12, -8
	s_add_u32 s0, s0, 8
	s_addc_u32 s1, s1, 0
.LBB8_80:                               ;   in Loop: Header=BB8_33 Depth=2
	s_cmp_gt_u32 s13, 7
	s_cbranch_scc1 .LBB8_84
; %bb.81:                               ;   in Loop: Header=BB8_33 Depth=2
	s_cmp_eq_u32 s13, 0
	s_cbranch_scc1 .LBB8_85
; %bb.82:                               ;   in Loop: Header=BB8_33 Depth=2
	s_mov_b64 s[8:9], 0
	v_mov_b64_e32 v[14:15], 0
	s_mov_b64 s[10:11], s[0:1]
.LBB8_83:                               ;   Parent Loop BB8_2 Depth=1
                                        ;     Parent Loop BB8_33 Depth=2
                                        ; =>    This Inner Loop Header: Depth=3
	global_load_ubyte v16, v55, s[10:11]
	s_add_i32 s13, s13, -1
	s_waitcnt vmcnt(0)
	v_and_b32_e32 v54, 0xffff, v16
	v_lshlrev_b64 v[16:17], s8, v[54:55]
	s_add_u32 s8, s8, 8
	s_addc_u32 s9, s9, 0
	s_add_u32 s10, s10, 1
	s_addc_u32 s11, s11, 0
	v_or_b32_e32 v14, v16, v14
	s_cmp_lg_u32 s13, 0
	v_or_b32_e32 v15, v17, v15
	s_cbranch_scc1 .LBB8_83
	s_branch .LBB8_86
.LBB8_84:                               ;   in Loop: Header=BB8_33 Depth=2
	s_branch .LBB8_87
.LBB8_85:                               ;   in Loop: Header=BB8_33 Depth=2
	v_mov_b64_e32 v[14:15], 0
.LBB8_86:                               ;   in Loop: Header=BB8_33 Depth=2
	s_cbranch_execnz .LBB8_88
.LBB8_87:                               ;   in Loop: Header=BB8_33 Depth=2
	global_load_dwordx2 v[14:15], v55, s[0:1]
.LBB8_88:                               ;   in Loop: Header=BB8_33 Depth=2
	v_readfirstlane_b32 s0, v46
	v_mov_b64_e32 v[22:23], 0
	s_nop 0
	v_cmp_eq_u32_e64 s[0:1], s0, v46
	s_and_saveexec_b64 s[8:9], s[0:1]
	s_cbranch_execz .LBB8_94
; %bb.89:                               ;   in Loop: Header=BB8_33 Depth=2
	global_load_dwordx2 v[18:19], v55, s[26:27] offset:24 sc0 sc1
	s_waitcnt vmcnt(0)
	buffer_inv sc0 sc1
	global_load_dwordx2 v[16:17], v55, s[26:27] offset:40
	global_load_dwordx2 v[22:23], v55, s[26:27]
	s_waitcnt vmcnt(1)
	v_and_b32_e32 v16, v16, v18
	v_and_b32_e32 v17, v17, v19
	v_mul_lo_u32 v17, v17, 24
	v_mul_hi_u32 v24, v16, 24
	v_add_u32_e32 v17, v24, v17
	v_mul_lo_u32 v16, v16, 24
	s_waitcnt vmcnt(0)
	v_lshl_add_u64 v[16:17], v[22:23], 0, v[16:17]
	global_load_dwordx2 v[16:17], v[16:17], off sc0 sc1
	s_waitcnt vmcnt(0)
	global_atomic_cmpswap_x2 v[22:23], v55, v[16:19], s[26:27] offset:24 sc0 sc1
	s_waitcnt vmcnt(0)
	buffer_inv sc0 sc1
	v_cmp_ne_u64_e32 vcc, v[22:23], v[18:19]
	s_and_saveexec_b64 s[10:11], vcc
	s_cbranch_execz .LBB8_93
; %bb.90:                               ;   in Loop: Header=BB8_33 Depth=2
	s_mov_b64 s[12:13], 0
.LBB8_91:                               ;   Parent Loop BB8_2 Depth=1
                                        ;     Parent Loop BB8_33 Depth=2
                                        ; =>    This Inner Loop Header: Depth=3
	s_sleep 1
	global_load_dwordx2 v[16:17], v55, s[26:27] offset:40
	global_load_dwordx2 v[24:25], v55, s[26:27]
	v_mov_b64_e32 v[18:19], v[22:23]
	s_waitcnt vmcnt(1)
	v_and_b32_e32 v16, v16, v18
	v_and_b32_e32 v23, v17, v19
	s_waitcnt vmcnt(0)
	v_mad_u64_u32 v[16:17], s[14:15], v16, 24, v[24:25]
	v_mov_b32_e32 v22, v17
	v_mad_u64_u32 v[22:23], s[14:15], v23, 24, v[22:23]
	v_mov_b32_e32 v17, v22
	global_load_dwordx2 v[16:17], v[16:17], off sc0 sc1
	s_waitcnt vmcnt(0)
	global_atomic_cmpswap_x2 v[22:23], v55, v[16:19], s[26:27] offset:24 sc0 sc1
	s_waitcnt vmcnt(0)
	buffer_inv sc0 sc1
	v_cmp_eq_u64_e32 vcc, v[22:23], v[18:19]
	s_or_b64 s[12:13], vcc, s[12:13]
	s_andn2_b64 exec, exec, s[12:13]
	s_cbranch_execnz .LBB8_91
; %bb.92:                               ;   in Loop: Header=BB8_33 Depth=2
	s_or_b64 exec, exec, s[12:13]
.LBB8_93:                               ;   in Loop: Header=BB8_33 Depth=2
	s_or_b64 exec, exec, s[10:11]
.LBB8_94:                               ;   in Loop: Header=BB8_33 Depth=2
	s_or_b64 exec, exec, s[8:9]
	global_load_dwordx2 v[24:25], v55, s[26:27] offset:40
	global_load_dwordx4 v[16:19], v55, s[26:27]
	v_readfirstlane_b32 s8, v22
	v_readfirstlane_b32 s9, v23
	s_mov_b64 s[10:11], exec
	s_waitcnt vmcnt(1)
	v_readfirstlane_b32 s12, v24
	v_readfirstlane_b32 s13, v25
	s_and_b64 s[12:13], s[8:9], s[12:13]
	s_mul_i32 s14, s13, 24
	s_mul_hi_u32 s15, s12, 24
	s_add_i32 s15, s15, s14
	s_mul_i32 s14, s12, 24
	s_waitcnt vmcnt(0)
	v_lshl_add_u64 v[22:23], v[16:17], 0, s[14:15]
	s_and_saveexec_b64 s[14:15], s[0:1]
	s_cbranch_execz .LBB8_96
; %bb.95:                               ;   in Loop: Header=BB8_33 Depth=2
	v_mov_b64_e32 v[48:49], s[10:11]
	global_store_dwordx4 v[22:23], v[48:51], off offset:8
.LBB8_96:                               ;   in Loop: Header=BB8_33 Depth=2
	s_or_b64 exec, exec, s[14:15]
	s_lshl_b64 s[10:11], s[12:13], 12
	v_lshl_add_u64 v[18:19], v[18:19], 0, s[10:11]
	v_or_b32_e32 v25, v0, v20
	v_cmp_gt_u64_e64 vcc, s[4:5], 56
	s_lshl_b32 s10, s6, 2
	s_add_i32 s10, s10, 28
	v_cndmask_b32_e32 v0, v25, v0, vcc
	v_or_b32_e32 v24, 0, v1
	s_and_b32 s10, s10, 0x1e0
	v_and_b32_e32 v0, 0xffffff1f, v0
	v_cndmask_b32_e32 v1, v24, v1, vcc
	v_or_b32_e32 v0, s10, v0
	v_lshlrev_b32_e32 v54, 6, v46
	v_readfirstlane_b32 s10, v18
	v_readfirstlane_b32 s11, v19
	s_nop 4
	global_store_dwordx4 v54, v[0:3], s[10:11]
	global_store_dwordx4 v54, v[4:7], s[10:11] offset:16
	global_store_dwordx4 v54, v[8:11], s[10:11] offset:32
	;; [unrolled: 1-line block ×3, first 2 shown]
	s_and_saveexec_b64 s[10:11], s[0:1]
	s_cbranch_execz .LBB8_104
; %bb.97:                               ;   in Loop: Header=BB8_33 Depth=2
	global_load_dwordx2 v[8:9], v55, s[26:27] offset:32 sc0 sc1
	global_load_dwordx2 v[0:1], v55, s[26:27] offset:40
	v_mov_b32_e32 v6, s8
	v_mov_b32_e32 v7, s9
	s_waitcnt vmcnt(0)
	v_readfirstlane_b32 s12, v0
	v_readfirstlane_b32 s13, v1
	s_and_b64 s[12:13], s[12:13], s[8:9]
	s_mul_i32 s13, s13, 24
	s_mul_hi_u32 s14, s12, 24
	s_mul_i32 s12, s12, 24
	s_add_i32 s13, s14, s13
	v_lshl_add_u64 v[4:5], v[16:17], 0, s[12:13]
	global_store_dwordx2 v[4:5], v[8:9], off
	buffer_wbl2 sc0 sc1
	s_waitcnt vmcnt(0)
	global_atomic_cmpswap_x2 v[2:3], v55, v[6:9], s[26:27] offset:32 sc0 sc1
	s_waitcnt vmcnt(0)
	v_cmp_ne_u64_e32 vcc, v[2:3], v[8:9]
	s_and_saveexec_b64 s[12:13], vcc
	s_cbranch_execz .LBB8_100
; %bb.98:                               ;   in Loop: Header=BB8_33 Depth=2
	s_mov_b64 s[14:15], 0
.LBB8_99:                               ;   Parent Loop BB8_2 Depth=1
                                        ;     Parent Loop BB8_33 Depth=2
                                        ; =>    This Inner Loop Header: Depth=3
	s_sleep 1
	global_store_dwordx2 v[4:5], v[2:3], off
	v_mov_b32_e32 v0, s8
	v_mov_b32_e32 v1, s9
	buffer_wbl2 sc0 sc1
	s_waitcnt vmcnt(0)
	global_atomic_cmpswap_x2 v[0:1], v55, v[0:3], s[26:27] offset:32 sc0 sc1
	s_waitcnt vmcnt(0)
	v_cmp_eq_u64_e32 vcc, v[0:1], v[2:3]
	s_or_b64 s[14:15], vcc, s[14:15]
	v_mov_b64_e32 v[2:3], v[0:1]
	s_andn2_b64 exec, exec, s[14:15]
	s_cbranch_execnz .LBB8_99
.LBB8_100:                              ;   in Loop: Header=BB8_33 Depth=2
	s_or_b64 exec, exec, s[12:13]
	global_load_dwordx2 v[0:1], v55, s[26:27] offset:16
	s_mov_b64 s[14:15], exec
	v_mbcnt_lo_u32_b32 v2, s14, 0
	v_mbcnt_hi_u32_b32 v2, s15, v2
	v_cmp_eq_u32_e32 vcc, 0, v2
	s_and_saveexec_b64 s[12:13], vcc
	s_cbranch_execz .LBB8_102
; %bb.101:                              ;   in Loop: Header=BB8_33 Depth=2
	s_bcnt1_i32_b64 s14, s[14:15]
	v_mov_b32_e32 v2, s14
	v_mov_b32_e32 v3, v55
	buffer_wbl2 sc0 sc1
	s_waitcnt vmcnt(0)
	global_atomic_add_x2 v[0:1], v[2:3], off offset:8 sc1
.LBB8_102:                              ;   in Loop: Header=BB8_33 Depth=2
	s_or_b64 exec, exec, s[12:13]
	s_waitcnt vmcnt(0)
	global_load_dwordx2 v[2:3], v[0:1], off offset:16
	s_waitcnt vmcnt(0)
	v_cmp_eq_u64_e32 vcc, 0, v[2:3]
	s_cbranch_vccnz .LBB8_104
; %bb.103:                              ;   in Loop: Header=BB8_33 Depth=2
	global_load_dword v0, v[0:1], off offset:24
	v_mov_b32_e32 v1, v55
	buffer_wbl2 sc0 sc1
	s_waitcnt vmcnt(0)
	global_store_dwordx2 v[2:3], v[0:1], off sc0 sc1
	v_and_b32_e32 v0, 0xffffff, v0
	s_nop 0
	v_readfirstlane_b32 m0, v0
	s_sendmsg sendmsg(MSG_INTERRUPT)
.LBB8_104:                              ;   in Loop: Header=BB8_33 Depth=2
	s_or_b64 exec, exec, s[10:11]
	v_lshl_add_u64 v[0:1], v[18:19], 0, v[54:55]
	s_branch .LBB8_108
.LBB8_105:                              ;   in Loop: Header=BB8_108 Depth=3
	s_or_b64 exec, exec, s[10:11]
	v_readfirstlane_b32 s10, v2
	s_cmp_eq_u32 s10, 0
	s_cbranch_scc1 .LBB8_107
; %bb.106:                              ;   in Loop: Header=BB8_108 Depth=3
	s_sleep 1
	s_cbranch_execnz .LBB8_108
	s_branch .LBB8_110
.LBB8_107:                              ;   in Loop: Header=BB8_33 Depth=2
	s_branch .LBB8_110
.LBB8_108:                              ;   Parent Loop BB8_2 Depth=1
                                        ;     Parent Loop BB8_33 Depth=2
                                        ; =>    This Inner Loop Header: Depth=3
	v_mov_b32_e32 v2, 1
	s_and_saveexec_b64 s[10:11], s[0:1]
	s_cbranch_execz .LBB8_105
; %bb.109:                              ;   in Loop: Header=BB8_108 Depth=3
	global_load_dword v2, v[22:23], off offset:20 sc0 sc1
	s_waitcnt vmcnt(0)
	buffer_inv sc0 sc1
	v_and_b32_e32 v2, 1, v2
	s_branch .LBB8_105
.LBB8_110:                              ;   in Loop: Header=BB8_33 Depth=2
	global_load_dwordx4 v[0:3], v[0:1], off
	s_and_saveexec_b64 s[10:11], s[0:1]
	s_cbranch_execz .LBB8_32
; %bb.111:                              ;   in Loop: Header=BB8_33 Depth=2
	global_load_dwordx2 v[6:7], v55, s[26:27] offset:40
	global_load_dwordx2 v[8:9], v55, s[26:27] offset:24 sc0 sc1
	global_load_dwordx2 v[10:11], v55, s[26:27]
	s_waitcnt vmcnt(2)
	v_lshl_add_u64 v[2:3], v[6:7], 0, 1
	v_lshl_add_u64 v[12:13], v[2:3], 0, s[8:9]
	v_cmp_eq_u64_e32 vcc, 0, v[12:13]
	s_waitcnt vmcnt(1)
	v_mov_b32_e32 v4, v8
	v_cndmask_b32_e32 v3, v13, v3, vcc
	v_cndmask_b32_e32 v2, v12, v2, vcc
	v_and_b32_e32 v5, v3, v7
	v_and_b32_e32 v6, v2, v6
	v_mul_lo_u32 v5, v5, 24
	v_mul_hi_u32 v7, v6, 24
	v_mul_lo_u32 v6, v6, 24
	v_add_u32_e32 v7, v7, v5
	s_waitcnt vmcnt(0)
	v_lshl_add_u64 v[6:7], v[10:11], 0, v[6:7]
	global_store_dwordx2 v[6:7], v[8:9], off
	v_mov_b32_e32 v5, v9
	buffer_wbl2 sc0 sc1
	s_waitcnt vmcnt(0)
	global_atomic_cmpswap_x2 v[4:5], v55, v[2:5], s[26:27] offset:24 sc0 sc1
	s_waitcnt vmcnt(0)
	v_cmp_ne_u64_e32 vcc, v[4:5], v[8:9]
	s_and_b64 exec, exec, vcc
	s_cbranch_execz .LBB8_32
; %bb.112:                              ;   in Loop: Header=BB8_33 Depth=2
	s_mov_b64 s[0:1], 0
.LBB8_113:                              ;   Parent Loop BB8_2 Depth=1
                                        ;     Parent Loop BB8_33 Depth=2
                                        ; =>    This Inner Loop Header: Depth=3
	s_sleep 1
	global_store_dwordx2 v[6:7], v[4:5], off
	buffer_wbl2 sc0 sc1
	s_waitcnt vmcnt(0)
	global_atomic_cmpswap_x2 v[8:9], v55, v[2:5], s[26:27] offset:24 sc0 sc1
	s_waitcnt vmcnt(0)
	v_cmp_eq_u64_e32 vcc, v[8:9], v[4:5]
	s_or_b64 s[0:1], vcc, s[0:1]
	v_mov_b64_e32 v[4:5], v[8:9]
	s_andn2_b64 exec, exec, s[0:1]
	s_cbranch_execnz .LBB8_113
	s_branch .LBB8_32
.LBB8_114:                              ;   in Loop: Header=BB8_2 Depth=1
	s_branch .LBB8_143
.LBB8_115:                              ;   in Loop: Header=BB8_2 Depth=1
                                        ; implicit-def: $vgpr0_vgpr1
	s_cbranch_execz .LBB8_143
; %bb.116:                              ;   in Loop: Header=BB8_2 Depth=1
	v_readfirstlane_b32 s0, v46
	v_mov_b64_e32 v[4:5], 0
	s_nop 0
	v_cmp_eq_u32_e64 s[0:1], s0, v46
	s_and_saveexec_b64 s[2:3], s[0:1]
	s_cbranch_execz .LBB8_122
; %bb.117:                              ;   in Loop: Header=BB8_2 Depth=1
	global_load_dwordx2 v[2:3], v55, s[26:27] offset:24 sc0 sc1
	s_waitcnt vmcnt(0)
	buffer_inv sc0 sc1
	global_load_dwordx2 v[0:1], v55, s[26:27] offset:40
	global_load_dwordx2 v[4:5], v55, s[26:27]
	s_waitcnt vmcnt(1)
	v_and_b32_e32 v0, v0, v2
	v_and_b32_e32 v1, v1, v3
	v_mul_lo_u32 v1, v1, 24
	v_mul_hi_u32 v6, v0, 24
	v_add_u32_e32 v1, v6, v1
	v_mul_lo_u32 v0, v0, 24
	s_waitcnt vmcnt(0)
	v_lshl_add_u64 v[0:1], v[4:5], 0, v[0:1]
	global_load_dwordx2 v[0:1], v[0:1], off sc0 sc1
	s_waitcnt vmcnt(0)
	global_atomic_cmpswap_x2 v[4:5], v55, v[0:3], s[26:27] offset:24 sc0 sc1
	s_waitcnt vmcnt(0)
	buffer_inv sc0 sc1
	v_cmp_ne_u64_e32 vcc, v[4:5], v[2:3]
	s_and_saveexec_b64 s[4:5], vcc
	s_cbranch_execz .LBB8_121
; %bb.118:                              ;   in Loop: Header=BB8_2 Depth=1
	s_mov_b64 s[6:7], 0
.LBB8_119:                              ;   Parent Loop BB8_2 Depth=1
                                        ; =>  This Inner Loop Header: Depth=2
	s_sleep 1
	global_load_dwordx2 v[0:1], v55, s[26:27] offset:40
	global_load_dwordx2 v[6:7], v55, s[26:27]
	v_mov_b64_e32 v[2:3], v[4:5]
	s_waitcnt vmcnt(1)
	v_and_b32_e32 v0, v0, v2
	v_and_b32_e32 v5, v1, v3
	s_waitcnt vmcnt(0)
	v_mad_u64_u32 v[0:1], s[8:9], v0, 24, v[6:7]
	v_mov_b32_e32 v4, v1
	v_mad_u64_u32 v[4:5], s[8:9], v5, 24, v[4:5]
	v_mov_b32_e32 v1, v4
	global_load_dwordx2 v[0:1], v[0:1], off sc0 sc1
	s_waitcnt vmcnt(0)
	global_atomic_cmpswap_x2 v[4:5], v55, v[0:3], s[26:27] offset:24 sc0 sc1
	s_waitcnt vmcnt(0)
	buffer_inv sc0 sc1
	v_cmp_eq_u64_e32 vcc, v[4:5], v[2:3]
	s_or_b64 s[6:7], vcc, s[6:7]
	s_andn2_b64 exec, exec, s[6:7]
	s_cbranch_execnz .LBB8_119
; %bb.120:                              ;   in Loop: Header=BB8_2 Depth=1
	s_or_b64 exec, exec, s[6:7]
.LBB8_121:                              ;   in Loop: Header=BB8_2 Depth=1
	s_or_b64 exec, exec, s[4:5]
.LBB8_122:                              ;   in Loop: Header=BB8_2 Depth=1
	s_or_b64 exec, exec, s[2:3]
	global_load_dwordx2 v[6:7], v55, s[26:27] offset:40
	global_load_dwordx4 v[0:3], v55, s[26:27]
	v_readfirstlane_b32 s2, v4
	v_readfirstlane_b32 s3, v5
	s_mov_b64 s[4:5], exec
	s_waitcnt vmcnt(1)
	v_readfirstlane_b32 s6, v6
	v_readfirstlane_b32 s7, v7
	s_and_b64 s[6:7], s[2:3], s[6:7]
	s_mul_i32 s8, s7, 24
	s_mul_hi_u32 s9, s6, 24
	s_add_i32 s9, s9, s8
	s_mul_i32 s8, s6, 24
	s_waitcnt vmcnt(0)
	v_lshl_add_u64 v[4:5], v[0:1], 0, s[8:9]
	s_and_saveexec_b64 s[8:9], s[0:1]
	s_cbranch_execz .LBB8_124
; %bb.123:                              ;   in Loop: Header=BB8_2 Depth=1
	v_mov_b64_e32 v[48:49], s[4:5]
	global_store_dwordx4 v[4:5], v[48:51], off offset:8
.LBB8_124:                              ;   in Loop: Header=BB8_2 Depth=1
	s_or_b64 exec, exec, s[8:9]
	s_lshl_b64 s[4:5], s[6:7], 12
	v_lshl_add_u64 v[6:7], v[2:3], 0, s[4:5]
	v_mov_b64_e32 v[10:11], s[20:21]
	v_and_or_b32 v52, v52, s34, 32
	v_lshlrev_b32_e32 v8, 6, v46
	v_mov_b32_e32 v54, v55
	v_readfirstlane_b32 s4, v6
	v_readfirstlane_b32 s5, v7
	v_mov_b64_e32 v[12:13], s[22:23]
	s_nop 3
	global_store_dwordx4 v8, v[52:55], s[4:5]
	global_store_dwordx4 v8, v[10:13], s[4:5] offset:16
	global_store_dwordx4 v8, v[10:13], s[4:5] offset:32
	;; [unrolled: 1-line block ×3, first 2 shown]
	s_and_saveexec_b64 s[4:5], s[0:1]
	s_cbranch_execz .LBB8_132
; %bb.125:                              ;   in Loop: Header=BB8_2 Depth=1
	global_load_dwordx2 v[14:15], v55, s[26:27] offset:32 sc0 sc1
	global_load_dwordx2 v[2:3], v55, s[26:27] offset:40
	v_mov_b32_e32 v12, s2
	v_mov_b32_e32 v13, s3
	s_waitcnt vmcnt(0)
	v_readfirstlane_b32 s6, v2
	v_readfirstlane_b32 s7, v3
	s_and_b64 s[6:7], s[6:7], s[2:3]
	s_mul_i32 s7, s7, 24
	s_mul_hi_u32 s8, s6, 24
	s_mul_i32 s6, s6, 24
	s_add_i32 s7, s8, s7
	v_lshl_add_u64 v[10:11], v[0:1], 0, s[6:7]
	global_store_dwordx2 v[10:11], v[14:15], off
	buffer_wbl2 sc0 sc1
	s_waitcnt vmcnt(0)
	global_atomic_cmpswap_x2 v[2:3], v55, v[12:15], s[26:27] offset:32 sc0 sc1
	s_waitcnt vmcnt(0)
	v_cmp_ne_u64_e32 vcc, v[2:3], v[14:15]
	s_and_saveexec_b64 s[6:7], vcc
	s_cbranch_execz .LBB8_128
; %bb.126:                              ;   in Loop: Header=BB8_2 Depth=1
	s_mov_b64 s[8:9], 0
.LBB8_127:                              ;   Parent Loop BB8_2 Depth=1
                                        ; =>  This Inner Loop Header: Depth=2
	s_sleep 1
	global_store_dwordx2 v[10:11], v[2:3], off
	v_mov_b32_e32 v0, s2
	v_mov_b32_e32 v1, s3
	buffer_wbl2 sc0 sc1
	s_waitcnt vmcnt(0)
	global_atomic_cmpswap_x2 v[0:1], v55, v[0:3], s[26:27] offset:32 sc0 sc1
	s_waitcnt vmcnt(0)
	v_cmp_eq_u64_e32 vcc, v[0:1], v[2:3]
	s_or_b64 s[8:9], vcc, s[8:9]
	v_mov_b64_e32 v[2:3], v[0:1]
	s_andn2_b64 exec, exec, s[8:9]
	s_cbranch_execnz .LBB8_127
.LBB8_128:                              ;   in Loop: Header=BB8_2 Depth=1
	s_or_b64 exec, exec, s[6:7]
	global_load_dwordx2 v[0:1], v55, s[26:27] offset:16
	s_mov_b64 s[8:9], exec
	v_mbcnt_lo_u32_b32 v2, s8, 0
	v_mbcnt_hi_u32_b32 v2, s9, v2
	v_cmp_eq_u32_e32 vcc, 0, v2
	s_and_saveexec_b64 s[6:7], vcc
	s_cbranch_execz .LBB8_130
; %bb.129:                              ;   in Loop: Header=BB8_2 Depth=1
	s_bcnt1_i32_b64 s8, s[8:9]
	v_mov_b32_e32 v54, s8
	buffer_wbl2 sc0 sc1
	s_waitcnt vmcnt(0)
	global_atomic_add_x2 v[0:1], v[54:55], off offset:8 sc1
.LBB8_130:                              ;   in Loop: Header=BB8_2 Depth=1
	s_or_b64 exec, exec, s[6:7]
	s_waitcnt vmcnt(0)
	global_load_dwordx2 v[2:3], v[0:1], off offset:16
	s_waitcnt vmcnt(0)
	v_cmp_eq_u64_e32 vcc, 0, v[2:3]
	s_cbranch_vccnz .LBB8_132
; %bb.131:                              ;   in Loop: Header=BB8_2 Depth=1
	global_load_dword v54, v[0:1], off offset:24
	s_waitcnt vmcnt(0)
	v_and_b32_e32 v0, 0xffffff, v54
	s_nop 0
	v_readfirstlane_b32 m0, v0
	buffer_wbl2 sc0 sc1
	global_store_dwordx2 v[2:3], v[54:55], off sc0 sc1
	s_sendmsg sendmsg(MSG_INTERRUPT)
.LBB8_132:                              ;   in Loop: Header=BB8_2 Depth=1
	s_or_b64 exec, exec, s[4:5]
	v_mov_b32_e32 v9, v55
	v_lshl_add_u64 v[0:1], v[6:7], 0, v[8:9]
	s_branch .LBB8_136
.LBB8_133:                              ;   in Loop: Header=BB8_136 Depth=2
	s_or_b64 exec, exec, s[4:5]
	v_readfirstlane_b32 s4, v2
	s_cmp_eq_u32 s4, 0
	s_cbranch_scc1 .LBB8_135
; %bb.134:                              ;   in Loop: Header=BB8_136 Depth=2
	s_sleep 1
	s_cbranch_execnz .LBB8_136
	s_branch .LBB8_138
.LBB8_135:                              ;   in Loop: Header=BB8_2 Depth=1
	s_branch .LBB8_138
.LBB8_136:                              ;   Parent Loop BB8_2 Depth=1
                                        ; =>  This Inner Loop Header: Depth=2
	v_mov_b32_e32 v2, 1
	s_and_saveexec_b64 s[4:5], s[0:1]
	s_cbranch_execz .LBB8_133
; %bb.137:                              ;   in Loop: Header=BB8_136 Depth=2
	global_load_dword v2, v[4:5], off offset:20 sc0 sc1
	s_waitcnt vmcnt(0)
	buffer_inv sc0 sc1
	v_and_b32_e32 v2, 1, v2
	s_branch .LBB8_133
.LBB8_138:                              ;   in Loop: Header=BB8_2 Depth=1
	global_load_dwordx2 v[0:1], v[0:1], off
	s_and_saveexec_b64 s[4:5], s[0:1]
	s_cbranch_execz .LBB8_142
; %bb.139:                              ;   in Loop: Header=BB8_2 Depth=1
	global_load_dwordx2 v[6:7], v55, s[26:27] offset:40
	global_load_dwordx2 v[8:9], v55, s[26:27] offset:24 sc0 sc1
	global_load_dwordx2 v[10:11], v55, s[26:27]
	s_waitcnt vmcnt(2)
	v_lshl_add_u64 v[2:3], v[6:7], 0, 1
	v_lshl_add_u64 v[12:13], v[2:3], 0, s[2:3]
	v_cmp_eq_u64_e32 vcc, 0, v[12:13]
	s_waitcnt vmcnt(1)
	v_mov_b32_e32 v4, v8
	v_cndmask_b32_e32 v3, v13, v3, vcc
	v_cndmask_b32_e32 v2, v12, v2, vcc
	v_and_b32_e32 v5, v3, v7
	v_and_b32_e32 v6, v2, v6
	v_mul_lo_u32 v5, v5, 24
	v_mul_hi_u32 v7, v6, 24
	v_mul_lo_u32 v6, v6, 24
	v_add_u32_e32 v7, v7, v5
	s_waitcnt vmcnt(0)
	v_lshl_add_u64 v[6:7], v[10:11], 0, v[6:7]
	global_store_dwordx2 v[6:7], v[8:9], off
	v_mov_b32_e32 v5, v9
	buffer_wbl2 sc0 sc1
	s_waitcnt vmcnt(0)
	global_atomic_cmpswap_x2 v[4:5], v55, v[2:5], s[26:27] offset:24 sc0 sc1
	s_waitcnt vmcnt(0)
	v_cmp_ne_u64_e32 vcc, v[4:5], v[8:9]
	s_and_b64 exec, exec, vcc
	s_cbranch_execz .LBB8_142
; %bb.140:                              ;   in Loop: Header=BB8_2 Depth=1
	s_mov_b64 s[0:1], 0
.LBB8_141:                              ;   Parent Loop BB8_2 Depth=1
                                        ; =>  This Inner Loop Header: Depth=2
	s_sleep 1
	global_store_dwordx2 v[6:7], v[4:5], off
	buffer_wbl2 sc0 sc1
	s_waitcnt vmcnt(0)
	global_atomic_cmpswap_x2 v[8:9], v55, v[2:5], s[26:27] offset:24 sc0 sc1
	s_waitcnt vmcnt(0)
	v_cmp_eq_u64_e32 vcc, v[8:9], v[4:5]
	s_or_b64 s[0:1], vcc, s[0:1]
	v_mov_b64_e32 v[4:5], v[8:9]
	s_andn2_b64 exec, exec, s[0:1]
	s_cbranch_execnz .LBB8_141
.LBB8_142:                              ;   in Loop: Header=BB8_2 Depth=1
	s_or_b64 exec, exec, s[4:5]
.LBB8_143:                              ;   in Loop: Header=BB8_2 Depth=1
	v_readfirstlane_b32 s0, v46
	s_waitcnt vmcnt(0)
	v_mov_b64_e32 v[2:3], 0
	v_cmp_eq_u32_e64 s[0:1], s0, v46
	s_and_saveexec_b64 s[2:3], s[0:1]
	s_cbranch_execz .LBB8_149
; %bb.144:                              ;   in Loop: Header=BB8_2 Depth=1
	global_load_dwordx2 v[4:5], v55, s[26:27] offset:24 sc0 sc1
	s_waitcnt vmcnt(0)
	buffer_inv sc0 sc1
	global_load_dwordx2 v[2:3], v55, s[26:27] offset:40
	global_load_dwordx2 v[6:7], v55, s[26:27]
	s_waitcnt vmcnt(1)
	v_and_b32_e32 v2, v2, v4
	v_and_b32_e32 v3, v3, v5
	v_mul_lo_u32 v3, v3, 24
	v_mul_hi_u32 v8, v2, 24
	v_add_u32_e32 v3, v8, v3
	v_mul_lo_u32 v2, v2, 24
	s_waitcnt vmcnt(0)
	v_lshl_add_u64 v[2:3], v[6:7], 0, v[2:3]
	global_load_dwordx2 v[2:3], v[2:3], off sc0 sc1
	s_waitcnt vmcnt(0)
	global_atomic_cmpswap_x2 v[2:3], v55, v[2:5], s[26:27] offset:24 sc0 sc1
	s_waitcnt vmcnt(0)
	buffer_inv sc0 sc1
	v_cmp_ne_u64_e32 vcc, v[2:3], v[4:5]
	s_and_saveexec_b64 s[4:5], vcc
	s_cbranch_execz .LBB8_148
; %bb.145:                              ;   in Loop: Header=BB8_2 Depth=1
	s_mov_b64 s[6:7], 0
.LBB8_146:                              ;   Parent Loop BB8_2 Depth=1
                                        ; =>  This Inner Loop Header: Depth=2
	s_sleep 1
	global_load_dwordx2 v[6:7], v55, s[26:27] offset:40
	global_load_dwordx2 v[8:9], v55, s[26:27]
	v_mov_b64_e32 v[4:5], v[2:3]
	s_waitcnt vmcnt(1)
	v_and_b32_e32 v2, v6, v4
	s_waitcnt vmcnt(0)
	v_mad_u64_u32 v[2:3], s[8:9], v2, 24, v[8:9]
	v_and_b32_e32 v7, v7, v5
	v_mov_b32_e32 v6, v3
	v_mad_u64_u32 v[6:7], s[8:9], v7, 24, v[6:7]
	v_mov_b32_e32 v3, v6
	global_load_dwordx2 v[2:3], v[2:3], off sc0 sc1
	s_waitcnt vmcnt(0)
	global_atomic_cmpswap_x2 v[2:3], v55, v[2:5], s[26:27] offset:24 sc0 sc1
	s_waitcnt vmcnt(0)
	buffer_inv sc0 sc1
	v_cmp_eq_u64_e32 vcc, v[2:3], v[4:5]
	s_or_b64 s[6:7], vcc, s[6:7]
	s_andn2_b64 exec, exec, s[6:7]
	s_cbranch_execnz .LBB8_146
; %bb.147:                              ;   in Loop: Header=BB8_2 Depth=1
	s_or_b64 exec, exec, s[6:7]
.LBB8_148:                              ;   in Loop: Header=BB8_2 Depth=1
	s_or_b64 exec, exec, s[4:5]
.LBB8_149:                              ;   in Loop: Header=BB8_2 Depth=1
	s_or_b64 exec, exec, s[2:3]
	global_load_dwordx2 v[8:9], v55, s[26:27] offset:40
	global_load_dwordx4 v[4:7], v55, s[26:27]
	v_readfirstlane_b32 s2, v2
	v_readfirstlane_b32 s3, v3
	s_mov_b64 s[4:5], exec
	s_waitcnt vmcnt(1)
	v_readfirstlane_b32 s6, v8
	v_readfirstlane_b32 s7, v9
	s_and_b64 s[6:7], s[2:3], s[6:7]
	s_mul_i32 s8, s7, 24
	s_mul_hi_u32 s9, s6, 24
	s_add_i32 s9, s9, s8
	s_mul_i32 s8, s6, 24
	s_waitcnt vmcnt(0)
	v_lshl_add_u64 v[8:9], v[4:5], 0, s[8:9]
	s_and_saveexec_b64 s[8:9], s[0:1]
	s_cbranch_execz .LBB8_151
; %bb.150:                              ;   in Loop: Header=BB8_2 Depth=1
	v_mov_b64_e32 v[48:49], s[4:5]
	global_store_dwordx4 v[8:9], v[48:51], off offset:8
.LBB8_151:                              ;   in Loop: Header=BB8_2 Depth=1
	s_or_b64 exec, exec, s[8:9]
	s_lshl_b64 s[4:5], s[6:7], 12
	v_lshl_add_u64 v[6:7], v[6:7], 0, s[4:5]
	v_and_or_b32 v0, v0, s35, 34
	v_ashrrev_i32_e32 v3, 31, v21
	v_lshlrev_b32_e32 v10, 6, v46
	v_mov_b32_e32 v2, v21
	v_readfirstlane_b32 s4, v6
	v_readfirstlane_b32 s5, v7
	s_nop 4
	global_store_dwordx4 v10, v[0:3], s[4:5]
	s_nop 1
	v_mov_b64_e32 v[0:1], s[20:21]
	v_mov_b64_e32 v[2:3], s[22:23]
	global_store_dwordx4 v10, v[0:3], s[4:5] offset:16
	global_store_dwordx4 v10, v[0:3], s[4:5] offset:32
	;; [unrolled: 1-line block ×3, first 2 shown]
	s_and_saveexec_b64 s[4:5], s[0:1]
	s_cbranch_execz .LBB8_159
; %bb.152:                              ;   in Loop: Header=BB8_2 Depth=1
	global_load_dwordx2 v[12:13], v55, s[26:27] offset:32 sc0 sc1
	global_load_dwordx2 v[0:1], v55, s[26:27] offset:40
	v_mov_b32_e32 v10, s2
	v_mov_b32_e32 v11, s3
	s_waitcnt vmcnt(0)
	v_readfirstlane_b32 s6, v0
	v_readfirstlane_b32 s7, v1
	s_and_b64 s[6:7], s[6:7], s[2:3]
	s_mul_i32 s7, s7, 24
	s_mul_hi_u32 s8, s6, 24
	s_mul_i32 s6, s6, 24
	s_add_i32 s7, s8, s7
	v_lshl_add_u64 v[4:5], v[4:5], 0, s[6:7]
	global_store_dwordx2 v[4:5], v[12:13], off
	buffer_wbl2 sc0 sc1
	s_waitcnt vmcnt(0)
	global_atomic_cmpswap_x2 v[2:3], v55, v[10:13], s[26:27] offset:32 sc0 sc1
	s_waitcnt vmcnt(0)
	v_cmp_ne_u64_e32 vcc, v[2:3], v[12:13]
	s_and_saveexec_b64 s[6:7], vcc
	s_cbranch_execz .LBB8_155
; %bb.153:                              ;   in Loop: Header=BB8_2 Depth=1
	s_mov_b64 s[8:9], 0
.LBB8_154:                              ;   Parent Loop BB8_2 Depth=1
                                        ; =>  This Inner Loop Header: Depth=2
	s_sleep 1
	global_store_dwordx2 v[4:5], v[2:3], off
	v_mov_b32_e32 v0, s2
	v_mov_b32_e32 v1, s3
	buffer_wbl2 sc0 sc1
	s_waitcnt vmcnt(0)
	global_atomic_cmpswap_x2 v[0:1], v55, v[0:3], s[26:27] offset:32 sc0 sc1
	s_waitcnt vmcnt(0)
	v_cmp_eq_u64_e32 vcc, v[0:1], v[2:3]
	s_or_b64 s[8:9], vcc, s[8:9]
	v_mov_b64_e32 v[2:3], v[0:1]
	s_andn2_b64 exec, exec, s[8:9]
	s_cbranch_execnz .LBB8_154
.LBB8_155:                              ;   in Loop: Header=BB8_2 Depth=1
	s_or_b64 exec, exec, s[6:7]
	global_load_dwordx2 v[0:1], v55, s[26:27] offset:16
	s_mov_b64 s[8:9], exec
	v_mbcnt_lo_u32_b32 v2, s8, 0
	v_mbcnt_hi_u32_b32 v2, s9, v2
	v_cmp_eq_u32_e32 vcc, 0, v2
	s_and_saveexec_b64 s[6:7], vcc
	s_cbranch_execz .LBB8_157
; %bb.156:                              ;   in Loop: Header=BB8_2 Depth=1
	s_bcnt1_i32_b64 s8, s[8:9]
	v_mov_b32_e32 v54, s8
	buffer_wbl2 sc0 sc1
	s_waitcnt vmcnt(0)
	global_atomic_add_x2 v[0:1], v[54:55], off offset:8 sc1
.LBB8_157:                              ;   in Loop: Header=BB8_2 Depth=1
	s_or_b64 exec, exec, s[6:7]
	s_waitcnt vmcnt(0)
	global_load_dwordx2 v[2:3], v[0:1], off offset:16
	s_waitcnt vmcnt(0)
	v_cmp_eq_u64_e32 vcc, 0, v[2:3]
	s_cbranch_vccnz .LBB8_159
; %bb.158:                              ;   in Loop: Header=BB8_2 Depth=1
	global_load_dword v54, v[0:1], off offset:24
	s_waitcnt vmcnt(0)
	v_and_b32_e32 v0, 0xffffff, v54
	s_nop 0
	v_readfirstlane_b32 m0, v0
	buffer_wbl2 sc0 sc1
	global_store_dwordx2 v[2:3], v[54:55], off sc0 sc1
	s_sendmsg sendmsg(MSG_INTERRUPT)
.LBB8_159:                              ;   in Loop: Header=BB8_2 Depth=1
	s_or_b64 exec, exec, s[4:5]
	s_branch .LBB8_163
.LBB8_160:                              ;   in Loop: Header=BB8_163 Depth=2
	s_or_b64 exec, exec, s[4:5]
	v_readfirstlane_b32 s4, v0
	s_cmp_eq_u32 s4, 0
	s_cbranch_scc1 .LBB8_162
; %bb.161:                              ;   in Loop: Header=BB8_163 Depth=2
	s_sleep 1
	s_cbranch_execnz .LBB8_163
	s_branch .LBB8_165
.LBB8_162:                              ;   in Loop: Header=BB8_2 Depth=1
	s_branch .LBB8_165
.LBB8_163:                              ;   Parent Loop BB8_2 Depth=1
                                        ; =>  This Inner Loop Header: Depth=2
	v_mov_b32_e32 v0, 1
	s_and_saveexec_b64 s[4:5], s[0:1]
	s_cbranch_execz .LBB8_160
; %bb.164:                              ;   in Loop: Header=BB8_163 Depth=2
	global_load_dword v0, v[8:9], off offset:20 sc0 sc1
	s_waitcnt vmcnt(0)
	buffer_inv sc0 sc1
	v_and_b32_e32 v0, 1, v0
	s_branch .LBB8_160
.LBB8_165:                              ;   in Loop: Header=BB8_2 Depth=1
	s_and_saveexec_b64 s[4:5], s[0:1]
	s_cbranch_execz .LBB8_1
; %bb.166:                              ;   in Loop: Header=BB8_2 Depth=1
	global_load_dwordx2 v[4:5], v55, s[26:27] offset:40
	global_load_dwordx2 v[6:7], v55, s[26:27] offset:24 sc0 sc1
	global_load_dwordx2 v[8:9], v55, s[26:27]
	s_waitcnt vmcnt(2)
	v_lshl_add_u64 v[0:1], v[4:5], 0, 1
	v_lshl_add_u64 v[10:11], v[0:1], 0, s[2:3]
	v_cmp_eq_u64_e32 vcc, 0, v[10:11]
	s_waitcnt vmcnt(1)
	v_mov_b32_e32 v2, v6
	v_cndmask_b32_e32 v1, v11, v1, vcc
	v_cndmask_b32_e32 v0, v10, v0, vcc
	v_and_b32_e32 v3, v1, v5
	v_and_b32_e32 v4, v0, v4
	v_mul_lo_u32 v3, v3, 24
	v_mul_hi_u32 v5, v4, 24
	v_mul_lo_u32 v4, v4, 24
	v_add_u32_e32 v5, v5, v3
	s_waitcnt vmcnt(0)
	v_lshl_add_u64 v[4:5], v[8:9], 0, v[4:5]
	global_store_dwordx2 v[4:5], v[6:7], off
	v_mov_b32_e32 v3, v7
	buffer_wbl2 sc0 sc1
	s_waitcnt vmcnt(0)
	global_atomic_cmpswap_x2 v[2:3], v55, v[0:3], s[26:27] offset:24 sc0 sc1
	s_waitcnt vmcnt(0)
	v_cmp_ne_u64_e32 vcc, v[2:3], v[6:7]
	s_and_b64 exec, exec, vcc
	s_cbranch_execz .LBB8_1
; %bb.167:                              ;   in Loop: Header=BB8_2 Depth=1
	s_mov_b64 s[0:1], 0
.LBB8_168:                              ;   Parent Loop BB8_2 Depth=1
                                        ; =>  This Inner Loop Header: Depth=2
	s_sleep 1
	global_store_dwordx2 v[4:5], v[2:3], off
	buffer_wbl2 sc0 sc1
	s_waitcnt vmcnt(0)
	global_atomic_cmpswap_x2 v[6:7], v55, v[0:3], s[26:27] offset:24 sc0 sc1
	s_waitcnt vmcnt(0)
	v_cmp_eq_u64_e32 vcc, v[6:7], v[2:3]
	s_or_b64 s[0:1], vcc, s[0:1]
	v_mov_b64_e32 v[2:3], v[6:7]
	s_andn2_b64 exec, exec, s[0:1]
	s_cbranch_execnz .LBB8_168
	s_branch .LBB8_1
.LBB8_169:
	s_getpc_b64 s[20:21]
	s_add_u32 s20, s20, .str.8@rel32@lo+4
	s_addc_u32 s21, s21, .str.8@rel32@hi+12
	s_mov_b64 s[8:9], s[18:19]
	v_mov_b32_e32 v0, s20
	v_mov_b32_e32 v1, s21
	s_getpc_b64 s[22:23]
	s_add_u32 s22, s22, _ZNK8migraphx13basic_printerIZNS_4coutEvEUlT_E_ElsEPKc@rel32@lo+4
	s_addc_u32 s23, s23, _ZNK8migraphx13basic_printerIZNS_4coutEvEUlT_E_ElsEPKc@rel32@hi+12
	s_swappc_b64 s[30:31], s[22:23]
	s_getpc_b64 s[0:1]
	s_add_u32 s0, s0, .str.10@rel32@lo+4
	s_addc_u32 s1, s1, .str.10@rel32@hi+12
	s_mov_b64 s[8:9], s[18:19]
	v_mov_b32_e32 v0, s0
	v_mov_b32_e32 v1, s1
	s_swappc_b64 s[30:31], s[22:23]
	s_mov_b64 s[8:9], s[18:19]
	v_mov_b32_e32 v0, s20
	v_mov_b32_e32 v1, s21
	s_swappc_b64 s[30:31], s[22:23]
	flat_load_dwordx2 v[58:59], v[38:39] offset:8
	s_mov_b32 s29, 0
	s_mov_b32 s22, s29
	;; [unrolled: 1-line block ×3, first 2 shown]
	v_mov_b32_e32 v55, 0
	s_mov_b32 s20, s29
	s_mov_b32 s21, s29
	v_mov_b64_e32 v[44:45], s[22:23]
	v_mov_b32_e32 v50, 2
	v_mov_b32_e32 v60, v56
	v_mov_b32_e32 v61, v55
	v_mov_b32_e32 v38, 33
	v_mov_b32_e32 v39, v55
	v_mov_b32_e32 v40, v55
	v_mov_b32_e32 v41, v55
	v_mov_b64_e32 v[42:43], s[20:21]
	s_movk_i32 s34, 0xff1f
	s_movk_i32 s35, 0xff1d
	v_mov_b32_e32 v51, 1
	s_mov_b32 s28, s29
	s_branch .LBB8_171
.LBB8_170:                              ;   in Loop: Header=BB8_171 Depth=1
	s_or_b64 exec, exec, s[4:5]
	s_add_i32 s28, s28, 1
	s_cmp_lg_u32 s28, 5
	s_cbranch_scc0 .LBB8_338
.LBB8_171:                              ; =>This Loop Header: Depth=1
                                        ;     Child Loop BB8_176 Depth 2
                                        ;     Child Loop BB8_184 Depth 2
	;; [unrolled: 1-line block ×9, first 2 shown]
                                        ;       Child Loop BB8_205 Depth 3
                                        ;       Child Loop BB8_212 Depth 3
	;; [unrolled: 1-line block ×11, first 2 shown]
                                        ;     Child Loop BB8_315 Depth 2
                                        ;     Child Loop BB8_323 Depth 2
	;; [unrolled: 1-line block ×4, first 2 shown]
	s_cmp_eq_u32 s28, 0
	s_cbranch_scc1 .LBB8_173
; %bb.172:                              ;   in Loop: Header=BB8_171 Depth=1
	s_getpc_b64 s[0:1]
	s_add_u32 s0, s0, .str.11@rel32@lo+4
	s_addc_u32 s1, s1, .str.11@rel32@hi+12
	s_mov_b64 s[8:9], s[18:19]
	v_mov_b32_e32 v0, s0
	v_mov_b32_e32 v1, s1
	s_getpc_b64 s[2:3]
	s_add_u32 s2, s2, _ZNK8migraphx13basic_printerIZNS_4coutEvEUlT_E_ElsEPKc@rel32@lo+4
	s_addc_u32 s3, s3, _ZNK8migraphx13basic_printerIZNS_4coutEvEUlT_E_ElsEPKc@rel32@hi+12
	s_swappc_b64 s[30:31], s[2:3]
.LBB8_173:                              ;   in Loop: Header=BB8_171 Depth=1
	s_waitcnt vmcnt(0) lgkmcnt(0)
	v_lshl_add_u64 v[0:1], s[28:29], 2, v[58:59]
	flat_load_dword v21, v[0:1]
	v_readfirstlane_b32 s0, v46
	v_mov_b64_e32 v[4:5], 0
	s_nop 0
	v_cmp_eq_u32_e64 s[0:1], s0, v46
	s_and_saveexec_b64 s[2:3], s[0:1]
	s_cbranch_execz .LBB8_179
; %bb.174:                              ;   in Loop: Header=BB8_171 Depth=1
	global_load_dwordx2 v[2:3], v55, s[26:27] offset:24 sc0 sc1
	s_waitcnt vmcnt(0)
	buffer_inv sc0 sc1
	global_load_dwordx2 v[0:1], v55, s[26:27] offset:40
	global_load_dwordx2 v[4:5], v55, s[26:27]
	s_waitcnt vmcnt(0)
	v_and_b32_e32 v0, v0, v2
	v_and_b32_e32 v1, v1, v3
	v_mul_lo_u32 v1, v1, 24
	v_mul_hi_u32 v6, v0, 24
	v_add_u32_e32 v1, v6, v1
	v_mul_lo_u32 v0, v0, 24
	v_lshl_add_u64 v[0:1], v[4:5], 0, v[0:1]
	global_load_dwordx2 v[0:1], v[0:1], off sc0 sc1
	s_waitcnt vmcnt(0)
	global_atomic_cmpswap_x2 v[4:5], v55, v[0:3], s[26:27] offset:24 sc0 sc1
	s_waitcnt vmcnt(0)
	buffer_inv sc0 sc1
	v_cmp_ne_u64_e32 vcc, v[4:5], v[2:3]
	s_and_saveexec_b64 s[4:5], vcc
	s_cbranch_execz .LBB8_178
; %bb.175:                              ;   in Loop: Header=BB8_171 Depth=1
	s_mov_b64 s[6:7], 0
.LBB8_176:                              ;   Parent Loop BB8_171 Depth=1
                                        ; =>  This Inner Loop Header: Depth=2
	s_sleep 1
	global_load_dwordx2 v[0:1], v55, s[26:27] offset:40
	global_load_dwordx2 v[6:7], v55, s[26:27]
	v_mov_b64_e32 v[2:3], v[4:5]
	s_waitcnt vmcnt(0)
	v_and_b32_e32 v0, v0, v2
	v_and_b32_e32 v5, v1, v3
	v_mad_u64_u32 v[0:1], s[8:9], v0, 24, v[6:7]
	v_mov_b32_e32 v4, v1
	v_mad_u64_u32 v[4:5], s[8:9], v5, 24, v[4:5]
	v_mov_b32_e32 v1, v4
	global_load_dwordx2 v[0:1], v[0:1], off sc0 sc1
	s_waitcnt vmcnt(0)
	global_atomic_cmpswap_x2 v[4:5], v55, v[0:3], s[26:27] offset:24 sc0 sc1
	s_waitcnt vmcnt(0)
	buffer_inv sc0 sc1
	v_cmp_eq_u64_e32 vcc, v[4:5], v[2:3]
	s_or_b64 s[6:7], vcc, s[6:7]
	s_andn2_b64 exec, exec, s[6:7]
	s_cbranch_execnz .LBB8_176
; %bb.177:                              ;   in Loop: Header=BB8_171 Depth=1
	s_or_b64 exec, exec, s[6:7]
.LBB8_178:                              ;   in Loop: Header=BB8_171 Depth=1
	s_or_b64 exec, exec, s[4:5]
.LBB8_179:                              ;   in Loop: Header=BB8_171 Depth=1
	s_or_b64 exec, exec, s[2:3]
	global_load_dwordx2 v[6:7], v55, s[26:27] offset:40
	global_load_dwordx4 v[0:3], v55, s[26:27]
	v_readfirstlane_b32 s2, v4
	v_readfirstlane_b32 s3, v5
	s_mov_b64 s[4:5], exec
	s_waitcnt vmcnt(0)
	v_readfirstlane_b32 s6, v6
	v_readfirstlane_b32 s7, v7
	s_and_b64 s[6:7], s[2:3], s[6:7]
	s_mul_i32 s8, s7, 24
	s_mul_hi_u32 s9, s6, 24
	s_add_i32 s9, s9, s8
	s_mul_i32 s8, s6, 24
	v_lshl_add_u64 v[4:5], v[0:1], 0, s[8:9]
	s_and_saveexec_b64 s[8:9], s[0:1]
	s_cbranch_execz .LBB8_181
; %bb.180:                              ;   in Loop: Header=BB8_171 Depth=1
	v_mov_b64_e32 v[48:49], s[4:5]
	global_store_dwordx4 v[4:5], v[48:51], off offset:8
.LBB8_181:                              ;   in Loop: Header=BB8_171 Depth=1
	s_or_b64 exec, exec, s[8:9]
	s_lshl_b64 s[4:5], s[6:7], 12
	v_lshl_add_u64 v[6:7], v[2:3], 0, s[4:5]
	v_mov_b64_e32 v[8:9], s[20:21]
	v_readfirstlane_b32 s4, v6
	v_readfirstlane_b32 s5, v7
	v_mov_b64_e32 v[10:11], s[22:23]
	s_nop 3
	global_store_dwordx4 v56, v[38:41], s[4:5]
	global_store_dwordx4 v56, v[42:45], s[4:5] offset:16
	global_store_dwordx4 v56, v[8:11], s[4:5] offset:32
	;; [unrolled: 1-line block ×3, first 2 shown]
	s_and_saveexec_b64 s[4:5], s[0:1]
	s_cbranch_execz .LBB8_189
; %bb.182:                              ;   in Loop: Header=BB8_171 Depth=1
	global_load_dwordx2 v[12:13], v55, s[26:27] offset:32 sc0 sc1
	global_load_dwordx2 v[2:3], v55, s[26:27] offset:40
	v_mov_b32_e32 v10, s2
	v_mov_b32_e32 v11, s3
	s_waitcnt vmcnt(0)
	v_readfirstlane_b32 s6, v2
	v_readfirstlane_b32 s7, v3
	s_and_b64 s[6:7], s[6:7], s[2:3]
	s_mul_i32 s7, s7, 24
	s_mul_hi_u32 s8, s6, 24
	s_mul_i32 s6, s6, 24
	s_add_i32 s7, s8, s7
	v_lshl_add_u64 v[8:9], v[0:1], 0, s[6:7]
	global_store_dwordx2 v[8:9], v[12:13], off
	buffer_wbl2 sc0 sc1
	s_waitcnt vmcnt(0)
	global_atomic_cmpswap_x2 v[2:3], v55, v[10:13], s[26:27] offset:32 sc0 sc1
	s_waitcnt vmcnt(0)
	v_cmp_ne_u64_e32 vcc, v[2:3], v[12:13]
	s_and_saveexec_b64 s[6:7], vcc
	s_cbranch_execz .LBB8_185
; %bb.183:                              ;   in Loop: Header=BB8_171 Depth=1
	s_mov_b64 s[8:9], 0
.LBB8_184:                              ;   Parent Loop BB8_171 Depth=1
                                        ; =>  This Inner Loop Header: Depth=2
	s_sleep 1
	global_store_dwordx2 v[8:9], v[2:3], off
	v_mov_b32_e32 v0, s2
	v_mov_b32_e32 v1, s3
	buffer_wbl2 sc0 sc1
	s_waitcnt vmcnt(0)
	global_atomic_cmpswap_x2 v[0:1], v55, v[0:3], s[26:27] offset:32 sc0 sc1
	s_waitcnt vmcnt(0)
	v_cmp_eq_u64_e32 vcc, v[0:1], v[2:3]
	s_or_b64 s[8:9], vcc, s[8:9]
	v_mov_b64_e32 v[2:3], v[0:1]
	s_andn2_b64 exec, exec, s[8:9]
	s_cbranch_execnz .LBB8_184
.LBB8_185:                              ;   in Loop: Header=BB8_171 Depth=1
	s_or_b64 exec, exec, s[6:7]
	global_load_dwordx2 v[0:1], v55, s[26:27] offset:16
	s_mov_b64 s[8:9], exec
	v_mbcnt_lo_u32_b32 v2, s8, 0
	v_mbcnt_hi_u32_b32 v2, s9, v2
	v_cmp_eq_u32_e32 vcc, 0, v2
	s_and_saveexec_b64 s[6:7], vcc
	s_cbranch_execz .LBB8_187
; %bb.186:                              ;   in Loop: Header=BB8_171 Depth=1
	s_bcnt1_i32_b64 s8, s[8:9]
	v_mov_b32_e32 v54, s8
	buffer_wbl2 sc0 sc1
	s_waitcnt vmcnt(0)
	global_atomic_add_x2 v[0:1], v[54:55], off offset:8 sc1
.LBB8_187:                              ;   in Loop: Header=BB8_171 Depth=1
	s_or_b64 exec, exec, s[6:7]
	s_waitcnt vmcnt(0)
	global_load_dwordx2 v[2:3], v[0:1], off offset:16
	s_waitcnt vmcnt(0)
	v_cmp_eq_u64_e32 vcc, 0, v[2:3]
	s_cbranch_vccnz .LBB8_189
; %bb.188:                              ;   in Loop: Header=BB8_171 Depth=1
	global_load_dword v54, v[0:1], off offset:24
	s_waitcnt vmcnt(0)
	v_and_b32_e32 v0, 0xffffff, v54
	s_nop 0
	v_readfirstlane_b32 m0, v0
	buffer_wbl2 sc0 sc1
	global_store_dwordx2 v[2:3], v[54:55], off sc0 sc1
	s_sendmsg sendmsg(MSG_INTERRUPT)
.LBB8_189:                              ;   in Loop: Header=BB8_171 Depth=1
	s_or_b64 exec, exec, s[4:5]
	v_lshl_add_u64 v[0:1], v[6:7], 0, v[60:61]
	s_branch .LBB8_193
.LBB8_190:                              ;   in Loop: Header=BB8_193 Depth=2
	s_or_b64 exec, exec, s[4:5]
	v_readfirstlane_b32 s4, v2
	s_cmp_eq_u32 s4, 0
	s_cbranch_scc1 .LBB8_192
; %bb.191:                              ;   in Loop: Header=BB8_193 Depth=2
	s_sleep 1
	s_cbranch_execnz .LBB8_193
	s_branch .LBB8_195
.LBB8_192:                              ;   in Loop: Header=BB8_171 Depth=1
	s_branch .LBB8_195
.LBB8_193:                              ;   Parent Loop BB8_171 Depth=1
                                        ; =>  This Inner Loop Header: Depth=2
	v_mov_b32_e32 v2, 1
	s_and_saveexec_b64 s[4:5], s[0:1]
	s_cbranch_execz .LBB8_190
; %bb.194:                              ;   in Loop: Header=BB8_193 Depth=2
	global_load_dword v2, v[4:5], off offset:20 sc0 sc1
	s_waitcnt vmcnt(0)
	buffer_inv sc0 sc1
	v_and_b32_e32 v2, 1, v2
	s_branch .LBB8_190
.LBB8_195:                              ;   in Loop: Header=BB8_171 Depth=1
	global_load_dwordx2 v[52:53], v[0:1], off
	s_and_saveexec_b64 s[4:5], s[0:1]
	s_cbranch_execz .LBB8_199
; %bb.196:                              ;   in Loop: Header=BB8_171 Depth=1
	global_load_dwordx2 v[4:5], v55, s[26:27] offset:40
	global_load_dwordx2 v[6:7], v55, s[26:27] offset:24 sc0 sc1
	global_load_dwordx2 v[8:9], v55, s[26:27]
	s_waitcnt vmcnt(0)
	v_lshl_add_u64 v[0:1], v[4:5], 0, 1
	v_lshl_add_u64 v[10:11], v[0:1], 0, s[2:3]
	v_cmp_eq_u64_e32 vcc, 0, v[10:11]
	v_mov_b32_e32 v2, v6
	s_nop 0
	v_cndmask_b32_e32 v1, v11, v1, vcc
	v_cndmask_b32_e32 v0, v10, v0, vcc
	v_and_b32_e32 v3, v1, v5
	v_and_b32_e32 v4, v0, v4
	v_mul_lo_u32 v3, v3, 24
	v_mul_hi_u32 v5, v4, 24
	v_mul_lo_u32 v4, v4, 24
	v_add_u32_e32 v5, v5, v3
	v_lshl_add_u64 v[4:5], v[8:9], 0, v[4:5]
	global_store_dwordx2 v[4:5], v[6:7], off
	v_mov_b32_e32 v3, v7
	buffer_wbl2 sc0 sc1
	s_waitcnt vmcnt(0)
	global_atomic_cmpswap_x2 v[2:3], v55, v[0:3], s[26:27] offset:24 sc0 sc1
	s_waitcnt vmcnt(0)
	v_cmp_ne_u64_e32 vcc, v[2:3], v[6:7]
	s_and_b64 exec, exec, vcc
	s_cbranch_execz .LBB8_199
; %bb.197:                              ;   in Loop: Header=BB8_171 Depth=1
	s_mov_b64 s[0:1], 0
.LBB8_198:                              ;   Parent Loop BB8_171 Depth=1
                                        ; =>  This Inner Loop Header: Depth=2
	s_sleep 1
	global_store_dwordx2 v[4:5], v[2:3], off
	buffer_wbl2 sc0 sc1
	s_waitcnt vmcnt(0)
	global_atomic_cmpswap_x2 v[6:7], v55, v[0:3], s[26:27] offset:24 sc0 sc1
	s_waitcnt vmcnt(0)
	v_cmp_eq_u64_e32 vcc, v[6:7], v[2:3]
	s_or_b64 s[0:1], vcc, s[0:1]
	v_mov_b64_e32 v[2:3], v[6:7]
	s_andn2_b64 exec, exec, s[0:1]
	s_cbranch_execnz .LBB8_198
.LBB8_199:                              ;   in Loop: Header=BB8_171 Depth=1
	s_or_b64 exec, exec, s[4:5]
	s_and_b64 vcc, exec, s[24:25]
	s_cbranch_vccz .LBB8_284
; %bb.200:                              ;   in Loop: Header=BB8_171 Depth=1
	s_waitcnt vmcnt(0)
	v_and_b32_e32 v20, 2, v52
	v_and_b32_e32 v0, -3, v52
	v_mov_b32_e32 v1, v53
	s_mov_b64 s[4:5], 4
	s_getpc_b64 s[2:3]
	s_add_u32 s2, s2, .str.7@rel32@lo+4
	s_addc_u32 s3, s3, .str.7@rel32@hi+12
	s_branch .LBB8_202
.LBB8_201:                              ;   in Loop: Header=BB8_202 Depth=2
	s_or_b64 exec, exec, s[10:11]
	s_sub_u32 s4, s4, s6
	s_subb_u32 s5, s5, s7
	s_add_u32 s2, s2, s6
	s_addc_u32 s3, s3, s7
	s_cmp_lg_u64 s[4:5], 0
	s_cbranch_scc0 .LBB8_283
.LBB8_202:                              ;   Parent Loop BB8_171 Depth=1
                                        ; =>  This Loop Header: Depth=2
                                        ;       Child Loop BB8_205 Depth 3
                                        ;       Child Loop BB8_212 Depth 3
                                        ;       Child Loop BB8_220 Depth 3
                                        ;       Child Loop BB8_228 Depth 3
                                        ;       Child Loop BB8_236 Depth 3
                                        ;       Child Loop BB8_244 Depth 3
                                        ;       Child Loop BB8_252 Depth 3
                                        ;       Child Loop BB8_260 Depth 3
                                        ;       Child Loop BB8_268 Depth 3
                                        ;       Child Loop BB8_277 Depth 3
                                        ;       Child Loop BB8_282 Depth 3
	v_cmp_lt_u64_e64 s[0:1], s[4:5], 56
	s_and_b64 s[0:1], s[0:1], exec
	v_cmp_gt_u64_e64 s[0:1], s[4:5], 7
	s_cselect_b32 s7, s5, 0
	s_cselect_b32 s6, s4, 56
	s_and_b64 vcc, exec, s[0:1]
	s_cbranch_vccnz .LBB8_207
; %bb.203:                              ;   in Loop: Header=BB8_202 Depth=2
	s_mov_b64 s[0:1], 0
	s_cmp_eq_u64 s[4:5], 0
	s_waitcnt vmcnt(0)
	v_mov_b64_e32 v[2:3], 0
	s_cbranch_scc1 .LBB8_206
; %bb.204:                              ;   in Loop: Header=BB8_202 Depth=2
	s_lshl_b64 s[8:9], s[6:7], 3
	s_mov_b64 s[10:11], 0
	v_mov_b64_e32 v[2:3], 0
	s_mov_b64 s[12:13], s[2:3]
.LBB8_205:                              ;   Parent Loop BB8_171 Depth=1
                                        ;     Parent Loop BB8_202 Depth=2
                                        ; =>    This Inner Loop Header: Depth=3
	global_load_ubyte v4, v55, s[12:13]
	s_waitcnt vmcnt(0)
	v_and_b32_e32 v54, 0xffff, v4
	v_lshlrev_b64 v[4:5], s10, v[54:55]
	s_add_u32 s10, s10, 8
	s_addc_u32 s11, s11, 0
	s_add_u32 s12, s12, 1
	s_addc_u32 s13, s13, 0
	v_or_b32_e32 v2, v4, v2
	s_cmp_lg_u32 s8, s10
	v_or_b32_e32 v3, v5, v3
	s_cbranch_scc1 .LBB8_205
.LBB8_206:                              ;   in Loop: Header=BB8_202 Depth=2
	s_mov_b32 s12, 0
	s_andn2_b64 vcc, exec, s[0:1]
	s_mov_b64 s[0:1], s[2:3]
	s_cbranch_vccz .LBB8_208
	s_branch .LBB8_209
.LBB8_207:                              ;   in Loop: Header=BB8_202 Depth=2
                                        ; implicit-def: $vgpr2_vgpr3
                                        ; implicit-def: $sgpr12
	s_mov_b64 s[0:1], s[2:3]
.LBB8_208:                              ;   in Loop: Header=BB8_202 Depth=2
	global_load_dwordx2 v[2:3], v55, s[2:3]
	s_add_i32 s12, s6, -8
	s_add_u32 s0, s2, 8
	s_addc_u32 s1, s3, 0
.LBB8_209:                              ;   in Loop: Header=BB8_202 Depth=2
	s_cmp_gt_u32 s12, 7
	s_cbranch_scc1 .LBB8_213
; %bb.210:                              ;   in Loop: Header=BB8_202 Depth=2
	s_cmp_eq_u32 s12, 0
	s_cbranch_scc1 .LBB8_214
; %bb.211:                              ;   in Loop: Header=BB8_202 Depth=2
	s_mov_b64 s[8:9], 0
	v_mov_b64_e32 v[4:5], 0
	s_mov_b64 s[10:11], 0
.LBB8_212:                              ;   Parent Loop BB8_171 Depth=1
                                        ;     Parent Loop BB8_202 Depth=2
                                        ; =>    This Inner Loop Header: Depth=3
	s_add_u32 s14, s0, s10
	s_addc_u32 s15, s1, s11
	global_load_ubyte v6, v55, s[14:15]
	s_add_u32 s10, s10, 1
	s_addc_u32 s11, s11, 0
	s_waitcnt vmcnt(0)
	v_and_b32_e32 v54, 0xffff, v6
	v_lshlrev_b64 v[6:7], s8, v[54:55]
	s_add_u32 s8, s8, 8
	s_addc_u32 s9, s9, 0
	v_or_b32_e32 v4, v6, v4
	s_cmp_lg_u32 s12, s10
	v_or_b32_e32 v5, v7, v5
	s_cbranch_scc1 .LBB8_212
	s_branch .LBB8_215
.LBB8_213:                              ;   in Loop: Header=BB8_202 Depth=2
                                        ; implicit-def: $vgpr4_vgpr5
                                        ; implicit-def: $sgpr13
	s_branch .LBB8_216
.LBB8_214:                              ;   in Loop: Header=BB8_202 Depth=2
	v_mov_b64_e32 v[4:5], 0
.LBB8_215:                              ;   in Loop: Header=BB8_202 Depth=2
	s_mov_b32 s13, 0
	s_cbranch_execnz .LBB8_217
.LBB8_216:                              ;   in Loop: Header=BB8_202 Depth=2
	global_load_dwordx2 v[4:5], v55, s[0:1]
	s_add_i32 s13, s12, -8
	s_add_u32 s0, s0, 8
	s_addc_u32 s1, s1, 0
.LBB8_217:                              ;   in Loop: Header=BB8_202 Depth=2
	s_cmp_gt_u32 s13, 7
	s_cbranch_scc1 .LBB8_221
; %bb.218:                              ;   in Loop: Header=BB8_202 Depth=2
	s_cmp_eq_u32 s13, 0
	s_cbranch_scc1 .LBB8_222
; %bb.219:                              ;   in Loop: Header=BB8_202 Depth=2
	s_mov_b64 s[8:9], 0
	v_mov_b64_e32 v[6:7], 0
	s_mov_b64 s[10:11], 0
.LBB8_220:                              ;   Parent Loop BB8_171 Depth=1
                                        ;     Parent Loop BB8_202 Depth=2
                                        ; =>    This Inner Loop Header: Depth=3
	s_add_u32 s14, s0, s10
	s_addc_u32 s15, s1, s11
	global_load_ubyte v8, v55, s[14:15]
	s_add_u32 s10, s10, 1
	s_addc_u32 s11, s11, 0
	s_waitcnt vmcnt(0)
	v_and_b32_e32 v54, 0xffff, v8
	v_lshlrev_b64 v[8:9], s8, v[54:55]
	s_add_u32 s8, s8, 8
	s_addc_u32 s9, s9, 0
	v_or_b32_e32 v6, v8, v6
	s_cmp_lg_u32 s13, s10
	v_or_b32_e32 v7, v9, v7
	s_cbranch_scc1 .LBB8_220
	s_branch .LBB8_223
.LBB8_221:                              ;   in Loop: Header=BB8_202 Depth=2
                                        ; implicit-def: $sgpr12
	s_branch .LBB8_224
.LBB8_222:                              ;   in Loop: Header=BB8_202 Depth=2
	v_mov_b64_e32 v[6:7], 0
.LBB8_223:                              ;   in Loop: Header=BB8_202 Depth=2
	s_mov_b32 s12, 0
	s_cbranch_execnz .LBB8_225
.LBB8_224:                              ;   in Loop: Header=BB8_202 Depth=2
	global_load_dwordx2 v[6:7], v55, s[0:1]
	s_add_i32 s12, s13, -8
	s_add_u32 s0, s0, 8
	s_addc_u32 s1, s1, 0
.LBB8_225:                              ;   in Loop: Header=BB8_202 Depth=2
	s_cmp_gt_u32 s12, 7
	s_cbranch_scc1 .LBB8_229
; %bb.226:                              ;   in Loop: Header=BB8_202 Depth=2
	s_cmp_eq_u32 s12, 0
	s_cbranch_scc1 .LBB8_230
; %bb.227:                              ;   in Loop: Header=BB8_202 Depth=2
	s_mov_b64 s[8:9], 0
	v_mov_b64_e32 v[8:9], 0
	s_mov_b64 s[10:11], 0
.LBB8_228:                              ;   Parent Loop BB8_171 Depth=1
                                        ;     Parent Loop BB8_202 Depth=2
                                        ; =>    This Inner Loop Header: Depth=3
	s_add_u32 s14, s0, s10
	s_addc_u32 s15, s1, s11
	global_load_ubyte v10, v55, s[14:15]
	s_add_u32 s10, s10, 1
	s_addc_u32 s11, s11, 0
	s_waitcnt vmcnt(0)
	v_and_b32_e32 v54, 0xffff, v10
	v_lshlrev_b64 v[10:11], s8, v[54:55]
	s_add_u32 s8, s8, 8
	s_addc_u32 s9, s9, 0
	v_or_b32_e32 v8, v10, v8
	s_cmp_lg_u32 s12, s10
	v_or_b32_e32 v9, v11, v9
	s_cbranch_scc1 .LBB8_228
	s_branch .LBB8_231
.LBB8_229:                              ;   in Loop: Header=BB8_202 Depth=2
                                        ; implicit-def: $vgpr8_vgpr9
                                        ; implicit-def: $sgpr13
	s_branch .LBB8_232
.LBB8_230:                              ;   in Loop: Header=BB8_202 Depth=2
	v_mov_b64_e32 v[8:9], 0
.LBB8_231:                              ;   in Loop: Header=BB8_202 Depth=2
	s_mov_b32 s13, 0
	s_cbranch_execnz .LBB8_233
.LBB8_232:                              ;   in Loop: Header=BB8_202 Depth=2
	global_load_dwordx2 v[8:9], v55, s[0:1]
	s_add_i32 s13, s12, -8
	s_add_u32 s0, s0, 8
	s_addc_u32 s1, s1, 0
.LBB8_233:                              ;   in Loop: Header=BB8_202 Depth=2
	s_cmp_gt_u32 s13, 7
	s_cbranch_scc1 .LBB8_237
; %bb.234:                              ;   in Loop: Header=BB8_202 Depth=2
	s_cmp_eq_u32 s13, 0
	s_cbranch_scc1 .LBB8_238
; %bb.235:                              ;   in Loop: Header=BB8_202 Depth=2
	s_mov_b64 s[8:9], 0
	v_mov_b64_e32 v[10:11], 0
	s_mov_b64 s[10:11], 0
.LBB8_236:                              ;   Parent Loop BB8_171 Depth=1
                                        ;     Parent Loop BB8_202 Depth=2
                                        ; =>    This Inner Loop Header: Depth=3
	s_add_u32 s14, s0, s10
	s_addc_u32 s15, s1, s11
	global_load_ubyte v12, v55, s[14:15]
	s_add_u32 s10, s10, 1
	s_addc_u32 s11, s11, 0
	s_waitcnt vmcnt(0)
	v_and_b32_e32 v54, 0xffff, v12
	v_lshlrev_b64 v[12:13], s8, v[54:55]
	s_add_u32 s8, s8, 8
	s_addc_u32 s9, s9, 0
	v_or_b32_e32 v10, v12, v10
	s_cmp_lg_u32 s13, s10
	v_or_b32_e32 v11, v13, v11
	s_cbranch_scc1 .LBB8_236
	s_branch .LBB8_239
.LBB8_237:                              ;   in Loop: Header=BB8_202 Depth=2
                                        ; implicit-def: $sgpr12
	s_branch .LBB8_240
.LBB8_238:                              ;   in Loop: Header=BB8_202 Depth=2
	v_mov_b64_e32 v[10:11], 0
.LBB8_239:                              ;   in Loop: Header=BB8_202 Depth=2
	s_mov_b32 s12, 0
	s_cbranch_execnz .LBB8_241
.LBB8_240:                              ;   in Loop: Header=BB8_202 Depth=2
	global_load_dwordx2 v[10:11], v55, s[0:1]
	s_add_i32 s12, s13, -8
	s_add_u32 s0, s0, 8
	s_addc_u32 s1, s1, 0
.LBB8_241:                              ;   in Loop: Header=BB8_202 Depth=2
	s_cmp_gt_u32 s12, 7
	s_cbranch_scc1 .LBB8_245
; %bb.242:                              ;   in Loop: Header=BB8_202 Depth=2
	s_cmp_eq_u32 s12, 0
	s_cbranch_scc1 .LBB8_246
; %bb.243:                              ;   in Loop: Header=BB8_202 Depth=2
	s_mov_b64 s[8:9], 0
	v_mov_b64_e32 v[12:13], 0
	s_mov_b64 s[10:11], 0
.LBB8_244:                              ;   Parent Loop BB8_171 Depth=1
                                        ;     Parent Loop BB8_202 Depth=2
                                        ; =>    This Inner Loop Header: Depth=3
	s_add_u32 s14, s0, s10
	s_addc_u32 s15, s1, s11
	global_load_ubyte v14, v55, s[14:15]
	s_add_u32 s10, s10, 1
	s_addc_u32 s11, s11, 0
	s_waitcnt vmcnt(0)
	v_and_b32_e32 v54, 0xffff, v14
	v_lshlrev_b64 v[14:15], s8, v[54:55]
	s_add_u32 s8, s8, 8
	s_addc_u32 s9, s9, 0
	v_or_b32_e32 v12, v14, v12
	s_cmp_lg_u32 s12, s10
	v_or_b32_e32 v13, v15, v13
	s_cbranch_scc1 .LBB8_244
	s_branch .LBB8_247
.LBB8_245:                              ;   in Loop: Header=BB8_202 Depth=2
                                        ; implicit-def: $vgpr12_vgpr13
                                        ; implicit-def: $sgpr13
	s_branch .LBB8_248
.LBB8_246:                              ;   in Loop: Header=BB8_202 Depth=2
	v_mov_b64_e32 v[12:13], 0
.LBB8_247:                              ;   in Loop: Header=BB8_202 Depth=2
	s_mov_b32 s13, 0
	s_cbranch_execnz .LBB8_249
.LBB8_248:                              ;   in Loop: Header=BB8_202 Depth=2
	global_load_dwordx2 v[12:13], v55, s[0:1]
	s_add_i32 s13, s12, -8
	s_add_u32 s0, s0, 8
	s_addc_u32 s1, s1, 0
.LBB8_249:                              ;   in Loop: Header=BB8_202 Depth=2
	s_cmp_gt_u32 s13, 7
	s_cbranch_scc1 .LBB8_253
; %bb.250:                              ;   in Loop: Header=BB8_202 Depth=2
	s_cmp_eq_u32 s13, 0
	s_cbranch_scc1 .LBB8_254
; %bb.251:                              ;   in Loop: Header=BB8_202 Depth=2
	s_mov_b64 s[8:9], 0
	v_mov_b64_e32 v[14:15], 0
	s_mov_b64 s[10:11], s[0:1]
.LBB8_252:                              ;   Parent Loop BB8_171 Depth=1
                                        ;     Parent Loop BB8_202 Depth=2
                                        ; =>    This Inner Loop Header: Depth=3
	global_load_ubyte v16, v55, s[10:11]
	s_add_i32 s13, s13, -1
	s_waitcnt vmcnt(0)
	v_and_b32_e32 v54, 0xffff, v16
	v_lshlrev_b64 v[16:17], s8, v[54:55]
	s_add_u32 s8, s8, 8
	s_addc_u32 s9, s9, 0
	s_add_u32 s10, s10, 1
	s_addc_u32 s11, s11, 0
	v_or_b32_e32 v14, v16, v14
	s_cmp_lg_u32 s13, 0
	v_or_b32_e32 v15, v17, v15
	s_cbranch_scc1 .LBB8_252
	s_branch .LBB8_255
.LBB8_253:                              ;   in Loop: Header=BB8_202 Depth=2
	s_branch .LBB8_256
.LBB8_254:                              ;   in Loop: Header=BB8_202 Depth=2
	v_mov_b64_e32 v[14:15], 0
.LBB8_255:                              ;   in Loop: Header=BB8_202 Depth=2
	s_cbranch_execnz .LBB8_257
.LBB8_256:                              ;   in Loop: Header=BB8_202 Depth=2
	global_load_dwordx2 v[14:15], v55, s[0:1]
.LBB8_257:                              ;   in Loop: Header=BB8_202 Depth=2
	v_readfirstlane_b32 s0, v46
	v_mov_b64_e32 v[22:23], 0
	s_nop 0
	v_cmp_eq_u32_e64 s[0:1], s0, v46
	s_and_saveexec_b64 s[8:9], s[0:1]
	s_cbranch_execz .LBB8_263
; %bb.258:                              ;   in Loop: Header=BB8_202 Depth=2
	global_load_dwordx2 v[18:19], v55, s[26:27] offset:24 sc0 sc1
	s_waitcnt vmcnt(0)
	buffer_inv sc0 sc1
	global_load_dwordx2 v[16:17], v55, s[26:27] offset:40
	global_load_dwordx2 v[22:23], v55, s[26:27]
	s_waitcnt vmcnt(0)
	v_and_b32_e32 v16, v16, v18
	v_and_b32_e32 v17, v17, v19
	v_mul_lo_u32 v17, v17, 24
	v_mul_hi_u32 v24, v16, 24
	v_add_u32_e32 v17, v24, v17
	v_mul_lo_u32 v16, v16, 24
	v_lshl_add_u64 v[16:17], v[22:23], 0, v[16:17]
	global_load_dwordx2 v[16:17], v[16:17], off sc0 sc1
	s_waitcnt vmcnt(0)
	global_atomic_cmpswap_x2 v[22:23], v55, v[16:19], s[26:27] offset:24 sc0 sc1
	s_waitcnt vmcnt(0)
	buffer_inv sc0 sc1
	v_cmp_ne_u64_e32 vcc, v[22:23], v[18:19]
	s_and_saveexec_b64 s[10:11], vcc
	s_cbranch_execz .LBB8_262
; %bb.259:                              ;   in Loop: Header=BB8_202 Depth=2
	s_mov_b64 s[12:13], 0
.LBB8_260:                              ;   Parent Loop BB8_171 Depth=1
                                        ;     Parent Loop BB8_202 Depth=2
                                        ; =>    This Inner Loop Header: Depth=3
	s_sleep 1
	global_load_dwordx2 v[16:17], v55, s[26:27] offset:40
	global_load_dwordx2 v[24:25], v55, s[26:27]
	v_mov_b64_e32 v[18:19], v[22:23]
	s_waitcnt vmcnt(0)
	v_and_b32_e32 v16, v16, v18
	v_and_b32_e32 v23, v17, v19
	v_mad_u64_u32 v[16:17], s[14:15], v16, 24, v[24:25]
	v_mov_b32_e32 v22, v17
	v_mad_u64_u32 v[22:23], s[14:15], v23, 24, v[22:23]
	v_mov_b32_e32 v17, v22
	global_load_dwordx2 v[16:17], v[16:17], off sc0 sc1
	s_waitcnt vmcnt(0)
	global_atomic_cmpswap_x2 v[22:23], v55, v[16:19], s[26:27] offset:24 sc0 sc1
	s_waitcnt vmcnt(0)
	buffer_inv sc0 sc1
	v_cmp_eq_u64_e32 vcc, v[22:23], v[18:19]
	s_or_b64 s[12:13], vcc, s[12:13]
	s_andn2_b64 exec, exec, s[12:13]
	s_cbranch_execnz .LBB8_260
; %bb.261:                              ;   in Loop: Header=BB8_202 Depth=2
	s_or_b64 exec, exec, s[12:13]
.LBB8_262:                              ;   in Loop: Header=BB8_202 Depth=2
	s_or_b64 exec, exec, s[10:11]
.LBB8_263:                              ;   in Loop: Header=BB8_202 Depth=2
	s_or_b64 exec, exec, s[8:9]
	global_load_dwordx2 v[24:25], v55, s[26:27] offset:40
	global_load_dwordx4 v[16:19], v55, s[26:27]
	v_readfirstlane_b32 s8, v22
	v_readfirstlane_b32 s9, v23
	s_mov_b64 s[10:11], exec
	s_waitcnt vmcnt(0)
	v_readfirstlane_b32 s12, v24
	v_readfirstlane_b32 s13, v25
	s_and_b64 s[12:13], s[8:9], s[12:13]
	s_mul_i32 s14, s13, 24
	s_mul_hi_u32 s15, s12, 24
	s_add_i32 s15, s15, s14
	s_mul_i32 s14, s12, 24
	v_lshl_add_u64 v[22:23], v[16:17], 0, s[14:15]
	s_and_saveexec_b64 s[14:15], s[0:1]
	s_cbranch_execz .LBB8_265
; %bb.264:                              ;   in Loop: Header=BB8_202 Depth=2
	v_mov_b64_e32 v[48:49], s[10:11]
	global_store_dwordx4 v[22:23], v[48:51], off offset:8
.LBB8_265:                              ;   in Loop: Header=BB8_202 Depth=2
	s_or_b64 exec, exec, s[14:15]
	s_lshl_b64 s[10:11], s[12:13], 12
	v_lshl_add_u64 v[18:19], v[18:19], 0, s[10:11]
	v_or_b32_e32 v25, v0, v20
	v_cmp_gt_u64_e64 vcc, s[4:5], 56
	s_lshl_b32 s10, s6, 2
	s_add_i32 s10, s10, 28
	v_cndmask_b32_e32 v0, v25, v0, vcc
	v_or_b32_e32 v24, 0, v1
	s_and_b32 s10, s10, 0x1e0
	v_and_b32_e32 v0, 0xffffff1f, v0
	v_cndmask_b32_e32 v1, v24, v1, vcc
	v_or_b32_e32 v0, s10, v0
	v_readfirstlane_b32 s10, v18
	v_readfirstlane_b32 s11, v19
	s_nop 4
	global_store_dwordx4 v56, v[0:3], s[10:11]
	global_store_dwordx4 v56, v[4:7], s[10:11] offset:16
	global_store_dwordx4 v56, v[8:11], s[10:11] offset:32
	;; [unrolled: 1-line block ×3, first 2 shown]
	s_and_saveexec_b64 s[10:11], s[0:1]
	s_cbranch_execz .LBB8_273
; %bb.266:                              ;   in Loop: Header=BB8_202 Depth=2
	global_load_dwordx2 v[8:9], v55, s[26:27] offset:32 sc0 sc1
	global_load_dwordx2 v[0:1], v55, s[26:27] offset:40
	v_mov_b32_e32 v6, s8
	v_mov_b32_e32 v7, s9
	s_waitcnt vmcnt(0)
	v_readfirstlane_b32 s12, v0
	v_readfirstlane_b32 s13, v1
	s_and_b64 s[12:13], s[12:13], s[8:9]
	s_mul_i32 s13, s13, 24
	s_mul_hi_u32 s14, s12, 24
	s_mul_i32 s12, s12, 24
	s_add_i32 s13, s14, s13
	v_lshl_add_u64 v[4:5], v[16:17], 0, s[12:13]
	global_store_dwordx2 v[4:5], v[8:9], off
	buffer_wbl2 sc0 sc1
	s_waitcnt vmcnt(0)
	global_atomic_cmpswap_x2 v[2:3], v55, v[6:9], s[26:27] offset:32 sc0 sc1
	s_waitcnt vmcnt(0)
	v_cmp_ne_u64_e32 vcc, v[2:3], v[8:9]
	s_and_saveexec_b64 s[12:13], vcc
	s_cbranch_execz .LBB8_269
; %bb.267:                              ;   in Loop: Header=BB8_202 Depth=2
	s_mov_b64 s[14:15], 0
.LBB8_268:                              ;   Parent Loop BB8_171 Depth=1
                                        ;     Parent Loop BB8_202 Depth=2
                                        ; =>    This Inner Loop Header: Depth=3
	s_sleep 1
	global_store_dwordx2 v[4:5], v[2:3], off
	v_mov_b32_e32 v0, s8
	v_mov_b32_e32 v1, s9
	buffer_wbl2 sc0 sc1
	s_waitcnt vmcnt(0)
	global_atomic_cmpswap_x2 v[0:1], v55, v[0:3], s[26:27] offset:32 sc0 sc1
	s_waitcnt vmcnt(0)
	v_cmp_eq_u64_e32 vcc, v[0:1], v[2:3]
	s_or_b64 s[14:15], vcc, s[14:15]
	v_mov_b64_e32 v[2:3], v[0:1]
	s_andn2_b64 exec, exec, s[14:15]
	s_cbranch_execnz .LBB8_268
.LBB8_269:                              ;   in Loop: Header=BB8_202 Depth=2
	s_or_b64 exec, exec, s[12:13]
	global_load_dwordx2 v[0:1], v55, s[26:27] offset:16
	s_mov_b64 s[14:15], exec
	v_mbcnt_lo_u32_b32 v2, s14, 0
	v_mbcnt_hi_u32_b32 v2, s15, v2
	v_cmp_eq_u32_e32 vcc, 0, v2
	s_and_saveexec_b64 s[12:13], vcc
	s_cbranch_execz .LBB8_271
; %bb.270:                              ;   in Loop: Header=BB8_202 Depth=2
	s_bcnt1_i32_b64 s14, s[14:15]
	v_mov_b32_e32 v54, s14
	buffer_wbl2 sc0 sc1
	s_waitcnt vmcnt(0)
	global_atomic_add_x2 v[0:1], v[54:55], off offset:8 sc1
.LBB8_271:                              ;   in Loop: Header=BB8_202 Depth=2
	s_or_b64 exec, exec, s[12:13]
	s_waitcnt vmcnt(0)
	global_load_dwordx2 v[2:3], v[0:1], off offset:16
	s_waitcnt vmcnt(0)
	v_cmp_eq_u64_e32 vcc, 0, v[2:3]
	s_cbranch_vccnz .LBB8_273
; %bb.272:                              ;   in Loop: Header=BB8_202 Depth=2
	global_load_dword v54, v[0:1], off offset:24
	s_waitcnt vmcnt(0)
	v_and_b32_e32 v0, 0xffffff, v54
	s_nop 0
	v_readfirstlane_b32 m0, v0
	buffer_wbl2 sc0 sc1
	global_store_dwordx2 v[2:3], v[54:55], off sc0 sc1
	s_sendmsg sendmsg(MSG_INTERRUPT)
.LBB8_273:                              ;   in Loop: Header=BB8_202 Depth=2
	s_or_b64 exec, exec, s[10:11]
	v_mov_b32_e32 v57, v55
	v_lshl_add_u64 v[0:1], v[18:19], 0, v[56:57]
	s_branch .LBB8_277
.LBB8_274:                              ;   in Loop: Header=BB8_277 Depth=3
	s_or_b64 exec, exec, s[10:11]
	v_readfirstlane_b32 s10, v2
	s_cmp_eq_u32 s10, 0
	s_cbranch_scc1 .LBB8_276
; %bb.275:                              ;   in Loop: Header=BB8_277 Depth=3
	s_sleep 1
	s_cbranch_execnz .LBB8_277
	s_branch .LBB8_279
.LBB8_276:                              ;   in Loop: Header=BB8_202 Depth=2
	s_branch .LBB8_279
.LBB8_277:                              ;   Parent Loop BB8_171 Depth=1
                                        ;     Parent Loop BB8_202 Depth=2
                                        ; =>    This Inner Loop Header: Depth=3
	v_mov_b32_e32 v2, 1
	s_and_saveexec_b64 s[10:11], s[0:1]
	s_cbranch_execz .LBB8_274
; %bb.278:                              ;   in Loop: Header=BB8_277 Depth=3
	global_load_dword v2, v[22:23], off offset:20 sc0 sc1
	s_waitcnt vmcnt(0)
	buffer_inv sc0 sc1
	v_and_b32_e32 v2, 1, v2
	s_branch .LBB8_274
.LBB8_279:                              ;   in Loop: Header=BB8_202 Depth=2
	global_load_dwordx4 v[0:3], v[0:1], off
	s_and_saveexec_b64 s[10:11], s[0:1]
	s_cbranch_execz .LBB8_201
; %bb.280:                              ;   in Loop: Header=BB8_202 Depth=2
	global_load_dwordx2 v[6:7], v55, s[26:27] offset:40
	global_load_dwordx2 v[8:9], v55, s[26:27] offset:24 sc0 sc1
	global_load_dwordx2 v[10:11], v55, s[26:27]
	s_waitcnt vmcnt(0)
	v_lshl_add_u64 v[2:3], v[6:7], 0, 1
	v_lshl_add_u64 v[12:13], v[2:3], 0, s[8:9]
	v_cmp_eq_u64_e32 vcc, 0, v[12:13]
	v_mov_b32_e32 v4, v8
	s_nop 0
	v_cndmask_b32_e32 v3, v13, v3, vcc
	v_cndmask_b32_e32 v2, v12, v2, vcc
	v_and_b32_e32 v5, v3, v7
	v_and_b32_e32 v6, v2, v6
	v_mul_lo_u32 v5, v5, 24
	v_mul_hi_u32 v7, v6, 24
	v_mul_lo_u32 v6, v6, 24
	v_add_u32_e32 v7, v7, v5
	v_lshl_add_u64 v[6:7], v[10:11], 0, v[6:7]
	global_store_dwordx2 v[6:7], v[8:9], off
	v_mov_b32_e32 v5, v9
	buffer_wbl2 sc0 sc1
	s_waitcnt vmcnt(0)
	global_atomic_cmpswap_x2 v[4:5], v55, v[2:5], s[26:27] offset:24 sc0 sc1
	s_waitcnt vmcnt(0)
	v_cmp_ne_u64_e32 vcc, v[4:5], v[8:9]
	s_and_b64 exec, exec, vcc
	s_cbranch_execz .LBB8_201
; %bb.281:                              ;   in Loop: Header=BB8_202 Depth=2
	s_mov_b64 s[0:1], 0
.LBB8_282:                              ;   Parent Loop BB8_171 Depth=1
                                        ;     Parent Loop BB8_202 Depth=2
                                        ; =>    This Inner Loop Header: Depth=3
	s_sleep 1
	global_store_dwordx2 v[6:7], v[4:5], off
	buffer_wbl2 sc0 sc1
	s_waitcnt vmcnt(0)
	global_atomic_cmpswap_x2 v[8:9], v55, v[2:5], s[26:27] offset:24 sc0 sc1
	s_waitcnt vmcnt(0)
	v_cmp_eq_u64_e32 vcc, v[8:9], v[4:5]
	s_or_b64 s[0:1], vcc, s[0:1]
	v_mov_b64_e32 v[4:5], v[8:9]
	s_andn2_b64 exec, exec, s[0:1]
	s_cbranch_execnz .LBB8_282
	s_branch .LBB8_201
.LBB8_283:                              ;   in Loop: Header=BB8_171 Depth=1
	s_branch .LBB8_312
.LBB8_284:                              ;   in Loop: Header=BB8_171 Depth=1
                                        ; implicit-def: $vgpr0_vgpr1
	s_cbranch_execz .LBB8_312
; %bb.285:                              ;   in Loop: Header=BB8_171 Depth=1
	v_readfirstlane_b32 s0, v46
	v_mov_b64_e32 v[4:5], 0
	s_nop 0
	v_cmp_eq_u32_e64 s[0:1], s0, v46
	s_and_saveexec_b64 s[2:3], s[0:1]
	s_cbranch_execz .LBB8_291
; %bb.286:                              ;   in Loop: Header=BB8_171 Depth=1
	global_load_dwordx2 v[2:3], v55, s[26:27] offset:24 sc0 sc1
	s_waitcnt vmcnt(0)
	buffer_inv sc0 sc1
	global_load_dwordx2 v[0:1], v55, s[26:27] offset:40
	global_load_dwordx2 v[4:5], v55, s[26:27]
	s_waitcnt vmcnt(0)
	v_and_b32_e32 v0, v0, v2
	v_and_b32_e32 v1, v1, v3
	v_mul_lo_u32 v1, v1, 24
	v_mul_hi_u32 v6, v0, 24
	v_add_u32_e32 v1, v6, v1
	v_mul_lo_u32 v0, v0, 24
	v_lshl_add_u64 v[0:1], v[4:5], 0, v[0:1]
	global_load_dwordx2 v[0:1], v[0:1], off sc0 sc1
	s_waitcnt vmcnt(0)
	global_atomic_cmpswap_x2 v[4:5], v55, v[0:3], s[26:27] offset:24 sc0 sc1
	s_waitcnt vmcnt(0)
	buffer_inv sc0 sc1
	v_cmp_ne_u64_e32 vcc, v[4:5], v[2:3]
	s_and_saveexec_b64 s[4:5], vcc
	s_cbranch_execz .LBB8_290
; %bb.287:                              ;   in Loop: Header=BB8_171 Depth=1
	s_mov_b64 s[6:7], 0
.LBB8_288:                              ;   Parent Loop BB8_171 Depth=1
                                        ; =>  This Inner Loop Header: Depth=2
	s_sleep 1
	global_load_dwordx2 v[0:1], v55, s[26:27] offset:40
	global_load_dwordx2 v[6:7], v55, s[26:27]
	v_mov_b64_e32 v[2:3], v[4:5]
	s_waitcnt vmcnt(0)
	v_and_b32_e32 v0, v0, v2
	v_and_b32_e32 v5, v1, v3
	v_mad_u64_u32 v[0:1], s[8:9], v0, 24, v[6:7]
	v_mov_b32_e32 v4, v1
	v_mad_u64_u32 v[4:5], s[8:9], v5, 24, v[4:5]
	v_mov_b32_e32 v1, v4
	global_load_dwordx2 v[0:1], v[0:1], off sc0 sc1
	s_waitcnt vmcnt(0)
	global_atomic_cmpswap_x2 v[4:5], v55, v[0:3], s[26:27] offset:24 sc0 sc1
	s_waitcnt vmcnt(0)
	buffer_inv sc0 sc1
	v_cmp_eq_u64_e32 vcc, v[4:5], v[2:3]
	s_or_b64 s[6:7], vcc, s[6:7]
	s_andn2_b64 exec, exec, s[6:7]
	s_cbranch_execnz .LBB8_288
; %bb.289:                              ;   in Loop: Header=BB8_171 Depth=1
	s_or_b64 exec, exec, s[6:7]
.LBB8_290:                              ;   in Loop: Header=BB8_171 Depth=1
	s_or_b64 exec, exec, s[4:5]
.LBB8_291:                              ;   in Loop: Header=BB8_171 Depth=1
	s_or_b64 exec, exec, s[2:3]
	global_load_dwordx2 v[6:7], v55, s[26:27] offset:40
	global_load_dwordx4 v[0:3], v55, s[26:27]
	v_readfirstlane_b32 s2, v4
	v_readfirstlane_b32 s3, v5
	s_mov_b64 s[4:5], exec
	s_waitcnt vmcnt(0)
	v_readfirstlane_b32 s6, v6
	v_readfirstlane_b32 s7, v7
	s_and_b64 s[6:7], s[2:3], s[6:7]
	s_mul_i32 s8, s7, 24
	s_mul_hi_u32 s9, s6, 24
	s_add_i32 s9, s9, s8
	s_mul_i32 s8, s6, 24
	v_lshl_add_u64 v[4:5], v[0:1], 0, s[8:9]
	s_and_saveexec_b64 s[8:9], s[0:1]
	s_cbranch_execz .LBB8_293
; %bb.292:                              ;   in Loop: Header=BB8_171 Depth=1
	v_mov_b64_e32 v[48:49], s[4:5]
	global_store_dwordx4 v[4:5], v[48:51], off offset:8
.LBB8_293:                              ;   in Loop: Header=BB8_171 Depth=1
	s_or_b64 exec, exec, s[8:9]
	s_lshl_b64 s[4:5], s[6:7], 12
	v_lshl_add_u64 v[6:7], v[2:3], 0, s[4:5]
	v_mov_b64_e32 v[8:9], s[20:21]
	v_and_or_b32 v52, v52, s34, 32
	v_mov_b32_e32 v54, v55
	v_readfirstlane_b32 s4, v6
	v_readfirstlane_b32 s5, v7
	v_mov_b64_e32 v[10:11], s[22:23]
	s_nop 3
	global_store_dwordx4 v56, v[52:55], s[4:5]
	global_store_dwordx4 v56, v[8:11], s[4:5] offset:16
	global_store_dwordx4 v56, v[8:11], s[4:5] offset:32
	;; [unrolled: 1-line block ×3, first 2 shown]
	s_and_saveexec_b64 s[4:5], s[0:1]
	s_cbranch_execz .LBB8_301
; %bb.294:                              ;   in Loop: Header=BB8_171 Depth=1
	global_load_dwordx2 v[12:13], v55, s[26:27] offset:32 sc0 sc1
	global_load_dwordx2 v[2:3], v55, s[26:27] offset:40
	v_mov_b32_e32 v10, s2
	v_mov_b32_e32 v11, s3
	s_waitcnt vmcnt(0)
	v_readfirstlane_b32 s6, v2
	v_readfirstlane_b32 s7, v3
	s_and_b64 s[6:7], s[6:7], s[2:3]
	s_mul_i32 s7, s7, 24
	s_mul_hi_u32 s8, s6, 24
	s_mul_i32 s6, s6, 24
	s_add_i32 s7, s8, s7
	v_lshl_add_u64 v[8:9], v[0:1], 0, s[6:7]
	global_store_dwordx2 v[8:9], v[12:13], off
	buffer_wbl2 sc0 sc1
	s_waitcnt vmcnt(0)
	global_atomic_cmpswap_x2 v[2:3], v55, v[10:13], s[26:27] offset:32 sc0 sc1
	s_waitcnt vmcnt(0)
	v_cmp_ne_u64_e32 vcc, v[2:3], v[12:13]
	s_and_saveexec_b64 s[6:7], vcc
	s_cbranch_execz .LBB8_297
; %bb.295:                              ;   in Loop: Header=BB8_171 Depth=1
	s_mov_b64 s[8:9], 0
.LBB8_296:                              ;   Parent Loop BB8_171 Depth=1
                                        ; =>  This Inner Loop Header: Depth=2
	s_sleep 1
	global_store_dwordx2 v[8:9], v[2:3], off
	v_mov_b32_e32 v0, s2
	v_mov_b32_e32 v1, s3
	buffer_wbl2 sc0 sc1
	s_waitcnt vmcnt(0)
	global_atomic_cmpswap_x2 v[0:1], v55, v[0:3], s[26:27] offset:32 sc0 sc1
	s_waitcnt vmcnt(0)
	v_cmp_eq_u64_e32 vcc, v[0:1], v[2:3]
	s_or_b64 s[8:9], vcc, s[8:9]
	v_mov_b64_e32 v[2:3], v[0:1]
	s_andn2_b64 exec, exec, s[8:9]
	s_cbranch_execnz .LBB8_296
.LBB8_297:                              ;   in Loop: Header=BB8_171 Depth=1
	s_or_b64 exec, exec, s[6:7]
	global_load_dwordx2 v[0:1], v55, s[26:27] offset:16
	s_mov_b64 s[8:9], exec
	v_mbcnt_lo_u32_b32 v2, s8, 0
	v_mbcnt_hi_u32_b32 v2, s9, v2
	v_cmp_eq_u32_e32 vcc, 0, v2
	s_and_saveexec_b64 s[6:7], vcc
	s_cbranch_execz .LBB8_299
; %bb.298:                              ;   in Loop: Header=BB8_171 Depth=1
	s_bcnt1_i32_b64 s8, s[8:9]
	v_mov_b32_e32 v54, s8
	buffer_wbl2 sc0 sc1
	s_waitcnt vmcnt(0)
	global_atomic_add_x2 v[0:1], v[54:55], off offset:8 sc1
.LBB8_299:                              ;   in Loop: Header=BB8_171 Depth=1
	s_or_b64 exec, exec, s[6:7]
	s_waitcnt vmcnt(0)
	global_load_dwordx2 v[2:3], v[0:1], off offset:16
	s_waitcnt vmcnt(0)
	v_cmp_eq_u64_e32 vcc, 0, v[2:3]
	s_cbranch_vccnz .LBB8_301
; %bb.300:                              ;   in Loop: Header=BB8_171 Depth=1
	global_load_dword v54, v[0:1], off offset:24
	s_waitcnt vmcnt(0)
	v_and_b32_e32 v0, 0xffffff, v54
	s_nop 0
	v_readfirstlane_b32 m0, v0
	buffer_wbl2 sc0 sc1
	global_store_dwordx2 v[2:3], v[54:55], off sc0 sc1
	s_sendmsg sendmsg(MSG_INTERRUPT)
.LBB8_301:                              ;   in Loop: Header=BB8_171 Depth=1
	s_or_b64 exec, exec, s[4:5]
	v_mov_b32_e32 v57, v55
	v_lshl_add_u64 v[0:1], v[6:7], 0, v[56:57]
	s_branch .LBB8_305
.LBB8_302:                              ;   in Loop: Header=BB8_305 Depth=2
	s_or_b64 exec, exec, s[4:5]
	v_readfirstlane_b32 s4, v2
	s_cmp_eq_u32 s4, 0
	s_cbranch_scc1 .LBB8_304
; %bb.303:                              ;   in Loop: Header=BB8_305 Depth=2
	s_sleep 1
	s_cbranch_execnz .LBB8_305
	s_branch .LBB8_307
.LBB8_304:                              ;   in Loop: Header=BB8_171 Depth=1
	s_branch .LBB8_307
.LBB8_305:                              ;   Parent Loop BB8_171 Depth=1
                                        ; =>  This Inner Loop Header: Depth=2
	v_mov_b32_e32 v2, 1
	s_and_saveexec_b64 s[4:5], s[0:1]
	s_cbranch_execz .LBB8_302
; %bb.306:                              ;   in Loop: Header=BB8_305 Depth=2
	global_load_dword v2, v[4:5], off offset:20 sc0 sc1
	s_waitcnt vmcnt(0)
	buffer_inv sc0 sc1
	v_and_b32_e32 v2, 1, v2
	s_branch .LBB8_302
.LBB8_307:                              ;   in Loop: Header=BB8_171 Depth=1
	global_load_dwordx2 v[0:1], v[0:1], off
	s_and_saveexec_b64 s[4:5], s[0:1]
	s_cbranch_execz .LBB8_311
; %bb.308:                              ;   in Loop: Header=BB8_171 Depth=1
	global_load_dwordx2 v[6:7], v55, s[26:27] offset:40
	global_load_dwordx2 v[8:9], v55, s[26:27] offset:24 sc0 sc1
	global_load_dwordx2 v[10:11], v55, s[26:27]
	s_waitcnt vmcnt(0)
	v_lshl_add_u64 v[2:3], v[6:7], 0, 1
	v_lshl_add_u64 v[12:13], v[2:3], 0, s[2:3]
	v_cmp_eq_u64_e32 vcc, 0, v[12:13]
	v_mov_b32_e32 v4, v8
	s_nop 0
	v_cndmask_b32_e32 v3, v13, v3, vcc
	v_cndmask_b32_e32 v2, v12, v2, vcc
	v_and_b32_e32 v5, v3, v7
	v_and_b32_e32 v6, v2, v6
	v_mul_lo_u32 v5, v5, 24
	v_mul_hi_u32 v7, v6, 24
	v_mul_lo_u32 v6, v6, 24
	v_add_u32_e32 v7, v7, v5
	v_lshl_add_u64 v[6:7], v[10:11], 0, v[6:7]
	global_store_dwordx2 v[6:7], v[8:9], off
	v_mov_b32_e32 v5, v9
	buffer_wbl2 sc0 sc1
	s_waitcnt vmcnt(0)
	global_atomic_cmpswap_x2 v[4:5], v55, v[2:5], s[26:27] offset:24 sc0 sc1
	s_waitcnt vmcnt(0)
	v_cmp_ne_u64_e32 vcc, v[4:5], v[8:9]
	s_and_b64 exec, exec, vcc
	s_cbranch_execz .LBB8_311
; %bb.309:                              ;   in Loop: Header=BB8_171 Depth=1
	s_mov_b64 s[0:1], 0
.LBB8_310:                              ;   Parent Loop BB8_171 Depth=1
                                        ; =>  This Inner Loop Header: Depth=2
	s_sleep 1
	global_store_dwordx2 v[6:7], v[4:5], off
	buffer_wbl2 sc0 sc1
	s_waitcnt vmcnt(0)
	global_atomic_cmpswap_x2 v[8:9], v55, v[2:5], s[26:27] offset:24 sc0 sc1
	s_waitcnt vmcnt(0)
	v_cmp_eq_u64_e32 vcc, v[8:9], v[4:5]
	s_or_b64 s[0:1], vcc, s[0:1]
	v_mov_b64_e32 v[4:5], v[8:9]
	s_andn2_b64 exec, exec, s[0:1]
	s_cbranch_execnz .LBB8_310
.LBB8_311:                              ;   in Loop: Header=BB8_171 Depth=1
	s_or_b64 exec, exec, s[4:5]
.LBB8_312:                              ;   in Loop: Header=BB8_171 Depth=1
	v_readfirstlane_b32 s0, v46
	s_waitcnt vmcnt(0)
	v_mov_b64_e32 v[2:3], 0
	v_cmp_eq_u32_e64 s[0:1], s0, v46
	s_and_saveexec_b64 s[2:3], s[0:1]
	s_cbranch_execz .LBB8_318
; %bb.313:                              ;   in Loop: Header=BB8_171 Depth=1
	global_load_dwordx2 v[4:5], v55, s[26:27] offset:24 sc0 sc1
	s_waitcnt vmcnt(0)
	buffer_inv sc0 sc1
	global_load_dwordx2 v[2:3], v55, s[26:27] offset:40
	global_load_dwordx2 v[6:7], v55, s[26:27]
	s_waitcnt vmcnt(0)
	v_and_b32_e32 v2, v2, v4
	v_and_b32_e32 v3, v3, v5
	v_mul_lo_u32 v3, v3, 24
	v_mul_hi_u32 v8, v2, 24
	v_add_u32_e32 v3, v8, v3
	v_mul_lo_u32 v2, v2, 24
	v_lshl_add_u64 v[2:3], v[6:7], 0, v[2:3]
	global_load_dwordx2 v[2:3], v[2:3], off sc0 sc1
	s_waitcnt vmcnt(0)
	global_atomic_cmpswap_x2 v[2:3], v55, v[2:5], s[26:27] offset:24 sc0 sc1
	s_waitcnt vmcnt(0)
	buffer_inv sc0 sc1
	v_cmp_ne_u64_e32 vcc, v[2:3], v[4:5]
	s_and_saveexec_b64 s[4:5], vcc
	s_cbranch_execz .LBB8_317
; %bb.314:                              ;   in Loop: Header=BB8_171 Depth=1
	s_mov_b64 s[6:7], 0
.LBB8_315:                              ;   Parent Loop BB8_171 Depth=1
                                        ; =>  This Inner Loop Header: Depth=2
	s_sleep 1
	global_load_dwordx2 v[6:7], v55, s[26:27] offset:40
	global_load_dwordx2 v[8:9], v55, s[26:27]
	v_mov_b64_e32 v[4:5], v[2:3]
	s_waitcnt vmcnt(0)
	v_and_b32_e32 v2, v6, v4
	v_mad_u64_u32 v[2:3], s[8:9], v2, 24, v[8:9]
	v_and_b32_e32 v7, v7, v5
	v_mov_b32_e32 v6, v3
	v_mad_u64_u32 v[6:7], s[8:9], v7, 24, v[6:7]
	v_mov_b32_e32 v3, v6
	global_load_dwordx2 v[2:3], v[2:3], off sc0 sc1
	s_waitcnt vmcnt(0)
	global_atomic_cmpswap_x2 v[2:3], v55, v[2:5], s[26:27] offset:24 sc0 sc1
	s_waitcnt vmcnt(0)
	buffer_inv sc0 sc1
	v_cmp_eq_u64_e32 vcc, v[2:3], v[4:5]
	s_or_b64 s[6:7], vcc, s[6:7]
	s_andn2_b64 exec, exec, s[6:7]
	s_cbranch_execnz .LBB8_315
; %bb.316:                              ;   in Loop: Header=BB8_171 Depth=1
	s_or_b64 exec, exec, s[6:7]
.LBB8_317:                              ;   in Loop: Header=BB8_171 Depth=1
	s_or_b64 exec, exec, s[4:5]
.LBB8_318:                              ;   in Loop: Header=BB8_171 Depth=1
	s_or_b64 exec, exec, s[2:3]
	global_load_dwordx2 v[8:9], v55, s[26:27] offset:40
	global_load_dwordx4 v[4:7], v55, s[26:27]
	v_readfirstlane_b32 s2, v2
	v_readfirstlane_b32 s3, v3
	s_mov_b64 s[4:5], exec
	s_waitcnt vmcnt(0)
	v_readfirstlane_b32 s6, v8
	v_readfirstlane_b32 s7, v9
	s_and_b64 s[6:7], s[2:3], s[6:7]
	s_mul_i32 s8, s7, 24
	s_mul_hi_u32 s9, s6, 24
	s_add_i32 s9, s9, s8
	s_mul_i32 s8, s6, 24
	v_lshl_add_u64 v[8:9], v[4:5], 0, s[8:9]
	s_and_saveexec_b64 s[8:9], s[0:1]
	s_cbranch_execz .LBB8_320
; %bb.319:                              ;   in Loop: Header=BB8_171 Depth=1
	v_mov_b64_e32 v[48:49], s[4:5]
	global_store_dwordx4 v[8:9], v[48:51], off offset:8
.LBB8_320:                              ;   in Loop: Header=BB8_171 Depth=1
	s_or_b64 exec, exec, s[8:9]
	s_lshl_b64 s[4:5], s[6:7], 12
	v_lshl_add_u64 v[6:7], v[6:7], 0, s[4:5]
	v_and_or_b32 v0, v0, s35, 34
	s_waitcnt lgkmcnt(0)
	v_ashrrev_i32_e32 v3, 31, v21
	v_mov_b32_e32 v2, v21
	v_readfirstlane_b32 s4, v6
	v_readfirstlane_b32 s5, v7
	s_nop 4
	global_store_dwordx4 v56, v[0:3], s[4:5]
	s_nop 1
	v_mov_b64_e32 v[0:1], s[20:21]
	v_mov_b64_e32 v[2:3], s[22:23]
	global_store_dwordx4 v56, v[0:3], s[4:5] offset:16
	global_store_dwordx4 v56, v[0:3], s[4:5] offset:32
	;; [unrolled: 1-line block ×3, first 2 shown]
	s_and_saveexec_b64 s[4:5], s[0:1]
	s_cbranch_execz .LBB8_328
; %bb.321:                              ;   in Loop: Header=BB8_171 Depth=1
	global_load_dwordx2 v[12:13], v55, s[26:27] offset:32 sc0 sc1
	global_load_dwordx2 v[0:1], v55, s[26:27] offset:40
	v_mov_b32_e32 v10, s2
	v_mov_b32_e32 v11, s3
	s_waitcnt vmcnt(0)
	v_readfirstlane_b32 s6, v0
	v_readfirstlane_b32 s7, v1
	s_and_b64 s[6:7], s[6:7], s[2:3]
	s_mul_i32 s7, s7, 24
	s_mul_hi_u32 s8, s6, 24
	s_mul_i32 s6, s6, 24
	s_add_i32 s7, s8, s7
	v_lshl_add_u64 v[4:5], v[4:5], 0, s[6:7]
	global_store_dwordx2 v[4:5], v[12:13], off
	buffer_wbl2 sc0 sc1
	s_waitcnt vmcnt(0)
	global_atomic_cmpswap_x2 v[2:3], v55, v[10:13], s[26:27] offset:32 sc0 sc1
	s_waitcnt vmcnt(0)
	v_cmp_ne_u64_e32 vcc, v[2:3], v[12:13]
	s_and_saveexec_b64 s[6:7], vcc
	s_cbranch_execz .LBB8_324
; %bb.322:                              ;   in Loop: Header=BB8_171 Depth=1
	s_mov_b64 s[8:9], 0
.LBB8_323:                              ;   Parent Loop BB8_171 Depth=1
                                        ; =>  This Inner Loop Header: Depth=2
	s_sleep 1
	global_store_dwordx2 v[4:5], v[2:3], off
	v_mov_b32_e32 v0, s2
	v_mov_b32_e32 v1, s3
	buffer_wbl2 sc0 sc1
	s_waitcnt vmcnt(0)
	global_atomic_cmpswap_x2 v[0:1], v55, v[0:3], s[26:27] offset:32 sc0 sc1
	s_waitcnt vmcnt(0)
	v_cmp_eq_u64_e32 vcc, v[0:1], v[2:3]
	s_or_b64 s[8:9], vcc, s[8:9]
	v_mov_b64_e32 v[2:3], v[0:1]
	s_andn2_b64 exec, exec, s[8:9]
	s_cbranch_execnz .LBB8_323
.LBB8_324:                              ;   in Loop: Header=BB8_171 Depth=1
	s_or_b64 exec, exec, s[6:7]
	global_load_dwordx2 v[0:1], v55, s[26:27] offset:16
	s_mov_b64 s[8:9], exec
	v_mbcnt_lo_u32_b32 v2, s8, 0
	v_mbcnt_hi_u32_b32 v2, s9, v2
	v_cmp_eq_u32_e32 vcc, 0, v2
	s_and_saveexec_b64 s[6:7], vcc
	s_cbranch_execz .LBB8_326
; %bb.325:                              ;   in Loop: Header=BB8_171 Depth=1
	s_bcnt1_i32_b64 s8, s[8:9]
	v_mov_b32_e32 v54, s8
	buffer_wbl2 sc0 sc1
	s_waitcnt vmcnt(0)
	global_atomic_add_x2 v[0:1], v[54:55], off offset:8 sc1
.LBB8_326:                              ;   in Loop: Header=BB8_171 Depth=1
	s_or_b64 exec, exec, s[6:7]
	s_waitcnt vmcnt(0)
	global_load_dwordx2 v[2:3], v[0:1], off offset:16
	s_waitcnt vmcnt(0)
	v_cmp_eq_u64_e32 vcc, 0, v[2:3]
	s_cbranch_vccnz .LBB8_328
; %bb.327:                              ;   in Loop: Header=BB8_171 Depth=1
	global_load_dword v54, v[0:1], off offset:24
	s_waitcnt vmcnt(0)
	v_and_b32_e32 v0, 0xffffff, v54
	s_nop 0
	v_readfirstlane_b32 m0, v0
	buffer_wbl2 sc0 sc1
	global_store_dwordx2 v[2:3], v[54:55], off sc0 sc1
	s_sendmsg sendmsg(MSG_INTERRUPT)
.LBB8_328:                              ;   in Loop: Header=BB8_171 Depth=1
	s_or_b64 exec, exec, s[4:5]
	s_branch .LBB8_332
.LBB8_329:                              ;   in Loop: Header=BB8_332 Depth=2
	s_or_b64 exec, exec, s[4:5]
	v_readfirstlane_b32 s4, v0
	s_cmp_eq_u32 s4, 0
	s_cbranch_scc1 .LBB8_331
; %bb.330:                              ;   in Loop: Header=BB8_332 Depth=2
	s_sleep 1
	s_cbranch_execnz .LBB8_332
	s_branch .LBB8_334
.LBB8_331:                              ;   in Loop: Header=BB8_171 Depth=1
	s_branch .LBB8_334
.LBB8_332:                              ;   Parent Loop BB8_171 Depth=1
                                        ; =>  This Inner Loop Header: Depth=2
	v_mov_b32_e32 v0, 1
	s_and_saveexec_b64 s[4:5], s[0:1]
	s_cbranch_execz .LBB8_329
; %bb.333:                              ;   in Loop: Header=BB8_332 Depth=2
	global_load_dword v0, v[8:9], off offset:20 sc0 sc1
	s_waitcnt vmcnt(0)
	buffer_inv sc0 sc1
	v_and_b32_e32 v0, 1, v0
	s_branch .LBB8_329
.LBB8_334:                              ;   in Loop: Header=BB8_171 Depth=1
	s_and_saveexec_b64 s[4:5], s[0:1]
	s_cbranch_execz .LBB8_170
; %bb.335:                              ;   in Loop: Header=BB8_171 Depth=1
	global_load_dwordx2 v[4:5], v55, s[26:27] offset:40
	global_load_dwordx2 v[6:7], v55, s[26:27] offset:24 sc0 sc1
	global_load_dwordx2 v[8:9], v55, s[26:27]
	s_waitcnt vmcnt(2)
	v_lshl_add_u64 v[0:1], v[4:5], 0, 1
	v_lshl_add_u64 v[10:11], v[0:1], 0, s[2:3]
	v_cmp_eq_u64_e32 vcc, 0, v[10:11]
	s_waitcnt vmcnt(1)
	v_mov_b32_e32 v2, v6
	v_cndmask_b32_e32 v1, v11, v1, vcc
	v_cndmask_b32_e32 v0, v10, v0, vcc
	v_and_b32_e32 v3, v1, v5
	v_and_b32_e32 v4, v0, v4
	v_mul_lo_u32 v3, v3, 24
	v_mul_hi_u32 v5, v4, 24
	v_mul_lo_u32 v4, v4, 24
	v_add_u32_e32 v5, v5, v3
	s_waitcnt vmcnt(0)
	v_lshl_add_u64 v[4:5], v[8:9], 0, v[4:5]
	global_store_dwordx2 v[4:5], v[6:7], off
	v_mov_b32_e32 v3, v7
	buffer_wbl2 sc0 sc1
	s_waitcnt vmcnt(0)
	global_atomic_cmpswap_x2 v[2:3], v55, v[0:3], s[26:27] offset:24 sc0 sc1
	s_waitcnt vmcnt(0)
	v_cmp_ne_u64_e32 vcc, v[2:3], v[6:7]
	s_and_b64 exec, exec, vcc
	s_cbranch_execz .LBB8_170
; %bb.336:                              ;   in Loop: Header=BB8_171 Depth=1
	s_mov_b64 s[0:1], 0
.LBB8_337:                              ;   Parent Loop BB8_171 Depth=1
                                        ; =>  This Inner Loop Header: Depth=2
	s_sleep 1
	global_store_dwordx2 v[4:5], v[2:3], off
	buffer_wbl2 sc0 sc1
	s_waitcnt vmcnt(0)
	global_atomic_cmpswap_x2 v[6:7], v55, v[0:3], s[26:27] offset:24 sc0 sc1
	s_waitcnt vmcnt(0)
	v_cmp_eq_u64_e32 vcc, v[6:7], v[2:3]
	s_or_b64 s[0:1], vcc, s[0:1]
	v_mov_b64_e32 v[2:3], v[6:7]
	s_andn2_b64 exec, exec, s[0:1]
	s_cbranch_execnz .LBB8_337
	s_branch .LBB8_170
.LBB8_338:
	v_readlane_b32 s30, v37, 0
	v_readlane_b32 s31, v37, 1
	;; [unrolled: 1-line block ×3, first 2 shown]
	s_xor_saveexec_b64 s[2:3], -1
	scratch_load_dword v37, off, s33        ; 4-byte Folded Reload
	s_mov_b64 exec, s[2:3]
	s_add_i32 s32, s32, -16
	s_mov_b32 s33, s0
	s_waitcnt vmcnt(0) lgkmcnt(0)
	s_setpc_b64 s[30:31]
.Lfunc_end8:
	.size	_ZN8migraphx4testlsIKNS_13basic_printerIZNS_4coutEvEUlT_E_EEEERS3_S7_RKNS0_10expressionINS0_14lhs_expressionIRNS_5arrayIiLj5EEENS0_3nopEEESC_NS0_5equalEEE, .Lfunc_end8-_ZN8migraphx4testlsIKNS_13basic_printerIZNS_4coutEvEUlT_E_EEEERS3_S7_RKNS0_10expressionINS0_14lhs_expressionIRNS_5arrayIiLj5EEENS0_3nopEEESC_NS0_5equalEEE
                                        ; -- End function
	.section	.AMDGPU.csdata,"",@progbits
; Function info:
; codeLenInByte = 11748
; NumSgprs: 42
; NumVgprs: 62
; NumAgprs: 0
; TotalNumVgprs: 62
; ScratchSize: 16
; MemoryBound: 0
	.text
	.p2align	2                               ; -- Begin function _ZL24merge_all_equal_elementsRN8migraphx4test12test_managerE
	.type	_ZL24merge_all_equal_elementsRN8migraphx4test12test_managerE,@function
_ZL24merge_all_equal_elementsRN8migraphx4test12test_managerE: ; @_ZL24merge_all_equal_elementsRN8migraphx4test12test_managerE
; %bb.0:
	s_waitcnt vmcnt(0) expcnt(0) lgkmcnt(0)
	s_mov_b32 s0, s33
	s_mov_b32 s33, s32
	s_or_saveexec_b64 s[2:3], -1
	scratch_store_dword off, v62, s33 offset:80 ; 4-byte Folded Spill
	s_mov_b64 exec, s[2:3]
	v_writelane_b32 v62, s0, 2
	v_writelane_b32 v62, s30, 0
	s_addk_i32 s32, 0x60
	s_nop 0
	v_writelane_b32 v62, s31, 1
	v_mov_b32_e32 v34, v0
	v_mov_b32_e32 v0, 5
	;; [unrolled: 1-line block ×5, first 2 shown]
	scratch_store_dwordx3 off, v[0:2], s33
	scratch_store_dwordx2 off, v[0:1], s33 offset:12
	s_add_i32 s0, s33, 20
	v_mov_b32_e32 v0, 0
	v_mov_b32_e32 v1, v0
	v_mov_b32_e32 v2, v0
	v_mov_b32_e32 v3, v0
	scratch_store_dwordx4 off, v[0:3], s33 offset:20
	scratch_store_dword off, v0, s33 offset:36
	v_mov_b32_e32 v6, v0
	v_mov_b32_e32 v3, s0
	s_mov_b64 s[0:1], 0
                                        ; implicit-def: $sgpr2_sgpr3
                                        ; implicit-def: $sgpr6_sgpr7
                                        ; implicit-def: $sgpr4_sgpr5
	s_branch .LBB9_2
.LBB9_1:                                ;   in Loop: Header=BB9_2 Depth=1
	s_or_b64 exec, exec, s[10:11]
	s_and_b64 s[10:11], exec, s[6:7]
	s_or_b64 s[0:1], s[10:11], s[0:1]
	s_andn2_b64 s[2:3], s[2:3], exec
	s_and_b64 s[10:11], s[4:5], exec
	s_or_b64 s[2:3], s[2:3], s[10:11]
	s_andn2_b64 exec, exec, s[0:1]
	s_cbranch_execz .LBB9_4
.LBB9_2:                                ; =>This Inner Loop Header: Depth=1
	v_mov_b32_e32 v2, v6
	v_mov_b32_e32 v1, v3
	v_cmp_ne_u32_e32 vcc, 8, v0
	s_or_b64 s[4:5], s[4:5], exec
	s_or_b64 s[6:7], s[6:7], exec
                                        ; implicit-def: $vgpr6
                                        ; implicit-def: $vgpr3
                                        ; implicit-def: $vgpr4
                                        ; implicit-def: $vgpr5
	s_and_saveexec_b64 s[10:11], vcc
	s_cbranch_execz .LBB9_1
; %bb.3:                                ;   in Loop: Header=BB9_2 Depth=1
	s_add_i32 s15, s33, 12
	v_add_u32_e32 v4, s15, v0
	v_add_u32_e32 v3, s33, v2
	scratch_load_dword v5, v4, off
	scratch_load_dword v6, v3, off
	s_andn2_b64 s[6:7], s[6:7], exec
	v_add_u32_e32 v3, 4, v1
	s_andn2_b64 s[4:5], s[4:5], exec
	s_waitcnt vmcnt(0)
	v_cmp_ge_i32_e32 vcc, v5, v6
	s_nop 1
	v_cndmask_b32_e64 v8, 0, 1, vcc
	v_min_i32_e32 v7, v5, v6
	v_cmp_lt_i32_e32 vcc, v5, v6
	v_lshl_add_u32 v6, v8, 2, v2
	scratch_store_dword v1, v7, off
	v_cndmask_b32_e64 v5, 0, 1, vcc
	v_cmp_eq_u32_e32 vcc, 12, v6
	v_lshlrev_b32_e32 v5, 2, v5
	s_and_b64 s[16:17], vcc, exec
	v_add_u32_e32 v0, v5, v0
	s_or_b64 s[6:7], s[6:7], s[16:17]
	s_branch .LBB9_1
.LBB9_4:
	s_or_b64 exec, exec, s[0:1]
	s_xor_b64 s[0:1], s[2:3], -1
	s_and_saveexec_b64 s[2:3], s[0:1]
	s_xor_b64 s[0:1], exec, s[2:3]
	s_cbranch_execz .LBB9_14
; %bb.5:
	v_cmp_ne_u32_e32 vcc, 8, v0
	s_and_saveexec_b64 s[2:3], vcc
	s_cbranch_execz .LBB9_13
; %bb.6:
	v_cmp_ne_u32_e32 vcc, 4, v0
	s_mov_b64 s[6:7], -1
	v_mov_b32_e32 v6, 4
	s_and_saveexec_b64 s[4:5], vcc
	s_cbranch_execz .LBB9_10
; %bb.7:
	v_sub_u32_e32 v6, 4, v0
	v_lshrrev_b32_e32 v6, 2, v6
	v_add_u32_e32 v7, 1, v6
	v_and_b32_e32 v8, 0x7ffffffe, v7
	v_add_u32_e32 v4, v4, v5
	s_mov_b32 s10, 0
	s_mov_b64 s[6:7], 0
	v_mov_b32_e32 v5, v8
.LBB9_8:                                ; =>This Inner Loop Header: Depth=1
	v_add_u32_e32 v6, s10, v4
	scratch_load_dwordx2 v[10:11], v6, off
	v_add_u32_e32 v5, -2, v5
	v_add_u32_e32 v6, s10, v3
	s_add_i32 s10, s10, 8
	v_cmp_eq_u32_e32 vcc, 0, v5
	s_or_b64 s[6:7], vcc, s[6:7]
	s_waitcnt vmcnt(0)
	scratch_store_dwordx2 v6, v[10:11], off
	s_andn2_b64 exec, exec, s[6:7]
	s_cbranch_execnz .LBB9_8
; %bb.9:
	s_or_b64 exec, exec, s[6:7]
	v_lshlrev_b32_e32 v4, 2, v8
	v_cmp_ne_u32_e32 vcc, v7, v8
	v_add_u32_e32 v3, v3, v4
	v_add_u32_e32 v6, v0, v4
	s_orn2_b64 s[6:7], vcc, exec
.LBB9_10:
	s_or_b64 exec, exec, s[4:5]
	s_and_b64 exec, exec, s[6:7]
	s_cbranch_execz .LBB9_13
; %bb.11:
	s_mov_b64 s[4:5], 0
.LBB9_12:                               ; =>This Inner Loop Header: Depth=1
	s_add_i32 s6, s33, 12
	v_add_u32_e32 v0, s6, v6
	scratch_load_dword v0, v0, off
	v_add_u32_e32 v6, 4, v6
	v_add_u32_e32 v4, 4, v3
	v_cmp_eq_u32_e32 vcc, 8, v6
	s_or_b64 s[4:5], vcc, s[4:5]
	s_waitcnt vmcnt(0)
	scratch_store_dword v3, v0, off
	v_mov_b32_e32 v3, v4
	s_andn2_b64 exec, exec, s[4:5]
	s_cbranch_execnz .LBB9_12
.LBB9_13:
	s_or_b64 exec, exec, s[2:3]
.LBB9_14:
	s_andn2_saveexec_b64 s[0:1], s[0:1]
	s_cbranch_execz .LBB9_23
; %bb.15:
	v_cmp_ne_u32_e32 vcc, 8, v2
	s_mov_b64 s[4:5], -1
	v_mov_b32_e32 v0, 8
	s_and_saveexec_b64 s[2:3], vcc
	s_cbranch_execz .LBB9_19
; %bb.16:
	v_sub_u32_e32 v0, 8, v2
	v_lshrrev_b32_e32 v0, 2, v0
	v_add_u32_e32 v3, 1, v0
	v_and_b32_e32 v4, 0x7ffffffe, v3
	v_add_u32_e32 v0, s33, v2
	s_mov_b32 s6, 0
	s_mov_b64 s[4:5], 0
	v_mov_b32_e32 v5, v4
.LBB9_17:                               ; =>This Inner Loop Header: Depth=1
	v_add_u32_e32 v6, s6, v0
	scratch_load_dwordx2 v[6:7], v6, off
	v_add_u32_e32 v5, -2, v5
	v_add_u32_e32 v8, s6, v1
	s_add_i32 s6, s6, 8
	v_cmp_eq_u32_e32 vcc, 0, v5
	s_or_b64 s[4:5], vcc, s[4:5]
	s_waitcnt vmcnt(0)
	scratch_store_dwordx2 v8, v[6:7], off
	s_andn2_b64 exec, exec, s[4:5]
	s_cbranch_execnz .LBB9_17
; %bb.18:
	s_or_b64 exec, exec, s[4:5]
	v_lshlrev_b32_e32 v0, 2, v4
	v_cmp_ne_u32_e32 vcc, v3, v4
	v_add_u32_e32 v1, v1, v0
	v_add_u32_e32 v0, v2, v0
	s_orn2_b64 s[4:5], vcc, exec
.LBB9_19:
	s_or_b64 exec, exec, s[2:3]
	s_and_saveexec_b64 s[2:3], s[4:5]
	s_cbranch_execz .LBB9_22
; %bb.20:
	s_mov_b64 s[4:5], 0
.LBB9_21:                               ; =>This Inner Loop Header: Depth=1
	v_add_u32_e32 v2, s33, v0
	scratch_load_dword v2, v2, off
	v_add_u32_e32 v0, 4, v0
	v_add_u32_e32 v3, 4, v1
	v_cmp_eq_u32_e32 vcc, 12, v0
	s_or_b64 s[4:5], vcc, s[4:5]
	s_waitcnt vmcnt(0)
	scratch_store_dword v1, v2, off
	v_mov_b32_e32 v1, v3
	s_andn2_b64 exec, exec, s[4:5]
	s_cbranch_execnz .LBB9_21
.LBB9_22:
	s_or_b64 exec, exec, s[2:3]
.LBB9_23:
	s_or_b64 exec, exec, s[0:1]
	scratch_load_dword v12, off, s33 offset:36
	scratch_load_dwordx4 v[0:3], off, s33 offset:20
	s_mov_b64 s[0:1], src_private_base
	s_add_i32 s0, s33, 20
	v_mov_b32_e32 v8, s0
	s_add_i32 s0, s33, 40
	v_mov_b32_e32 v10, s0
	v_mov_b32_e32 v9, s1
	;; [unrolled: 1-line block ×7, first 2 shown]
	scratch_store_dword off, v4, s33 offset:56
	scratch_store_dwordx4 off, v[4:7], s33 offset:40
	scratch_store_dwordx4 off, v[8:11], s33 offset:64
	s_waitcnt vmcnt(4)
	v_cmp_ne_u32_e32 vcc, 5, v12
	s_waitcnt vmcnt(3)
	v_cmp_ne_u32_e64 s[0:1], 5, v1
	s_nop 1
	v_cndmask_b32_e64 v1, 0, 1, s[0:1]
	v_cmp_ne_u32_e64 s[0:1], 5, v0
	v_lshlrev_b16_e32 v1, 1, v1
	s_nop 0
	v_cndmask_b32_e64 v0, 0, 1, s[0:1]
	v_cmp_ne_u32_e64 s[0:1], 5, v2
	v_bitop3_b16 v0, v0, 3, v1 bitop3:0xc8
	s_nop 0
	v_cndmask_b32_e64 v2, 0, 1, s[0:1]
	v_cmp_ne_u32_e64 s[0:1], 5, v3
	v_lshlrev_b16_e32 v2, 2, v2
	s_nop 0
	v_cndmask_b32_e64 v3, 0, 1, s[0:1]
	v_lshlrev_b16_e32 v3, 3, v3
	v_or_b32_e32 v1, v3, v2
	v_bitop3_b16 v0, v0, 15, v1 bitop3:0xc8
	v_cmp_ne_u16_e64 s[0:1], 0, v0
	s_or_b64 s[0:1], s[0:1], vcc
	s_and_saveexec_b64 s[2:3], s[0:1]
	s_xor_b64 s[38:39], exec, s[2:3]
	s_cbranch_execz .LBB9_1747
; %bb.24:
	v_and_b32_e32 v0, 0x3ff, v31
	v_cmp_eq_u32_e32 vcc, 0, v0
	s_and_saveexec_b64 s[40:41], vcc
	s_cbranch_execz .LBB9_1746
; %bb.25:
	s_load_dwordx2 s[42:43], s[8:9], 0x50
	v_mbcnt_lo_u32_b32 v0, -1, 0
	v_mbcnt_hi_u32_b32 v47, -1, v0
	v_mov_b64_e32 v[4:5], 0
	v_readfirstlane_b32 s0, v47
	s_nop 1
	v_cmp_eq_u32_e64 s[0:1], s0, v47
	s_and_saveexec_b64 s[2:3], s[0:1]
	s_cbranch_execz .LBB9_31
; %bb.26:
	v_mov_b32_e32 v0, 0
	s_waitcnt lgkmcnt(0)
	global_load_dwordx2 v[6:7], v0, s[42:43] offset:24 sc0 sc1
	s_waitcnt vmcnt(0)
	buffer_inv sc0 sc1
	global_load_dwordx2 v[2:3], v0, s[42:43] offset:40
	global_load_dwordx2 v[4:5], v0, s[42:43]
	s_waitcnt vmcnt(1)
	v_and_b32_e32 v1, v2, v6
	v_and_b32_e32 v2, v3, v7
	v_mul_lo_u32 v2, v2, 24
	v_mul_hi_u32 v3, v1, 24
	v_add_u32_e32 v3, v3, v2
	v_mul_lo_u32 v2, v1, 24
	s_waitcnt vmcnt(0)
	v_lshl_add_u64 v[2:3], v[4:5], 0, v[2:3]
	global_load_dwordx2 v[4:5], v[2:3], off sc0 sc1
	s_waitcnt vmcnt(0)
	global_atomic_cmpswap_x2 v[4:5], v0, v[4:7], s[42:43] offset:24 sc0 sc1
	s_waitcnt vmcnt(0)
	buffer_inv sc0 sc1
	v_cmp_ne_u64_e32 vcc, v[4:5], v[6:7]
	s_and_saveexec_b64 s[4:5], vcc
	s_cbranch_execz .LBB9_30
; %bb.27:
	s_mov_b64 s[6:7], 0
.LBB9_28:                               ; =>This Inner Loop Header: Depth=1
	s_sleep 1
	global_load_dwordx2 v[2:3], v0, s[42:43] offset:40
	global_load_dwordx2 v[8:9], v0, s[42:43]
	v_mov_b64_e32 v[6:7], v[4:5]
	s_waitcnt vmcnt(1)
	v_and_b32_e32 v2, v2, v6
	v_and_b32_e32 v1, v3, v7
	s_waitcnt vmcnt(0)
	v_mad_u64_u32 v[2:3], s[10:11], v2, 24, v[8:9]
	v_mov_b32_e32 v4, v3
	v_mad_u64_u32 v[4:5], s[10:11], v1, 24, v[4:5]
	v_mov_b32_e32 v3, v4
	global_load_dwordx2 v[4:5], v[2:3], off sc0 sc1
	s_waitcnt vmcnt(0)
	global_atomic_cmpswap_x2 v[4:5], v0, v[4:7], s[42:43] offset:24 sc0 sc1
	s_waitcnt vmcnt(0)
	buffer_inv sc0 sc1
	v_cmp_eq_u64_e32 vcc, v[4:5], v[6:7]
	s_or_b64 s[6:7], vcc, s[6:7]
	s_andn2_b64 exec, exec, s[6:7]
	s_cbranch_execnz .LBB9_28
; %bb.29:
	s_or_b64 exec, exec, s[6:7]
.LBB9_30:
	s_or_b64 exec, exec, s[4:5]
.LBB9_31:
	s_or_b64 exec, exec, s[2:3]
	v_mov_b32_e32 v37, 0
	s_waitcnt lgkmcnt(0)
	global_load_dwordx2 v[6:7], v37, s[42:43] offset:40
	global_load_dwordx4 v[0:3], v37, s[42:43]
	v_readfirstlane_b32 s2, v4
	v_readfirstlane_b32 s3, v5
	s_mov_b64 s[4:5], exec
	s_waitcnt vmcnt(1)
	v_readfirstlane_b32 s6, v6
	v_readfirstlane_b32 s7, v7
	s_and_b64 s[6:7], s[2:3], s[6:7]
	s_mul_i32 s10, s7, 24
	s_mul_hi_u32 s11, s6, 24
	s_add_i32 s11, s11, s10
	s_mul_i32 s10, s6, 24
	s_waitcnt vmcnt(0)
	v_lshl_add_u64 v[4:5], v[0:1], 0, s[10:11]
	s_and_saveexec_b64 s[10:11], s[0:1]
	s_cbranch_execz .LBB9_33
; %bb.32:
	v_mov_b64_e32 v[6:7], s[4:5]
	v_mov_b32_e32 v8, 2
	v_mov_b32_e32 v9, 1
	global_store_dwordx4 v[4:5], v[6:9], off offset:8
.LBB9_33:
	s_or_b64 exec, exec, s[10:11]
	s_lshl_b64 s[4:5], s[6:7], 12
	v_lshl_add_u64 v[6:7], v[2:3], 0, s[4:5]
	s_mov_b32 s4, 0
	v_lshlrev_b32_e32 v36, 6, v47
	v_mov_b32_e32 v8, 33
	v_mov_b32_e32 v9, v37
	;; [unrolled: 1-line block ×4, first 2 shown]
	v_readfirstlane_b32 s10, v6
	v_readfirstlane_b32 s11, v7
	s_mov_b32 s6, s4
	s_mov_b32 s7, s4
	;; [unrolled: 1-line block ×3, first 2 shown]
	s_nop 1
	global_store_dwordx4 v36, v[8:11], s[10:11]
	s_nop 1
	v_mov_b64_e32 v[10:11], s[6:7]
	v_mov_b64_e32 v[8:9], s[4:5]
	global_store_dwordx4 v36, v[8:11], s[10:11] offset:16
	global_store_dwordx4 v36, v[8:11], s[10:11] offset:32
	;; [unrolled: 1-line block ×3, first 2 shown]
	s_and_saveexec_b64 s[4:5], s[0:1]
	s_cbranch_execz .LBB9_41
; %bb.34:
	v_mov_b32_e32 v10, 0
	global_load_dwordx2 v[14:15], v10, s[42:43] offset:32 sc0 sc1
	global_load_dwordx2 v[2:3], v10, s[42:43] offset:40
	v_mov_b32_e32 v12, s2
	v_mov_b32_e32 v13, s3
	s_waitcnt vmcnt(0)
	v_and_b32_e32 v2, s2, v2
	v_and_b32_e32 v3, s3, v3
	v_mul_lo_u32 v3, v3, 24
	v_mul_hi_u32 v8, v2, 24
	v_mul_lo_u32 v2, v2, 24
	v_add_u32_e32 v3, v8, v3
	v_lshl_add_u64 v[8:9], v[0:1], 0, v[2:3]
	global_store_dwordx2 v[8:9], v[14:15], off
	buffer_wbl2 sc0 sc1
	s_waitcnt vmcnt(0)
	global_atomic_cmpswap_x2 v[2:3], v10, v[12:15], s[42:43] offset:32 sc0 sc1
	s_waitcnt vmcnt(0)
	v_cmp_ne_u64_e32 vcc, v[2:3], v[14:15]
	s_and_saveexec_b64 s[6:7], vcc
	s_cbranch_execz .LBB9_37
; %bb.35:
	s_mov_b64 s[10:11], 0
.LBB9_36:                               ; =>This Inner Loop Header: Depth=1
	s_sleep 1
	global_store_dwordx2 v[8:9], v[2:3], off
	v_mov_b32_e32 v0, s2
	v_mov_b32_e32 v1, s3
	buffer_wbl2 sc0 sc1
	s_waitcnt vmcnt(0)
	global_atomic_cmpswap_x2 v[0:1], v10, v[0:3], s[42:43] offset:32 sc0 sc1
	s_waitcnt vmcnt(0)
	v_cmp_eq_u64_e32 vcc, v[0:1], v[2:3]
	s_or_b64 s[10:11], vcc, s[10:11]
	v_mov_b64_e32 v[2:3], v[0:1]
	s_andn2_b64 exec, exec, s[10:11]
	s_cbranch_execnz .LBB9_36
.LBB9_37:
	s_or_b64 exec, exec, s[6:7]
	v_mov_b32_e32 v3, 0
	global_load_dwordx2 v[0:1], v3, s[42:43] offset:16
	s_mov_b64 s[6:7], exec
	v_mbcnt_lo_u32_b32 v2, s6, 0
	v_mbcnt_hi_u32_b32 v2, s7, v2
	v_cmp_eq_u32_e32 vcc, 0, v2
	s_and_saveexec_b64 s[10:11], vcc
	s_cbranch_execz .LBB9_39
; %bb.38:
	s_bcnt1_i32_b64 s6, s[6:7]
	v_mov_b32_e32 v2, s6
	buffer_wbl2 sc0 sc1
	s_waitcnt vmcnt(0)
	global_atomic_add_x2 v[0:1], v[2:3], off offset:8 sc1
.LBB9_39:
	s_or_b64 exec, exec, s[10:11]
	s_waitcnt vmcnt(0)
	global_load_dwordx2 v[2:3], v[0:1], off offset:16
	s_waitcnt vmcnt(0)
	v_cmp_eq_u64_e32 vcc, 0, v[2:3]
	s_cbranch_vccnz .LBB9_41
; %bb.40:
	global_load_dword v0, v[0:1], off offset:24
	v_mov_b32_e32 v1, 0
	buffer_wbl2 sc0 sc1
	s_waitcnt vmcnt(0)
	global_store_dwordx2 v[2:3], v[0:1], off sc0 sc1
	v_and_b32_e32 v0, 0xffffff, v0
	s_nop 0
	v_readfirstlane_b32 m0, v0
	s_sendmsg sendmsg(MSG_INTERRUPT)
.LBB9_41:
	s_or_b64 exec, exec, s[4:5]
	v_lshl_add_u64 v[0:1], v[6:7], 0, v[36:37]
	s_branch .LBB9_45
.LBB9_42:                               ;   in Loop: Header=BB9_45 Depth=1
	s_or_b64 exec, exec, s[4:5]
	v_readfirstlane_b32 s4, v2
	s_cmp_eq_u32 s4, 0
	s_cbranch_scc1 .LBB9_44
; %bb.43:                               ;   in Loop: Header=BB9_45 Depth=1
	s_sleep 1
	s_cbranch_execnz .LBB9_45
	s_branch .LBB9_47
.LBB9_44:
	s_branch .LBB9_47
.LBB9_45:                               ; =>This Inner Loop Header: Depth=1
	v_mov_b32_e32 v2, 1
	s_and_saveexec_b64 s[4:5], s[0:1]
	s_cbranch_execz .LBB9_42
; %bb.46:                               ;   in Loop: Header=BB9_45 Depth=1
	global_load_dword v2, v[4:5], off offset:20 sc0 sc1
	s_waitcnt vmcnt(0)
	buffer_inv sc0 sc1
	v_and_b32_e32 v2, 1, v2
	s_branch .LBB9_42
.LBB9_47:
	global_load_dwordx2 v[4:5], v[0:1], off
	s_and_saveexec_b64 s[4:5], s[0:1]
	s_cbranch_execz .LBB9_50
; %bb.48:
	v_mov_b32_e32 v8, 0
	global_load_dwordx2 v[6:7], v8, s[42:43] offset:40
	global_load_dwordx2 v[10:11], v8, s[42:43] offset:24 sc0 sc1
	global_load_dwordx2 v[12:13], v8, s[42:43]
	s_mov_b64 s[0:1], 0
	s_waitcnt vmcnt(2)
	v_lshl_add_u64 v[0:1], v[6:7], 0, 1
	v_lshl_add_u64 v[14:15], v[0:1], 0, s[2:3]
	v_cmp_eq_u64_e32 vcc, 0, v[14:15]
	s_waitcnt vmcnt(1)
	v_mov_b32_e32 v2, v10
	v_cndmask_b32_e32 v1, v15, v1, vcc
	v_cndmask_b32_e32 v0, v14, v0, vcc
	v_and_b32_e32 v3, v1, v7
	v_and_b32_e32 v6, v0, v6
	v_mul_lo_u32 v3, v3, 24
	v_mul_hi_u32 v7, v6, 24
	v_mul_lo_u32 v6, v6, 24
	v_add_u32_e32 v7, v7, v3
	s_waitcnt vmcnt(0)
	v_lshl_add_u64 v[6:7], v[12:13], 0, v[6:7]
	global_store_dwordx2 v[6:7], v[10:11], off
	v_mov_b32_e32 v3, v11
	buffer_wbl2 sc0 sc1
	s_waitcnt vmcnt(0)
	global_atomic_cmpswap_x2 v[2:3], v8, v[0:3], s[42:43] offset:24 sc0 sc1
	s_waitcnt vmcnt(0)
	v_cmp_ne_u64_e32 vcc, v[2:3], v[10:11]
	s_and_b64 exec, exec, vcc
	s_cbranch_execz .LBB9_50
.LBB9_49:                               ; =>This Inner Loop Header: Depth=1
	s_sleep 1
	global_store_dwordx2 v[6:7], v[2:3], off
	buffer_wbl2 sc0 sc1
	s_waitcnt vmcnt(0)
	global_atomic_cmpswap_x2 v[10:11], v8, v[0:3], s[42:43] offset:24 sc0 sc1
	s_waitcnt vmcnt(0)
	v_cmp_eq_u64_e32 vcc, v[10:11], v[2:3]
	s_or_b64 s[0:1], vcc, s[0:1]
	v_mov_b64_e32 v[2:3], v[10:11]
	s_andn2_b64 exec, exec, s[0:1]
	s_cbranch_execnz .LBB9_49
.LBB9_50:
	s_or_b64 exec, exec, s[4:5]
	s_getpc_b64 s[4:5]
	s_add_u32 s4, s4, .str.5@rel32@lo+4
	s_addc_u32 s5, s5, .str.5@rel32@hi+12
	s_cmp_lg_u64 s[4:5], 0
	s_cselect_b64 s[2:3], -1, 0
	s_and_b64 vcc, exec, s[2:3]
	s_cbranch_vccz .LBB9_135
; %bb.51:
	s_waitcnt vmcnt(0)
	v_and_b32_e32 v26, 2, v4
	v_mov_b32_e32 v29, 0
	v_and_b32_e32 v0, -3, v4
	v_mov_b32_e32 v1, v5
	s_mov_b64 s[6:7], 3
	v_mov_b32_e32 v8, 2
	v_mov_b32_e32 v9, 1
	s_branch .LBB9_53
.LBB9_52:                               ;   in Loop: Header=BB9_53 Depth=1
	s_or_b64 exec, exec, s[18:19]
	s_sub_u32 s6, s6, s10
	s_subb_u32 s7, s7, s11
	s_add_u32 s4, s4, s10
	s_addc_u32 s5, s5, s11
	s_cmp_lg_u64 s[6:7], 0
	s_cbranch_scc0 .LBB9_134
.LBB9_53:                               ; =>This Loop Header: Depth=1
                                        ;     Child Loop BB9_56 Depth 2
                                        ;     Child Loop BB9_63 Depth 2
	;; [unrolled: 1-line block ×11, first 2 shown]
	v_cmp_lt_u64_e64 s[0:1], s[6:7], 56
	s_and_b64 s[0:1], s[0:1], exec
	v_cmp_gt_u64_e64 s[0:1], s[6:7], 7
	s_cselect_b32 s11, s7, 0
	s_cselect_b32 s10, s6, 56
	s_and_b64 vcc, exec, s[0:1]
	s_cbranch_vccnz .LBB9_58
; %bb.54:                               ;   in Loop: Header=BB9_53 Depth=1
	s_mov_b64 s[0:1], 0
	s_cmp_eq_u64 s[6:7], 0
	s_waitcnt vmcnt(0)
	v_mov_b64_e32 v[2:3], 0
	s_cbranch_scc1 .LBB9_57
; %bb.55:                               ;   in Loop: Header=BB9_53 Depth=1
	s_lshl_b64 s[16:17], s[10:11], 3
	s_mov_b64 s[18:19], 0
	v_mov_b64_e32 v[2:3], 0
	s_mov_b64 s[20:21], s[4:5]
.LBB9_56:                               ;   Parent Loop BB9_53 Depth=1
                                        ; =>  This Inner Loop Header: Depth=2
	global_load_ubyte v6, v29, s[20:21]
	s_waitcnt vmcnt(0)
	v_and_b32_e32 v28, 0xffff, v6
	v_lshlrev_b64 v[6:7], s18, v[28:29]
	s_add_u32 s18, s18, 8
	s_addc_u32 s19, s19, 0
	s_add_u32 s20, s20, 1
	s_addc_u32 s21, s21, 0
	v_or_b32_e32 v2, v6, v2
	s_cmp_lg_u32 s16, s18
	v_or_b32_e32 v3, v7, v3
	s_cbranch_scc1 .LBB9_56
.LBB9_57:                               ;   in Loop: Header=BB9_53 Depth=1
	s_mov_b32 s15, 0
	s_andn2_b64 vcc, exec, s[0:1]
	s_mov_b64 s[0:1], s[4:5]
	s_cbranch_vccz .LBB9_59
	s_branch .LBB9_60
.LBB9_58:                               ;   in Loop: Header=BB9_53 Depth=1
                                        ; implicit-def: $vgpr2_vgpr3
                                        ; implicit-def: $sgpr15
	s_mov_b64 s[0:1], s[4:5]
.LBB9_59:                               ;   in Loop: Header=BB9_53 Depth=1
	global_load_dwordx2 v[2:3], v29, s[4:5]
	s_add_i32 s15, s10, -8
	s_add_u32 s0, s4, 8
	s_addc_u32 s1, s5, 0
.LBB9_60:                               ;   in Loop: Header=BB9_53 Depth=1
	s_cmp_gt_u32 s15, 7
	s_cbranch_scc1 .LBB9_64
; %bb.61:                               ;   in Loop: Header=BB9_53 Depth=1
	s_cmp_eq_u32 s15, 0
	s_cbranch_scc1 .LBB9_65
; %bb.62:                               ;   in Loop: Header=BB9_53 Depth=1
	s_mov_b64 s[16:17], 0
	v_mov_b64_e32 v[10:11], 0
	s_mov_b64 s[18:19], 0
.LBB9_63:                               ;   Parent Loop BB9_53 Depth=1
                                        ; =>  This Inner Loop Header: Depth=2
	s_add_u32 s20, s0, s18
	s_addc_u32 s21, s1, s19
	global_load_ubyte v6, v29, s[20:21]
	s_add_u32 s18, s18, 1
	s_addc_u32 s19, s19, 0
	s_waitcnt vmcnt(0)
	v_and_b32_e32 v28, 0xffff, v6
	v_lshlrev_b64 v[6:7], s16, v[28:29]
	s_add_u32 s16, s16, 8
	s_addc_u32 s17, s17, 0
	v_or_b32_e32 v10, v6, v10
	s_cmp_lg_u32 s15, s18
	v_or_b32_e32 v11, v7, v11
	s_cbranch_scc1 .LBB9_63
	s_branch .LBB9_66
.LBB9_64:                               ;   in Loop: Header=BB9_53 Depth=1
                                        ; implicit-def: $vgpr10_vgpr11
                                        ; implicit-def: $sgpr20
	s_branch .LBB9_67
.LBB9_65:                               ;   in Loop: Header=BB9_53 Depth=1
	v_mov_b64_e32 v[10:11], 0
.LBB9_66:                               ;   in Loop: Header=BB9_53 Depth=1
	s_mov_b32 s20, 0
	s_cbranch_execnz .LBB9_68
.LBB9_67:                               ;   in Loop: Header=BB9_53 Depth=1
	global_load_dwordx2 v[10:11], v29, s[0:1]
	s_add_i32 s20, s15, -8
	s_add_u32 s0, s0, 8
	s_addc_u32 s1, s1, 0
.LBB9_68:                               ;   in Loop: Header=BB9_53 Depth=1
	s_cmp_gt_u32 s20, 7
	s_cbranch_scc1 .LBB9_72
; %bb.69:                               ;   in Loop: Header=BB9_53 Depth=1
	s_cmp_eq_u32 s20, 0
	s_cbranch_scc1 .LBB9_73
; %bb.70:                               ;   in Loop: Header=BB9_53 Depth=1
	s_mov_b64 s[16:17], 0
	v_mov_b64_e32 v[12:13], 0
	s_mov_b64 s[18:19], 0
.LBB9_71:                               ;   Parent Loop BB9_53 Depth=1
                                        ; =>  This Inner Loop Header: Depth=2
	s_add_u32 s22, s0, s18
	s_addc_u32 s23, s1, s19
	global_load_ubyte v6, v29, s[22:23]
	s_add_u32 s18, s18, 1
	s_addc_u32 s19, s19, 0
	s_waitcnt vmcnt(0)
	v_and_b32_e32 v28, 0xffff, v6
	v_lshlrev_b64 v[6:7], s16, v[28:29]
	s_add_u32 s16, s16, 8
	s_addc_u32 s17, s17, 0
	v_or_b32_e32 v12, v6, v12
	s_cmp_lg_u32 s20, s18
	v_or_b32_e32 v13, v7, v13
	s_cbranch_scc1 .LBB9_71
	s_branch .LBB9_74
.LBB9_72:                               ;   in Loop: Header=BB9_53 Depth=1
                                        ; implicit-def: $sgpr15
	s_branch .LBB9_75
.LBB9_73:                               ;   in Loop: Header=BB9_53 Depth=1
	v_mov_b64_e32 v[12:13], 0
.LBB9_74:                               ;   in Loop: Header=BB9_53 Depth=1
	s_mov_b32 s15, 0
	s_cbranch_execnz .LBB9_76
.LBB9_75:                               ;   in Loop: Header=BB9_53 Depth=1
	global_load_dwordx2 v[12:13], v29, s[0:1]
	s_add_i32 s15, s20, -8
	s_add_u32 s0, s0, 8
	s_addc_u32 s1, s1, 0
.LBB9_76:                               ;   in Loop: Header=BB9_53 Depth=1
	s_cmp_gt_u32 s15, 7
	s_cbranch_scc1 .LBB9_80
; %bb.77:                               ;   in Loop: Header=BB9_53 Depth=1
	s_cmp_eq_u32 s15, 0
	s_cbranch_scc1 .LBB9_81
; %bb.78:                               ;   in Loop: Header=BB9_53 Depth=1
	s_mov_b64 s[16:17], 0
	v_mov_b64_e32 v[14:15], 0
	s_mov_b64 s[18:19], 0
.LBB9_79:                               ;   Parent Loop BB9_53 Depth=1
                                        ; =>  This Inner Loop Header: Depth=2
	s_add_u32 s20, s0, s18
	s_addc_u32 s21, s1, s19
	global_load_ubyte v6, v29, s[20:21]
	s_add_u32 s18, s18, 1
	s_addc_u32 s19, s19, 0
	s_waitcnt vmcnt(0)
	v_and_b32_e32 v28, 0xffff, v6
	v_lshlrev_b64 v[6:7], s16, v[28:29]
	s_add_u32 s16, s16, 8
	s_addc_u32 s17, s17, 0
	v_or_b32_e32 v14, v6, v14
	s_cmp_lg_u32 s15, s18
	v_or_b32_e32 v15, v7, v15
	s_cbranch_scc1 .LBB9_79
	s_branch .LBB9_82
.LBB9_80:                               ;   in Loop: Header=BB9_53 Depth=1
                                        ; implicit-def: $vgpr14_vgpr15
                                        ; implicit-def: $sgpr20
	s_branch .LBB9_83
.LBB9_81:                               ;   in Loop: Header=BB9_53 Depth=1
	v_mov_b64_e32 v[14:15], 0
.LBB9_82:                               ;   in Loop: Header=BB9_53 Depth=1
	s_mov_b32 s20, 0
	s_cbranch_execnz .LBB9_84
.LBB9_83:                               ;   in Loop: Header=BB9_53 Depth=1
	global_load_dwordx2 v[14:15], v29, s[0:1]
	s_add_i32 s20, s15, -8
	s_add_u32 s0, s0, 8
	s_addc_u32 s1, s1, 0
.LBB9_84:                               ;   in Loop: Header=BB9_53 Depth=1
	s_cmp_gt_u32 s20, 7
	s_cbranch_scc1 .LBB9_88
; %bb.85:                               ;   in Loop: Header=BB9_53 Depth=1
	s_cmp_eq_u32 s20, 0
	s_cbranch_scc1 .LBB9_89
; %bb.86:                               ;   in Loop: Header=BB9_53 Depth=1
	s_mov_b64 s[16:17], 0
	v_mov_b64_e32 v[16:17], 0
	s_mov_b64 s[18:19], 0
.LBB9_87:                               ;   Parent Loop BB9_53 Depth=1
                                        ; =>  This Inner Loop Header: Depth=2
	s_add_u32 s22, s0, s18
	s_addc_u32 s23, s1, s19
	global_load_ubyte v6, v29, s[22:23]
	s_add_u32 s18, s18, 1
	s_addc_u32 s19, s19, 0
	s_waitcnt vmcnt(0)
	v_and_b32_e32 v28, 0xffff, v6
	v_lshlrev_b64 v[6:7], s16, v[28:29]
	s_add_u32 s16, s16, 8
	s_addc_u32 s17, s17, 0
	v_or_b32_e32 v16, v6, v16
	s_cmp_lg_u32 s20, s18
	v_or_b32_e32 v17, v7, v17
	s_cbranch_scc1 .LBB9_87
	s_branch .LBB9_90
.LBB9_88:                               ;   in Loop: Header=BB9_53 Depth=1
                                        ; implicit-def: $sgpr15
	s_branch .LBB9_91
.LBB9_89:                               ;   in Loop: Header=BB9_53 Depth=1
	v_mov_b64_e32 v[16:17], 0
.LBB9_90:                               ;   in Loop: Header=BB9_53 Depth=1
	s_mov_b32 s15, 0
	s_cbranch_execnz .LBB9_92
.LBB9_91:                               ;   in Loop: Header=BB9_53 Depth=1
	global_load_dwordx2 v[16:17], v29, s[0:1]
	s_add_i32 s15, s20, -8
	s_add_u32 s0, s0, 8
	s_addc_u32 s1, s1, 0
.LBB9_92:                               ;   in Loop: Header=BB9_53 Depth=1
	s_cmp_gt_u32 s15, 7
	s_cbranch_scc1 .LBB9_96
; %bb.93:                               ;   in Loop: Header=BB9_53 Depth=1
	s_cmp_eq_u32 s15, 0
	s_cbranch_scc1 .LBB9_97
; %bb.94:                               ;   in Loop: Header=BB9_53 Depth=1
	s_mov_b64 s[16:17], 0
	v_mov_b64_e32 v[18:19], 0
	s_mov_b64 s[18:19], 0
.LBB9_95:                               ;   Parent Loop BB9_53 Depth=1
                                        ; =>  This Inner Loop Header: Depth=2
	s_add_u32 s20, s0, s18
	s_addc_u32 s21, s1, s19
	global_load_ubyte v6, v29, s[20:21]
	s_add_u32 s18, s18, 1
	s_addc_u32 s19, s19, 0
	s_waitcnt vmcnt(0)
	v_and_b32_e32 v28, 0xffff, v6
	v_lshlrev_b64 v[6:7], s16, v[28:29]
	s_add_u32 s16, s16, 8
	s_addc_u32 s17, s17, 0
	v_or_b32_e32 v18, v6, v18
	s_cmp_lg_u32 s15, s18
	v_or_b32_e32 v19, v7, v19
	s_cbranch_scc1 .LBB9_95
	s_branch .LBB9_98
.LBB9_96:                               ;   in Loop: Header=BB9_53 Depth=1
                                        ; implicit-def: $vgpr18_vgpr19
                                        ; implicit-def: $sgpr20
	s_branch .LBB9_99
.LBB9_97:                               ;   in Loop: Header=BB9_53 Depth=1
	v_mov_b64_e32 v[18:19], 0
.LBB9_98:                               ;   in Loop: Header=BB9_53 Depth=1
	s_mov_b32 s20, 0
	s_cbranch_execnz .LBB9_100
.LBB9_99:                               ;   in Loop: Header=BB9_53 Depth=1
	global_load_dwordx2 v[18:19], v29, s[0:1]
	s_add_i32 s20, s15, -8
	s_add_u32 s0, s0, 8
	s_addc_u32 s1, s1, 0
.LBB9_100:                              ;   in Loop: Header=BB9_53 Depth=1
	s_cmp_gt_u32 s20, 7
	s_cbranch_scc1 .LBB9_104
; %bb.101:                              ;   in Loop: Header=BB9_53 Depth=1
	s_cmp_eq_u32 s20, 0
	s_cbranch_scc1 .LBB9_105
; %bb.102:                              ;   in Loop: Header=BB9_53 Depth=1
	s_mov_b64 s[16:17], 0
	v_mov_b64_e32 v[20:21], 0
	s_mov_b64 s[18:19], s[0:1]
.LBB9_103:                              ;   Parent Loop BB9_53 Depth=1
                                        ; =>  This Inner Loop Header: Depth=2
	global_load_ubyte v6, v29, s[18:19]
	s_add_i32 s20, s20, -1
	s_waitcnt vmcnt(0)
	v_and_b32_e32 v28, 0xffff, v6
	v_lshlrev_b64 v[6:7], s16, v[28:29]
	s_add_u32 s16, s16, 8
	s_addc_u32 s17, s17, 0
	s_add_u32 s18, s18, 1
	s_addc_u32 s19, s19, 0
	v_or_b32_e32 v20, v6, v20
	s_cmp_lg_u32 s20, 0
	v_or_b32_e32 v21, v7, v21
	s_cbranch_scc1 .LBB9_103
	s_branch .LBB9_106
.LBB9_104:                              ;   in Loop: Header=BB9_53 Depth=1
	s_branch .LBB9_107
.LBB9_105:                              ;   in Loop: Header=BB9_53 Depth=1
	v_mov_b64_e32 v[20:21], 0
.LBB9_106:                              ;   in Loop: Header=BB9_53 Depth=1
	s_cbranch_execnz .LBB9_108
.LBB9_107:                              ;   in Loop: Header=BB9_53 Depth=1
	global_load_dwordx2 v[20:21], v29, s[0:1]
.LBB9_108:                              ;   in Loop: Header=BB9_53 Depth=1
	v_readfirstlane_b32 s0, v47
	v_mov_b64_e32 v[6:7], 0
	s_nop 0
	v_cmp_eq_u32_e64 s[0:1], s0, v47
	s_and_saveexec_b64 s[16:17], s[0:1]
	s_cbranch_execz .LBB9_114
; %bb.109:                              ;   in Loop: Header=BB9_53 Depth=1
	global_load_dwordx2 v[24:25], v29, s[42:43] offset:24 sc0 sc1
	s_waitcnt vmcnt(0)
	buffer_inv sc0 sc1
	global_load_dwordx2 v[6:7], v29, s[42:43] offset:40
	global_load_dwordx2 v[22:23], v29, s[42:43]
	s_waitcnt vmcnt(1)
	v_and_b32_e32 v6, v6, v24
	v_and_b32_e32 v7, v7, v25
	v_mul_lo_u32 v7, v7, 24
	v_mul_hi_u32 v27, v6, 24
	v_add_u32_e32 v7, v27, v7
	v_mul_lo_u32 v6, v6, 24
	s_waitcnt vmcnt(0)
	v_lshl_add_u64 v[6:7], v[22:23], 0, v[6:7]
	global_load_dwordx2 v[22:23], v[6:7], off sc0 sc1
	s_waitcnt vmcnt(0)
	global_atomic_cmpswap_x2 v[6:7], v29, v[22:25], s[42:43] offset:24 sc0 sc1
	s_waitcnt vmcnt(0)
	buffer_inv sc0 sc1
	v_cmp_ne_u64_e32 vcc, v[6:7], v[24:25]
	s_and_saveexec_b64 s[18:19], vcc
	s_cbranch_execz .LBB9_113
; %bb.110:                              ;   in Loop: Header=BB9_53 Depth=1
	s_mov_b64 s[20:21], 0
.LBB9_111:                              ;   Parent Loop BB9_53 Depth=1
                                        ; =>  This Inner Loop Header: Depth=2
	s_sleep 1
	global_load_dwordx2 v[22:23], v29, s[42:43] offset:40
	global_load_dwordx2 v[30:31], v29, s[42:43]
	v_mov_b64_e32 v[24:25], v[6:7]
	s_waitcnt vmcnt(1)
	v_and_b32_e32 v6, v22, v24
	s_waitcnt vmcnt(0)
	v_mad_u64_u32 v[6:7], s[22:23], v6, 24, v[30:31]
	v_and_b32_e32 v23, v23, v25
	v_mov_b32_e32 v22, v7
	v_mad_u64_u32 v[22:23], s[22:23], v23, 24, v[22:23]
	v_mov_b32_e32 v7, v22
	global_load_dwordx2 v[22:23], v[6:7], off sc0 sc1
	s_waitcnt vmcnt(0)
	global_atomic_cmpswap_x2 v[6:7], v29, v[22:25], s[42:43] offset:24 sc0 sc1
	s_waitcnt vmcnt(0)
	buffer_inv sc0 sc1
	v_cmp_eq_u64_e32 vcc, v[6:7], v[24:25]
	s_or_b64 s[20:21], vcc, s[20:21]
	s_andn2_b64 exec, exec, s[20:21]
	s_cbranch_execnz .LBB9_111
; %bb.112:                              ;   in Loop: Header=BB9_53 Depth=1
	s_or_b64 exec, exec, s[20:21]
.LBB9_113:                              ;   in Loop: Header=BB9_53 Depth=1
	s_or_b64 exec, exec, s[18:19]
.LBB9_114:                              ;   in Loop: Header=BB9_53 Depth=1
	s_or_b64 exec, exec, s[16:17]
	global_load_dwordx2 v[30:31], v29, s[42:43] offset:40
	global_load_dwordx4 v[22:25], v29, s[42:43]
	v_readfirstlane_b32 s16, v6
	v_readfirstlane_b32 s17, v7
	s_mov_b64 s[18:19], exec
	s_waitcnt vmcnt(1)
	v_readfirstlane_b32 s20, v30
	v_readfirstlane_b32 s21, v31
	s_and_b64 s[20:21], s[16:17], s[20:21]
	s_mul_i32 s15, s21, 24
	s_mul_hi_u32 s22, s20, 24
	s_add_i32 s23, s22, s15
	s_mul_i32 s22, s20, 24
	s_waitcnt vmcnt(0)
	v_lshl_add_u64 v[30:31], v[22:23], 0, s[22:23]
	s_and_saveexec_b64 s[22:23], s[0:1]
	s_cbranch_execz .LBB9_116
; %bb.115:                              ;   in Loop: Header=BB9_53 Depth=1
	v_mov_b64_e32 v[6:7], s[18:19]
	global_store_dwordx4 v[30:31], v[6:9], off offset:8
.LBB9_116:                              ;   in Loop: Header=BB9_53 Depth=1
	s_or_b64 exec, exec, s[22:23]
	s_lshl_b64 s[18:19], s[20:21], 12
	v_lshl_add_u64 v[6:7], v[24:25], 0, s[18:19]
	v_or_b32_e32 v25, v0, v26
	v_cmp_gt_u64_e64 vcc, s[6:7], 56
	s_lshl_b32 s15, s10, 2
	s_add_i32 s15, s15, 28
	v_cndmask_b32_e32 v0, v25, v0, vcc
	v_or_b32_e32 v24, 0, v1
	s_and_b32 s15, s15, 0x1e0
	v_and_b32_e32 v0, 0xffffff1f, v0
	v_cndmask_b32_e32 v1, v24, v1, vcc
	v_or_b32_e32 v0, s15, v0
	v_readfirstlane_b32 s18, v6
	v_readfirstlane_b32 s19, v7
	s_nop 4
	global_store_dwordx4 v36, v[0:3], s[18:19]
	global_store_dwordx4 v36, v[10:13], s[18:19] offset:16
	global_store_dwordx4 v36, v[14:17], s[18:19] offset:32
	;; [unrolled: 1-line block ×3, first 2 shown]
	s_and_saveexec_b64 s[18:19], s[0:1]
	s_cbranch_execz .LBB9_124
; %bb.117:                              ;   in Loop: Header=BB9_53 Depth=1
	global_load_dwordx2 v[14:15], v29, s[42:43] offset:32 sc0 sc1
	global_load_dwordx2 v[0:1], v29, s[42:43] offset:40
	v_mov_b32_e32 v12, s16
	v_mov_b32_e32 v13, s17
	s_waitcnt vmcnt(0)
	v_readfirstlane_b32 s20, v0
	v_readfirstlane_b32 s21, v1
	s_and_b64 s[20:21], s[20:21], s[16:17]
	s_mul_i32 s15, s21, 24
	s_mul_hi_u32 s21, s20, 24
	s_mul_i32 s20, s20, 24
	s_add_i32 s21, s21, s15
	v_lshl_add_u64 v[10:11], v[22:23], 0, s[20:21]
	global_store_dwordx2 v[10:11], v[14:15], off
	buffer_wbl2 sc0 sc1
	s_waitcnt vmcnt(0)
	global_atomic_cmpswap_x2 v[2:3], v29, v[12:15], s[42:43] offset:32 sc0 sc1
	s_waitcnt vmcnt(0)
	v_cmp_ne_u64_e32 vcc, v[2:3], v[14:15]
	s_and_saveexec_b64 s[20:21], vcc
	s_cbranch_execz .LBB9_120
; %bb.118:                              ;   in Loop: Header=BB9_53 Depth=1
	s_mov_b64 s[22:23], 0
.LBB9_119:                              ;   Parent Loop BB9_53 Depth=1
                                        ; =>  This Inner Loop Header: Depth=2
	s_sleep 1
	global_store_dwordx2 v[10:11], v[2:3], off
	v_mov_b32_e32 v0, s16
	v_mov_b32_e32 v1, s17
	buffer_wbl2 sc0 sc1
	s_waitcnt vmcnt(0)
	global_atomic_cmpswap_x2 v[0:1], v29, v[0:3], s[42:43] offset:32 sc0 sc1
	s_waitcnt vmcnt(0)
	v_cmp_eq_u64_e32 vcc, v[0:1], v[2:3]
	s_or_b64 s[22:23], vcc, s[22:23]
	v_mov_b64_e32 v[2:3], v[0:1]
	s_andn2_b64 exec, exec, s[22:23]
	s_cbranch_execnz .LBB9_119
.LBB9_120:                              ;   in Loop: Header=BB9_53 Depth=1
	s_or_b64 exec, exec, s[20:21]
	global_load_dwordx2 v[0:1], v29, s[42:43] offset:16
	s_mov_b64 s[22:23], exec
	v_mbcnt_lo_u32_b32 v2, s22, 0
	v_mbcnt_hi_u32_b32 v2, s23, v2
	v_cmp_eq_u32_e32 vcc, 0, v2
	s_and_saveexec_b64 s[20:21], vcc
	s_cbranch_execz .LBB9_122
; %bb.121:                              ;   in Loop: Header=BB9_53 Depth=1
	s_bcnt1_i32_b64 s15, s[22:23]
	v_mov_b32_e32 v28, s15
	buffer_wbl2 sc0 sc1
	s_waitcnt vmcnt(0)
	global_atomic_add_x2 v[0:1], v[28:29], off offset:8 sc1
.LBB9_122:                              ;   in Loop: Header=BB9_53 Depth=1
	s_or_b64 exec, exec, s[20:21]
	s_waitcnt vmcnt(0)
	global_load_dwordx2 v[2:3], v[0:1], off offset:16
	s_waitcnt vmcnt(0)
	v_cmp_eq_u64_e32 vcc, 0, v[2:3]
	s_cbranch_vccnz .LBB9_124
; %bb.123:                              ;   in Loop: Header=BB9_53 Depth=1
	global_load_dword v28, v[0:1], off offset:24
	s_waitcnt vmcnt(0)
	v_and_b32_e32 v0, 0xffffff, v28
	s_nop 0
	v_readfirstlane_b32 m0, v0
	buffer_wbl2 sc0 sc1
	global_store_dwordx2 v[2:3], v[28:29], off sc0 sc1
	s_sendmsg sendmsg(MSG_INTERRUPT)
.LBB9_124:                              ;   in Loop: Header=BB9_53 Depth=1
	s_or_b64 exec, exec, s[18:19]
	v_mov_b32_e32 v37, v29
	v_lshl_add_u64 v[0:1], v[6:7], 0, v[36:37]
	s_branch .LBB9_128
.LBB9_125:                              ;   in Loop: Header=BB9_128 Depth=2
	s_or_b64 exec, exec, s[18:19]
	v_readfirstlane_b32 s15, v2
	s_cmp_eq_u32 s15, 0
	s_cbranch_scc1 .LBB9_127
; %bb.126:                              ;   in Loop: Header=BB9_128 Depth=2
	s_sleep 1
	s_cbranch_execnz .LBB9_128
	s_branch .LBB9_130
.LBB9_127:                              ;   in Loop: Header=BB9_53 Depth=1
	s_branch .LBB9_130
.LBB9_128:                              ;   Parent Loop BB9_53 Depth=1
                                        ; =>  This Inner Loop Header: Depth=2
	v_mov_b32_e32 v2, 1
	s_and_saveexec_b64 s[18:19], s[0:1]
	s_cbranch_execz .LBB9_125
; %bb.129:                              ;   in Loop: Header=BB9_128 Depth=2
	global_load_dword v2, v[30:31], off offset:20 sc0 sc1
	s_waitcnt vmcnt(0)
	buffer_inv sc0 sc1
	v_and_b32_e32 v2, 1, v2
	s_branch .LBB9_125
.LBB9_130:                              ;   in Loop: Header=BB9_53 Depth=1
	global_load_dwordx4 v[0:3], v[0:1], off
	s_and_saveexec_b64 s[18:19], s[0:1]
	s_cbranch_execz .LBB9_52
; %bb.131:                              ;   in Loop: Header=BB9_53 Depth=1
	global_load_dwordx2 v[2:3], v29, s[42:43] offset:40
	global_load_dwordx2 v[6:7], v29, s[42:43] offset:24 sc0 sc1
	global_load_dwordx2 v[14:15], v29, s[42:43]
	s_waitcnt vmcnt(2)
	v_lshl_add_u64 v[10:11], v[2:3], 0, 1
	v_lshl_add_u64 v[16:17], v[10:11], 0, s[16:17]
	v_cmp_eq_u64_e32 vcc, 0, v[16:17]
	s_waitcnt vmcnt(1)
	v_mov_b32_e32 v12, v6
	v_cndmask_b32_e32 v11, v17, v11, vcc
	v_cndmask_b32_e32 v10, v16, v10, vcc
	v_and_b32_e32 v3, v11, v3
	v_and_b32_e32 v2, v10, v2
	v_mul_lo_u32 v3, v3, 24
	v_mul_hi_u32 v13, v2, 24
	v_mul_lo_u32 v2, v2, 24
	v_add_u32_e32 v3, v13, v3
	s_waitcnt vmcnt(0)
	v_lshl_add_u64 v[2:3], v[14:15], 0, v[2:3]
	global_store_dwordx2 v[2:3], v[6:7], off
	v_mov_b32_e32 v13, v7
	buffer_wbl2 sc0 sc1
	s_waitcnt vmcnt(0)
	global_atomic_cmpswap_x2 v[12:13], v29, v[10:13], s[42:43] offset:24 sc0 sc1
	s_waitcnt vmcnt(0)
	v_cmp_ne_u64_e32 vcc, v[12:13], v[6:7]
	s_and_b64 exec, exec, vcc
	s_cbranch_execz .LBB9_52
; %bb.132:                              ;   in Loop: Header=BB9_53 Depth=1
	s_mov_b64 s[0:1], 0
.LBB9_133:                              ;   Parent Loop BB9_53 Depth=1
                                        ; =>  This Inner Loop Header: Depth=2
	s_sleep 1
	global_store_dwordx2 v[2:3], v[12:13], off
	buffer_wbl2 sc0 sc1
	s_waitcnt vmcnt(0)
	global_atomic_cmpswap_x2 v[6:7], v29, v[10:13], s[42:43] offset:24 sc0 sc1
	s_waitcnt vmcnt(0)
	v_cmp_eq_u64_e32 vcc, v[6:7], v[12:13]
	s_or_b64 s[0:1], vcc, s[0:1]
	v_mov_b64_e32 v[12:13], v[6:7]
	s_andn2_b64 exec, exec, s[0:1]
	s_cbranch_execnz .LBB9_133
	s_branch .LBB9_52
.LBB9_134:
	s_branch .LBB9_162
.LBB9_135:
                                        ; implicit-def: $vgpr0_vgpr1
	s_cbranch_execz .LBB9_162
; %bb.136:
	v_readfirstlane_b32 s0, v47
	v_mov_b64_e32 v[6:7], 0
	s_nop 0
	v_cmp_eq_u32_e64 s[0:1], s0, v47
	s_and_saveexec_b64 s[4:5], s[0:1]
	s_cbranch_execz .LBB9_142
; %bb.137:
	s_waitcnt vmcnt(0)
	v_mov_b32_e32 v0, 0
	global_load_dwordx2 v[8:9], v0, s[42:43] offset:24 sc0 sc1
	s_waitcnt vmcnt(0)
	buffer_inv sc0 sc1
	global_load_dwordx2 v[2:3], v0, s[42:43] offset:40
	global_load_dwordx2 v[6:7], v0, s[42:43]
	s_waitcnt vmcnt(1)
	v_and_b32_e32 v1, v2, v8
	v_and_b32_e32 v2, v3, v9
	v_mul_lo_u32 v2, v2, 24
	v_mul_hi_u32 v3, v1, 24
	v_add_u32_e32 v3, v3, v2
	v_mul_lo_u32 v2, v1, 24
	s_waitcnt vmcnt(0)
	v_lshl_add_u64 v[2:3], v[6:7], 0, v[2:3]
	global_load_dwordx2 v[6:7], v[2:3], off sc0 sc1
	s_waitcnt vmcnt(0)
	global_atomic_cmpswap_x2 v[6:7], v0, v[6:9], s[42:43] offset:24 sc0 sc1
	s_waitcnt vmcnt(0)
	buffer_inv sc0 sc1
	v_cmp_ne_u64_e32 vcc, v[6:7], v[8:9]
	s_and_saveexec_b64 s[6:7], vcc
	s_cbranch_execz .LBB9_141
; %bb.138:
	s_mov_b64 s[10:11], 0
.LBB9_139:                              ; =>This Inner Loop Header: Depth=1
	s_sleep 1
	global_load_dwordx2 v[2:3], v0, s[42:43] offset:40
	global_load_dwordx2 v[10:11], v0, s[42:43]
	v_mov_b64_e32 v[8:9], v[6:7]
	s_waitcnt vmcnt(1)
	v_and_b32_e32 v2, v2, v8
	v_and_b32_e32 v1, v3, v9
	s_waitcnt vmcnt(0)
	v_mad_u64_u32 v[2:3], s[16:17], v2, 24, v[10:11]
	v_mov_b32_e32 v6, v3
	v_mad_u64_u32 v[6:7], s[16:17], v1, 24, v[6:7]
	v_mov_b32_e32 v3, v6
	global_load_dwordx2 v[6:7], v[2:3], off sc0 sc1
	s_waitcnt vmcnt(0)
	global_atomic_cmpswap_x2 v[6:7], v0, v[6:9], s[42:43] offset:24 sc0 sc1
	s_waitcnt vmcnt(0)
	buffer_inv sc0 sc1
	v_cmp_eq_u64_e32 vcc, v[6:7], v[8:9]
	s_or_b64 s[10:11], vcc, s[10:11]
	s_andn2_b64 exec, exec, s[10:11]
	s_cbranch_execnz .LBB9_139
; %bb.140:
	s_or_b64 exec, exec, s[10:11]
.LBB9_141:
	s_or_b64 exec, exec, s[6:7]
.LBB9_142:
	s_or_b64 exec, exec, s[4:5]
	v_mov_b32_e32 v37, 0
	global_load_dwordx2 v[8:9], v37, s[42:43] offset:40
	global_load_dwordx4 v[0:3], v37, s[42:43]
	v_readfirstlane_b32 s4, v6
	v_readfirstlane_b32 s5, v7
	s_mov_b64 s[6:7], exec
	s_waitcnt vmcnt(1)
	v_readfirstlane_b32 s10, v8
	v_readfirstlane_b32 s11, v9
	s_and_b64 s[10:11], s[4:5], s[10:11]
	s_mul_i32 s15, s11, 24
	s_mul_hi_u32 s16, s10, 24
	s_add_i32 s17, s16, s15
	s_mul_i32 s16, s10, 24
	s_waitcnt vmcnt(0)
	v_lshl_add_u64 v[8:9], v[0:1], 0, s[16:17]
	s_and_saveexec_b64 s[16:17], s[0:1]
	s_cbranch_execz .LBB9_144
; %bb.143:
	v_mov_b64_e32 v[10:11], s[6:7]
	v_mov_b32_e32 v12, 2
	v_mov_b32_e32 v13, 1
	global_store_dwordx4 v[8:9], v[10:13], off offset:8
.LBB9_144:
	s_or_b64 exec, exec, s[16:17]
	s_lshl_b64 s[6:7], s[10:11], 12
	v_lshl_add_u64 v[10:11], v[2:3], 0, s[6:7]
	s_movk_i32 s6, 0xff1f
	s_mov_b32 s16, 0
	v_and_or_b32 v4, v4, s6, 32
	v_mov_b32_e32 v6, v37
	v_mov_b32_e32 v7, v37
	v_readfirstlane_b32 s6, v10
	v_readfirstlane_b32 s7, v11
	s_mov_b32 s17, s16
	s_mov_b32 s18, s16
	;; [unrolled: 1-line block ×3, first 2 shown]
	s_nop 1
	global_store_dwordx4 v36, v[4:7], s[6:7]
	v_mov_b64_e32 v[2:3], s[16:17]
	s_nop 0
	v_mov_b64_e32 v[4:5], s[18:19]
	global_store_dwordx4 v36, v[2:5], s[6:7] offset:16
	global_store_dwordx4 v36, v[2:5], s[6:7] offset:32
	;; [unrolled: 1-line block ×3, first 2 shown]
	s_and_saveexec_b64 s[6:7], s[0:1]
	s_cbranch_execz .LBB9_152
; %bb.145:
	v_mov_b32_e32 v6, 0
	global_load_dwordx2 v[14:15], v6, s[42:43] offset:32 sc0 sc1
	global_load_dwordx2 v[2:3], v6, s[42:43] offset:40
	v_mov_b32_e32 v12, s4
	v_mov_b32_e32 v13, s5
	s_waitcnt vmcnt(0)
	v_readfirstlane_b32 s10, v2
	v_readfirstlane_b32 s11, v3
	s_and_b64 s[10:11], s[10:11], s[4:5]
	s_mul_i32 s11, s11, 24
	s_mul_hi_u32 s15, s10, 24
	s_mul_i32 s10, s10, 24
	s_add_i32 s11, s15, s11
	v_lshl_add_u64 v[4:5], v[0:1], 0, s[10:11]
	global_store_dwordx2 v[4:5], v[14:15], off
	buffer_wbl2 sc0 sc1
	s_waitcnt vmcnt(0)
	global_atomic_cmpswap_x2 v[2:3], v6, v[12:15], s[42:43] offset:32 sc0 sc1
	s_waitcnt vmcnt(0)
	v_cmp_ne_u64_e32 vcc, v[2:3], v[14:15]
	s_and_saveexec_b64 s[10:11], vcc
	s_cbranch_execz .LBB9_148
; %bb.146:
	s_mov_b64 s[16:17], 0
.LBB9_147:                              ; =>This Inner Loop Header: Depth=1
	s_sleep 1
	global_store_dwordx2 v[4:5], v[2:3], off
	v_mov_b32_e32 v0, s4
	v_mov_b32_e32 v1, s5
	buffer_wbl2 sc0 sc1
	s_waitcnt vmcnt(0)
	global_atomic_cmpswap_x2 v[0:1], v6, v[0:3], s[42:43] offset:32 sc0 sc1
	s_waitcnt vmcnt(0)
	v_cmp_eq_u64_e32 vcc, v[0:1], v[2:3]
	s_or_b64 s[16:17], vcc, s[16:17]
	v_mov_b64_e32 v[2:3], v[0:1]
	s_andn2_b64 exec, exec, s[16:17]
	s_cbranch_execnz .LBB9_147
.LBB9_148:
	s_or_b64 exec, exec, s[10:11]
	v_mov_b32_e32 v3, 0
	global_load_dwordx2 v[0:1], v3, s[42:43] offset:16
	s_mov_b64 s[10:11], exec
	v_mbcnt_lo_u32_b32 v2, s10, 0
	v_mbcnt_hi_u32_b32 v2, s11, v2
	v_cmp_eq_u32_e32 vcc, 0, v2
	s_and_saveexec_b64 s[16:17], vcc
	s_cbranch_execz .LBB9_150
; %bb.149:
	s_bcnt1_i32_b64 s10, s[10:11]
	v_mov_b32_e32 v2, s10
	buffer_wbl2 sc0 sc1
	s_waitcnt vmcnt(0)
	global_atomic_add_x2 v[0:1], v[2:3], off offset:8 sc1
.LBB9_150:
	s_or_b64 exec, exec, s[16:17]
	s_waitcnt vmcnt(0)
	global_load_dwordx2 v[2:3], v[0:1], off offset:16
	s_waitcnt vmcnt(0)
	v_cmp_eq_u64_e32 vcc, 0, v[2:3]
	s_cbranch_vccnz .LBB9_152
; %bb.151:
	global_load_dword v0, v[0:1], off offset:24
	v_mov_b32_e32 v1, 0
	buffer_wbl2 sc0 sc1
	s_waitcnt vmcnt(0)
	global_store_dwordx2 v[2:3], v[0:1], off sc0 sc1
	v_and_b32_e32 v0, 0xffffff, v0
	s_nop 0
	v_readfirstlane_b32 m0, v0
	s_sendmsg sendmsg(MSG_INTERRUPT)
.LBB9_152:
	s_or_b64 exec, exec, s[6:7]
	v_lshl_add_u64 v[0:1], v[10:11], 0, v[36:37]
	s_branch .LBB9_156
.LBB9_153:                              ;   in Loop: Header=BB9_156 Depth=1
	s_or_b64 exec, exec, s[6:7]
	v_readfirstlane_b32 s6, v2
	s_cmp_eq_u32 s6, 0
	s_cbranch_scc1 .LBB9_155
; %bb.154:                              ;   in Loop: Header=BB9_156 Depth=1
	s_sleep 1
	s_cbranch_execnz .LBB9_156
	s_branch .LBB9_158
.LBB9_155:
	s_branch .LBB9_158
.LBB9_156:                              ; =>This Inner Loop Header: Depth=1
	v_mov_b32_e32 v2, 1
	s_and_saveexec_b64 s[6:7], s[0:1]
	s_cbranch_execz .LBB9_153
; %bb.157:                              ;   in Loop: Header=BB9_156 Depth=1
	global_load_dword v2, v[8:9], off offset:20 sc0 sc1
	s_waitcnt vmcnt(0)
	buffer_inv sc0 sc1
	v_and_b32_e32 v2, 1, v2
	s_branch .LBB9_153
.LBB9_158:
	global_load_dwordx2 v[0:1], v[0:1], off
	s_and_saveexec_b64 s[6:7], s[0:1]
	s_cbranch_execz .LBB9_161
; %bb.159:
	v_mov_b32_e32 v8, 0
	global_load_dwordx2 v[6:7], v8, s[42:43] offset:40
	global_load_dwordx2 v[10:11], v8, s[42:43] offset:24 sc0 sc1
	global_load_dwordx2 v[12:13], v8, s[42:43]
	s_mov_b64 s[0:1], 0
	s_waitcnt vmcnt(2)
	v_lshl_add_u64 v[2:3], v[6:7], 0, 1
	v_lshl_add_u64 v[14:15], v[2:3], 0, s[4:5]
	v_cmp_eq_u64_e32 vcc, 0, v[14:15]
	s_waitcnt vmcnt(1)
	v_mov_b32_e32 v4, v10
	v_cndmask_b32_e32 v3, v15, v3, vcc
	v_cndmask_b32_e32 v2, v14, v2, vcc
	v_and_b32_e32 v5, v3, v7
	v_and_b32_e32 v6, v2, v6
	v_mul_lo_u32 v5, v5, 24
	v_mul_hi_u32 v7, v6, 24
	v_mul_lo_u32 v6, v6, 24
	v_add_u32_e32 v7, v7, v5
	s_waitcnt vmcnt(0)
	v_lshl_add_u64 v[6:7], v[12:13], 0, v[6:7]
	global_store_dwordx2 v[6:7], v[10:11], off
	v_mov_b32_e32 v5, v11
	buffer_wbl2 sc0 sc1
	s_waitcnt vmcnt(0)
	global_atomic_cmpswap_x2 v[4:5], v8, v[2:5], s[42:43] offset:24 sc0 sc1
	s_waitcnt vmcnt(0)
	v_cmp_ne_u64_e32 vcc, v[4:5], v[10:11]
	s_and_b64 exec, exec, vcc
	s_cbranch_execz .LBB9_161
.LBB9_160:                              ; =>This Inner Loop Header: Depth=1
	s_sleep 1
	global_store_dwordx2 v[6:7], v[4:5], off
	buffer_wbl2 sc0 sc1
	s_waitcnt vmcnt(0)
	global_atomic_cmpswap_x2 v[10:11], v8, v[2:5], s[42:43] offset:24 sc0 sc1
	s_waitcnt vmcnt(0)
	v_cmp_eq_u64_e32 vcc, v[10:11], v[4:5]
	s_or_b64 s[0:1], vcc, s[0:1]
	v_mov_b64_e32 v[4:5], v[10:11]
	s_andn2_b64 exec, exec, s[0:1]
	s_cbranch_execnz .LBB9_160
.LBB9_161:
	s_or_b64 exec, exec, s[6:7]
.LBB9_162:
	s_getpc_b64 s[4:5]
	s_add_u32 s4, s4, __PRETTY_FUNCTION__._ZL24merge_all_equal_elementsRN8migraphx4test12test_managerE@rel32@lo+4
	s_addc_u32 s5, s5, __PRETTY_FUNCTION__._ZL24merge_all_equal_elementsRN8migraphx4test12test_managerE@rel32@hi+12
	s_cmp_lg_u64 s[4:5], 0
	s_cbranch_scc0 .LBB9_247
; %bb.163:
	s_waitcnt vmcnt(0)
	v_and_b32_e32 v6, -3, v0
	v_mov_b32_e32 v7, v1
	s_mov_b64 s[6:7], 62
	v_mov_b32_e32 v27, 0
	v_mov_b32_e32 v4, 2
	;; [unrolled: 1-line block ×3, first 2 shown]
	s_branch .LBB9_165
.LBB9_164:                              ;   in Loop: Header=BB9_165 Depth=1
	s_or_b64 exec, exec, s[18:19]
	s_sub_u32 s6, s6, s10
	s_subb_u32 s7, s7, s11
	s_add_u32 s4, s4, s10
	s_addc_u32 s5, s5, s11
	s_cmp_lg_u64 s[6:7], 0
	s_cbranch_scc0 .LBB9_246
.LBB9_165:                              ; =>This Loop Header: Depth=1
                                        ;     Child Loop BB9_168 Depth 2
                                        ;     Child Loop BB9_175 Depth 2
	;; [unrolled: 1-line block ×11, first 2 shown]
	v_cmp_lt_u64_e64 s[0:1], s[6:7], 56
	s_and_b64 s[0:1], s[0:1], exec
	v_cmp_gt_u64_e64 s[0:1], s[6:7], 7
	s_cselect_b32 s11, s7, 0
	s_cselect_b32 s10, s6, 56
	s_and_b64 vcc, exec, s[0:1]
	s_cbranch_vccnz .LBB9_170
; %bb.166:                              ;   in Loop: Header=BB9_165 Depth=1
	s_mov_b64 s[0:1], 0
	s_cmp_eq_u64 s[6:7], 0
	s_waitcnt vmcnt(0)
	v_mov_b64_e32 v[8:9], 0
	s_cbranch_scc1 .LBB9_169
; %bb.167:                              ;   in Loop: Header=BB9_165 Depth=1
	s_lshl_b64 s[16:17], s[10:11], 3
	s_mov_b64 s[18:19], 0
	v_mov_b64_e32 v[8:9], 0
	s_mov_b64 s[20:21], s[4:5]
.LBB9_168:                              ;   Parent Loop BB9_165 Depth=1
                                        ; =>  This Inner Loop Header: Depth=2
	global_load_ubyte v2, v27, s[20:21]
	s_waitcnt vmcnt(0)
	v_and_b32_e32 v26, 0xffff, v2
	v_lshlrev_b64 v[2:3], s18, v[26:27]
	s_add_u32 s18, s18, 8
	s_addc_u32 s19, s19, 0
	s_add_u32 s20, s20, 1
	s_addc_u32 s21, s21, 0
	v_or_b32_e32 v8, v2, v8
	s_cmp_lg_u32 s16, s18
	v_or_b32_e32 v9, v3, v9
	s_cbranch_scc1 .LBB9_168
.LBB9_169:                              ;   in Loop: Header=BB9_165 Depth=1
	s_mov_b32 s15, 0
	s_andn2_b64 vcc, exec, s[0:1]
	s_mov_b64 s[0:1], s[4:5]
	s_cbranch_vccz .LBB9_171
	s_branch .LBB9_172
.LBB9_170:                              ;   in Loop: Header=BB9_165 Depth=1
                                        ; implicit-def: $sgpr15
	s_mov_b64 s[0:1], s[4:5]
.LBB9_171:                              ;   in Loop: Header=BB9_165 Depth=1
	global_load_dwordx2 v[8:9], v27, s[4:5]
	s_add_i32 s15, s10, -8
	s_add_u32 s0, s4, 8
	s_addc_u32 s1, s5, 0
.LBB9_172:                              ;   in Loop: Header=BB9_165 Depth=1
	s_cmp_gt_u32 s15, 7
	s_cbranch_scc1 .LBB9_176
; %bb.173:                              ;   in Loop: Header=BB9_165 Depth=1
	s_cmp_eq_u32 s15, 0
	s_cbranch_scc1 .LBB9_177
; %bb.174:                              ;   in Loop: Header=BB9_165 Depth=1
	s_mov_b64 s[16:17], 0
	v_mov_b64_e32 v[10:11], 0
	s_mov_b64 s[18:19], 0
.LBB9_175:                              ;   Parent Loop BB9_165 Depth=1
                                        ; =>  This Inner Loop Header: Depth=2
	s_add_u32 s20, s0, s18
	s_addc_u32 s21, s1, s19
	global_load_ubyte v2, v27, s[20:21]
	s_add_u32 s18, s18, 1
	s_addc_u32 s19, s19, 0
	s_waitcnt vmcnt(0)
	v_and_b32_e32 v26, 0xffff, v2
	v_lshlrev_b64 v[2:3], s16, v[26:27]
	s_add_u32 s16, s16, 8
	s_addc_u32 s17, s17, 0
	v_or_b32_e32 v10, v2, v10
	s_cmp_lg_u32 s15, s18
	v_or_b32_e32 v11, v3, v11
	s_cbranch_scc1 .LBB9_175
	s_branch .LBB9_178
.LBB9_176:                              ;   in Loop: Header=BB9_165 Depth=1
                                        ; implicit-def: $vgpr10_vgpr11
                                        ; implicit-def: $sgpr20
	s_branch .LBB9_179
.LBB9_177:                              ;   in Loop: Header=BB9_165 Depth=1
	v_mov_b64_e32 v[10:11], 0
.LBB9_178:                              ;   in Loop: Header=BB9_165 Depth=1
	s_mov_b32 s20, 0
	s_cbranch_execnz .LBB9_180
.LBB9_179:                              ;   in Loop: Header=BB9_165 Depth=1
	global_load_dwordx2 v[10:11], v27, s[0:1]
	s_add_i32 s20, s15, -8
	s_add_u32 s0, s0, 8
	s_addc_u32 s1, s1, 0
.LBB9_180:                              ;   in Loop: Header=BB9_165 Depth=1
	s_cmp_gt_u32 s20, 7
	s_cbranch_scc1 .LBB9_184
; %bb.181:                              ;   in Loop: Header=BB9_165 Depth=1
	s_cmp_eq_u32 s20, 0
	s_cbranch_scc1 .LBB9_185
; %bb.182:                              ;   in Loop: Header=BB9_165 Depth=1
	s_mov_b64 s[16:17], 0
	v_mov_b64_e32 v[12:13], 0
	s_mov_b64 s[18:19], 0
.LBB9_183:                              ;   Parent Loop BB9_165 Depth=1
                                        ; =>  This Inner Loop Header: Depth=2
	s_add_u32 s22, s0, s18
	s_addc_u32 s23, s1, s19
	global_load_ubyte v2, v27, s[22:23]
	s_add_u32 s18, s18, 1
	s_addc_u32 s19, s19, 0
	s_waitcnt vmcnt(0)
	v_and_b32_e32 v26, 0xffff, v2
	v_lshlrev_b64 v[2:3], s16, v[26:27]
	s_add_u32 s16, s16, 8
	s_addc_u32 s17, s17, 0
	v_or_b32_e32 v12, v2, v12
	s_cmp_lg_u32 s20, s18
	v_or_b32_e32 v13, v3, v13
	s_cbranch_scc1 .LBB9_183
	s_branch .LBB9_186
.LBB9_184:                              ;   in Loop: Header=BB9_165 Depth=1
                                        ; implicit-def: $sgpr15
	s_branch .LBB9_187
.LBB9_185:                              ;   in Loop: Header=BB9_165 Depth=1
	v_mov_b64_e32 v[12:13], 0
.LBB9_186:                              ;   in Loop: Header=BB9_165 Depth=1
	s_mov_b32 s15, 0
	s_cbranch_execnz .LBB9_188
.LBB9_187:                              ;   in Loop: Header=BB9_165 Depth=1
	global_load_dwordx2 v[12:13], v27, s[0:1]
	s_add_i32 s15, s20, -8
	s_add_u32 s0, s0, 8
	s_addc_u32 s1, s1, 0
.LBB9_188:                              ;   in Loop: Header=BB9_165 Depth=1
	s_cmp_gt_u32 s15, 7
	s_cbranch_scc1 .LBB9_192
; %bb.189:                              ;   in Loop: Header=BB9_165 Depth=1
	s_cmp_eq_u32 s15, 0
	s_cbranch_scc1 .LBB9_193
; %bb.190:                              ;   in Loop: Header=BB9_165 Depth=1
	s_mov_b64 s[16:17], 0
	v_mov_b64_e32 v[14:15], 0
	s_mov_b64 s[18:19], 0
.LBB9_191:                              ;   Parent Loop BB9_165 Depth=1
                                        ; =>  This Inner Loop Header: Depth=2
	s_add_u32 s20, s0, s18
	s_addc_u32 s21, s1, s19
	global_load_ubyte v2, v27, s[20:21]
	s_add_u32 s18, s18, 1
	s_addc_u32 s19, s19, 0
	s_waitcnt vmcnt(0)
	v_and_b32_e32 v26, 0xffff, v2
	v_lshlrev_b64 v[2:3], s16, v[26:27]
	s_add_u32 s16, s16, 8
	s_addc_u32 s17, s17, 0
	v_or_b32_e32 v14, v2, v14
	s_cmp_lg_u32 s15, s18
	v_or_b32_e32 v15, v3, v15
	s_cbranch_scc1 .LBB9_191
	s_branch .LBB9_194
.LBB9_192:                              ;   in Loop: Header=BB9_165 Depth=1
                                        ; implicit-def: $vgpr14_vgpr15
                                        ; implicit-def: $sgpr20
	s_branch .LBB9_195
.LBB9_193:                              ;   in Loop: Header=BB9_165 Depth=1
	v_mov_b64_e32 v[14:15], 0
.LBB9_194:                              ;   in Loop: Header=BB9_165 Depth=1
	s_mov_b32 s20, 0
	s_cbranch_execnz .LBB9_196
.LBB9_195:                              ;   in Loop: Header=BB9_165 Depth=1
	global_load_dwordx2 v[14:15], v27, s[0:1]
	s_add_i32 s20, s15, -8
	s_add_u32 s0, s0, 8
	s_addc_u32 s1, s1, 0
.LBB9_196:                              ;   in Loop: Header=BB9_165 Depth=1
	s_cmp_gt_u32 s20, 7
	s_cbranch_scc1 .LBB9_200
; %bb.197:                              ;   in Loop: Header=BB9_165 Depth=1
	s_cmp_eq_u32 s20, 0
	s_cbranch_scc1 .LBB9_201
; %bb.198:                              ;   in Loop: Header=BB9_165 Depth=1
	s_mov_b64 s[16:17], 0
	v_mov_b64_e32 v[16:17], 0
	s_mov_b64 s[18:19], 0
.LBB9_199:                              ;   Parent Loop BB9_165 Depth=1
                                        ; =>  This Inner Loop Header: Depth=2
	s_add_u32 s22, s0, s18
	s_addc_u32 s23, s1, s19
	global_load_ubyte v2, v27, s[22:23]
	s_add_u32 s18, s18, 1
	s_addc_u32 s19, s19, 0
	s_waitcnt vmcnt(0)
	v_and_b32_e32 v26, 0xffff, v2
	v_lshlrev_b64 v[2:3], s16, v[26:27]
	s_add_u32 s16, s16, 8
	s_addc_u32 s17, s17, 0
	v_or_b32_e32 v16, v2, v16
	s_cmp_lg_u32 s20, s18
	v_or_b32_e32 v17, v3, v17
	s_cbranch_scc1 .LBB9_199
	s_branch .LBB9_202
.LBB9_200:                              ;   in Loop: Header=BB9_165 Depth=1
                                        ; implicit-def: $sgpr15
	s_branch .LBB9_203
.LBB9_201:                              ;   in Loop: Header=BB9_165 Depth=1
	v_mov_b64_e32 v[16:17], 0
.LBB9_202:                              ;   in Loop: Header=BB9_165 Depth=1
	s_mov_b32 s15, 0
	s_cbranch_execnz .LBB9_204
.LBB9_203:                              ;   in Loop: Header=BB9_165 Depth=1
	global_load_dwordx2 v[16:17], v27, s[0:1]
	s_add_i32 s15, s20, -8
	s_add_u32 s0, s0, 8
	s_addc_u32 s1, s1, 0
.LBB9_204:                              ;   in Loop: Header=BB9_165 Depth=1
	s_cmp_gt_u32 s15, 7
	s_cbranch_scc1 .LBB9_208
; %bb.205:                              ;   in Loop: Header=BB9_165 Depth=1
	s_cmp_eq_u32 s15, 0
	s_cbranch_scc1 .LBB9_209
; %bb.206:                              ;   in Loop: Header=BB9_165 Depth=1
	s_mov_b64 s[16:17], 0
	v_mov_b64_e32 v[18:19], 0
	s_mov_b64 s[18:19], 0
.LBB9_207:                              ;   Parent Loop BB9_165 Depth=1
                                        ; =>  This Inner Loop Header: Depth=2
	s_add_u32 s20, s0, s18
	s_addc_u32 s21, s1, s19
	global_load_ubyte v2, v27, s[20:21]
	s_add_u32 s18, s18, 1
	s_addc_u32 s19, s19, 0
	s_waitcnt vmcnt(0)
	v_and_b32_e32 v26, 0xffff, v2
	v_lshlrev_b64 v[2:3], s16, v[26:27]
	s_add_u32 s16, s16, 8
	s_addc_u32 s17, s17, 0
	v_or_b32_e32 v18, v2, v18
	s_cmp_lg_u32 s15, s18
	v_or_b32_e32 v19, v3, v19
	s_cbranch_scc1 .LBB9_207
	s_branch .LBB9_210
.LBB9_208:                              ;   in Loop: Header=BB9_165 Depth=1
                                        ; implicit-def: $vgpr18_vgpr19
                                        ; implicit-def: $sgpr20
	s_branch .LBB9_211
.LBB9_209:                              ;   in Loop: Header=BB9_165 Depth=1
	v_mov_b64_e32 v[18:19], 0
.LBB9_210:                              ;   in Loop: Header=BB9_165 Depth=1
	s_mov_b32 s20, 0
	s_cbranch_execnz .LBB9_212
.LBB9_211:                              ;   in Loop: Header=BB9_165 Depth=1
	global_load_dwordx2 v[18:19], v27, s[0:1]
	s_add_i32 s20, s15, -8
	s_add_u32 s0, s0, 8
	s_addc_u32 s1, s1, 0
.LBB9_212:                              ;   in Loop: Header=BB9_165 Depth=1
	s_cmp_gt_u32 s20, 7
	s_cbranch_scc1 .LBB9_216
; %bb.213:                              ;   in Loop: Header=BB9_165 Depth=1
	s_cmp_eq_u32 s20, 0
	s_cbranch_scc1 .LBB9_217
; %bb.214:                              ;   in Loop: Header=BB9_165 Depth=1
	s_mov_b64 s[16:17], 0
	v_mov_b64_e32 v[20:21], 0
	s_mov_b64 s[18:19], s[0:1]
.LBB9_215:                              ;   Parent Loop BB9_165 Depth=1
                                        ; =>  This Inner Loop Header: Depth=2
	global_load_ubyte v2, v27, s[18:19]
	s_add_i32 s20, s20, -1
	s_waitcnt vmcnt(0)
	v_and_b32_e32 v26, 0xffff, v2
	v_lshlrev_b64 v[2:3], s16, v[26:27]
	s_add_u32 s16, s16, 8
	s_addc_u32 s17, s17, 0
	s_add_u32 s18, s18, 1
	s_addc_u32 s19, s19, 0
	v_or_b32_e32 v20, v2, v20
	s_cmp_lg_u32 s20, 0
	v_or_b32_e32 v21, v3, v21
	s_cbranch_scc1 .LBB9_215
	s_branch .LBB9_218
.LBB9_216:                              ;   in Loop: Header=BB9_165 Depth=1
	s_branch .LBB9_219
.LBB9_217:                              ;   in Loop: Header=BB9_165 Depth=1
	v_mov_b64_e32 v[20:21], 0
.LBB9_218:                              ;   in Loop: Header=BB9_165 Depth=1
	s_cbranch_execnz .LBB9_220
.LBB9_219:                              ;   in Loop: Header=BB9_165 Depth=1
	global_load_dwordx2 v[20:21], v27, s[0:1]
.LBB9_220:                              ;   in Loop: Header=BB9_165 Depth=1
	v_readfirstlane_b32 s0, v47
	v_mov_b64_e32 v[2:3], 0
	s_nop 0
	v_cmp_eq_u32_e64 s[0:1], s0, v47
	s_and_saveexec_b64 s[16:17], s[0:1]
	s_cbranch_execz .LBB9_226
; %bb.221:                              ;   in Loop: Header=BB9_165 Depth=1
	global_load_dwordx2 v[24:25], v27, s[42:43] offset:24 sc0 sc1
	s_waitcnt vmcnt(0)
	buffer_inv sc0 sc1
	global_load_dwordx2 v[2:3], v27, s[42:43] offset:40
	global_load_dwordx2 v[22:23], v27, s[42:43]
	s_waitcnt vmcnt(1)
	v_and_b32_e32 v2, v2, v24
	v_and_b32_e32 v3, v3, v25
	v_mul_lo_u32 v3, v3, 24
	v_mul_hi_u32 v26, v2, 24
	v_add_u32_e32 v3, v26, v3
	v_mul_lo_u32 v2, v2, 24
	s_waitcnt vmcnt(0)
	v_lshl_add_u64 v[2:3], v[22:23], 0, v[2:3]
	global_load_dwordx2 v[22:23], v[2:3], off sc0 sc1
	s_waitcnt vmcnt(0)
	global_atomic_cmpswap_x2 v[2:3], v27, v[22:25], s[42:43] offset:24 sc0 sc1
	s_waitcnt vmcnt(0)
	buffer_inv sc0 sc1
	v_cmp_ne_u64_e32 vcc, v[2:3], v[24:25]
	s_and_saveexec_b64 s[18:19], vcc
	s_cbranch_execz .LBB9_225
; %bb.222:                              ;   in Loop: Header=BB9_165 Depth=1
	s_mov_b64 s[20:21], 0
.LBB9_223:                              ;   Parent Loop BB9_165 Depth=1
                                        ; =>  This Inner Loop Header: Depth=2
	s_sleep 1
	global_load_dwordx2 v[22:23], v27, s[42:43] offset:40
	global_load_dwordx2 v[28:29], v27, s[42:43]
	v_mov_b64_e32 v[24:25], v[2:3]
	s_waitcnt vmcnt(1)
	v_and_b32_e32 v2, v22, v24
	s_waitcnt vmcnt(0)
	v_mad_u64_u32 v[2:3], s[22:23], v2, 24, v[28:29]
	v_and_b32_e32 v23, v23, v25
	v_mov_b32_e32 v22, v3
	v_mad_u64_u32 v[22:23], s[22:23], v23, 24, v[22:23]
	v_mov_b32_e32 v3, v22
	global_load_dwordx2 v[22:23], v[2:3], off sc0 sc1
	s_waitcnt vmcnt(0)
	global_atomic_cmpswap_x2 v[2:3], v27, v[22:25], s[42:43] offset:24 sc0 sc1
	s_waitcnt vmcnt(0)
	buffer_inv sc0 sc1
	v_cmp_eq_u64_e32 vcc, v[2:3], v[24:25]
	s_or_b64 s[20:21], vcc, s[20:21]
	s_andn2_b64 exec, exec, s[20:21]
	s_cbranch_execnz .LBB9_223
; %bb.224:                              ;   in Loop: Header=BB9_165 Depth=1
	s_or_b64 exec, exec, s[20:21]
.LBB9_225:                              ;   in Loop: Header=BB9_165 Depth=1
	s_or_b64 exec, exec, s[18:19]
.LBB9_226:                              ;   in Loop: Header=BB9_165 Depth=1
	s_or_b64 exec, exec, s[16:17]
	global_load_dwordx2 v[28:29], v27, s[42:43] offset:40
	global_load_dwordx4 v[22:25], v27, s[42:43]
	v_readfirstlane_b32 s16, v2
	v_readfirstlane_b32 s17, v3
	s_mov_b64 s[18:19], exec
	s_waitcnt vmcnt(1)
	v_readfirstlane_b32 s20, v28
	v_readfirstlane_b32 s21, v29
	s_and_b64 s[20:21], s[16:17], s[20:21]
	s_mul_i32 s15, s21, 24
	s_mul_hi_u32 s22, s20, 24
	s_add_i32 s23, s22, s15
	s_mul_i32 s22, s20, 24
	s_waitcnt vmcnt(0)
	v_lshl_add_u64 v[28:29], v[22:23], 0, s[22:23]
	s_and_saveexec_b64 s[22:23], s[0:1]
	s_cbranch_execz .LBB9_228
; %bb.227:                              ;   in Loop: Header=BB9_165 Depth=1
	v_mov_b64_e32 v[2:3], s[18:19]
	global_store_dwordx4 v[28:29], v[2:5], off offset:8
.LBB9_228:                              ;   in Loop: Header=BB9_165 Depth=1
	s_or_b64 exec, exec, s[22:23]
	s_lshl_b64 s[18:19], s[20:21], 12
	v_lshl_add_u64 v[2:3], v[24:25], 0, s[18:19]
	v_or_b32_e32 v24, 2, v6
	v_cmp_gt_u64_e64 vcc, s[6:7], 56
	s_lshl_b32 s15, s10, 2
	s_add_i32 s15, s15, 28
	v_cndmask_b32_e32 v6, v24, v6, vcc
	s_and_b32 s15, s15, 0x1e0
	v_and_b32_e32 v6, 0xffffff1f, v6
	v_or_b32_e32 v6, s15, v6
	v_readfirstlane_b32 s18, v2
	v_readfirstlane_b32 s19, v3
	s_nop 4
	global_store_dwordx4 v36, v[6:9], s[18:19]
	global_store_dwordx4 v36, v[10:13], s[18:19] offset:16
	global_store_dwordx4 v36, v[14:17], s[18:19] offset:32
	;; [unrolled: 1-line block ×3, first 2 shown]
	s_and_saveexec_b64 s[18:19], s[0:1]
	s_cbranch_execz .LBB9_236
; %bb.229:                              ;   in Loop: Header=BB9_165 Depth=1
	global_load_dwordx2 v[14:15], v27, s[42:43] offset:32 sc0 sc1
	global_load_dwordx2 v[6:7], v27, s[42:43] offset:40
	v_mov_b32_e32 v12, s16
	v_mov_b32_e32 v13, s17
	s_waitcnt vmcnt(0)
	v_readfirstlane_b32 s20, v6
	v_readfirstlane_b32 s21, v7
	s_and_b64 s[20:21], s[20:21], s[16:17]
	s_mul_i32 s15, s21, 24
	s_mul_hi_u32 s21, s20, 24
	s_mul_i32 s20, s20, 24
	s_add_i32 s21, s21, s15
	v_lshl_add_u64 v[10:11], v[22:23], 0, s[20:21]
	global_store_dwordx2 v[10:11], v[14:15], off
	buffer_wbl2 sc0 sc1
	s_waitcnt vmcnt(0)
	global_atomic_cmpswap_x2 v[8:9], v27, v[12:15], s[42:43] offset:32 sc0 sc1
	s_waitcnt vmcnt(0)
	v_cmp_ne_u64_e32 vcc, v[8:9], v[14:15]
	s_and_saveexec_b64 s[20:21], vcc
	s_cbranch_execz .LBB9_232
; %bb.230:                              ;   in Loop: Header=BB9_165 Depth=1
	s_mov_b64 s[22:23], 0
.LBB9_231:                              ;   Parent Loop BB9_165 Depth=1
                                        ; =>  This Inner Loop Header: Depth=2
	s_sleep 1
	global_store_dwordx2 v[10:11], v[8:9], off
	v_mov_b32_e32 v6, s16
	v_mov_b32_e32 v7, s17
	buffer_wbl2 sc0 sc1
	s_waitcnt vmcnt(0)
	global_atomic_cmpswap_x2 v[6:7], v27, v[6:9], s[42:43] offset:32 sc0 sc1
	s_waitcnt vmcnt(0)
	v_cmp_eq_u64_e32 vcc, v[6:7], v[8:9]
	s_or_b64 s[22:23], vcc, s[22:23]
	v_mov_b64_e32 v[8:9], v[6:7]
	s_andn2_b64 exec, exec, s[22:23]
	s_cbranch_execnz .LBB9_231
.LBB9_232:                              ;   in Loop: Header=BB9_165 Depth=1
	s_or_b64 exec, exec, s[20:21]
	global_load_dwordx2 v[6:7], v27, s[42:43] offset:16
	s_mov_b64 s[22:23], exec
	v_mbcnt_lo_u32_b32 v8, s22, 0
	v_mbcnt_hi_u32_b32 v8, s23, v8
	v_cmp_eq_u32_e32 vcc, 0, v8
	s_and_saveexec_b64 s[20:21], vcc
	s_cbranch_execz .LBB9_234
; %bb.233:                              ;   in Loop: Header=BB9_165 Depth=1
	s_bcnt1_i32_b64 s15, s[22:23]
	v_mov_b32_e32 v26, s15
	buffer_wbl2 sc0 sc1
	s_waitcnt vmcnt(0)
	global_atomic_add_x2 v[6:7], v[26:27], off offset:8 sc1
.LBB9_234:                              ;   in Loop: Header=BB9_165 Depth=1
	s_or_b64 exec, exec, s[20:21]
	s_waitcnt vmcnt(0)
	global_load_dwordx2 v[8:9], v[6:7], off offset:16
	s_waitcnt vmcnt(0)
	v_cmp_eq_u64_e32 vcc, 0, v[8:9]
	s_cbranch_vccnz .LBB9_236
; %bb.235:                              ;   in Loop: Header=BB9_165 Depth=1
	global_load_dword v26, v[6:7], off offset:24
	s_waitcnt vmcnt(0)
	v_and_b32_e32 v6, 0xffffff, v26
	s_nop 0
	v_readfirstlane_b32 m0, v6
	buffer_wbl2 sc0 sc1
	global_store_dwordx2 v[8:9], v[26:27], off sc0 sc1
	s_sendmsg sendmsg(MSG_INTERRUPT)
.LBB9_236:                              ;   in Loop: Header=BB9_165 Depth=1
	s_or_b64 exec, exec, s[18:19]
	v_mov_b32_e32 v37, v27
	v_lshl_add_u64 v[2:3], v[2:3], 0, v[36:37]
	s_branch .LBB9_240
.LBB9_237:                              ;   in Loop: Header=BB9_240 Depth=2
	s_or_b64 exec, exec, s[18:19]
	v_readfirstlane_b32 s15, v6
	s_cmp_eq_u32 s15, 0
	s_cbranch_scc1 .LBB9_239
; %bb.238:                              ;   in Loop: Header=BB9_240 Depth=2
	s_sleep 1
	s_cbranch_execnz .LBB9_240
	s_branch .LBB9_242
.LBB9_239:                              ;   in Loop: Header=BB9_165 Depth=1
	s_branch .LBB9_242
.LBB9_240:                              ;   Parent Loop BB9_165 Depth=1
                                        ; =>  This Inner Loop Header: Depth=2
	v_mov_b32_e32 v6, 1
	s_and_saveexec_b64 s[18:19], s[0:1]
	s_cbranch_execz .LBB9_237
; %bb.241:                              ;   in Loop: Header=BB9_240 Depth=2
	global_load_dword v6, v[28:29], off offset:20 sc0 sc1
	s_waitcnt vmcnt(0)
	buffer_inv sc0 sc1
	v_and_b32_e32 v6, 1, v6
	s_branch .LBB9_237
.LBB9_242:                              ;   in Loop: Header=BB9_165 Depth=1
	global_load_dwordx4 v[6:9], v[2:3], off
	s_and_saveexec_b64 s[18:19], s[0:1]
	s_cbranch_execz .LBB9_164
; %bb.243:                              ;   in Loop: Header=BB9_165 Depth=1
	global_load_dwordx2 v[2:3], v27, s[42:43] offset:40
	global_load_dwordx2 v[12:13], v27, s[42:43] offset:24 sc0 sc1
	global_load_dwordx2 v[14:15], v27, s[42:43]
	s_waitcnt vmcnt(2)
	v_lshl_add_u64 v[8:9], v[2:3], 0, 1
	v_lshl_add_u64 v[16:17], v[8:9], 0, s[16:17]
	v_cmp_eq_u64_e32 vcc, 0, v[16:17]
	s_waitcnt vmcnt(1)
	v_mov_b32_e32 v10, v12
	v_cndmask_b32_e32 v9, v17, v9, vcc
	v_cndmask_b32_e32 v8, v16, v8, vcc
	v_and_b32_e32 v3, v9, v3
	v_and_b32_e32 v2, v8, v2
	v_mul_lo_u32 v3, v3, 24
	v_mul_hi_u32 v11, v2, 24
	v_mul_lo_u32 v2, v2, 24
	v_add_u32_e32 v3, v11, v3
	s_waitcnt vmcnt(0)
	v_lshl_add_u64 v[2:3], v[14:15], 0, v[2:3]
	global_store_dwordx2 v[2:3], v[12:13], off
	v_mov_b32_e32 v11, v13
	buffer_wbl2 sc0 sc1
	s_waitcnt vmcnt(0)
	global_atomic_cmpswap_x2 v[10:11], v27, v[8:11], s[42:43] offset:24 sc0 sc1
	s_waitcnt vmcnt(0)
	v_cmp_ne_u64_e32 vcc, v[10:11], v[12:13]
	s_and_b64 exec, exec, vcc
	s_cbranch_execz .LBB9_164
; %bb.244:                              ;   in Loop: Header=BB9_165 Depth=1
	s_mov_b64 s[0:1], 0
.LBB9_245:                              ;   Parent Loop BB9_165 Depth=1
                                        ; =>  This Inner Loop Header: Depth=2
	s_sleep 1
	global_store_dwordx2 v[2:3], v[10:11], off
	buffer_wbl2 sc0 sc1
	s_waitcnt vmcnt(0)
	global_atomic_cmpswap_x2 v[12:13], v27, v[8:11], s[42:43] offset:24 sc0 sc1
	s_waitcnt vmcnt(0)
	v_cmp_eq_u64_e32 vcc, v[12:13], v[10:11]
	s_or_b64 s[0:1], vcc, s[0:1]
	v_mov_b64_e32 v[10:11], v[12:13]
	s_andn2_b64 exec, exec, s[0:1]
	s_cbranch_execnz .LBB9_245
	s_branch .LBB9_164
.LBB9_246:
	s_branch .LBB9_274
.LBB9_247:
	s_cbranch_execz .LBB9_274
; %bb.248:
	v_readfirstlane_b32 s0, v47
	s_waitcnt vmcnt(0)
	v_mov_b64_e32 v[8:9], 0
	v_cmp_eq_u32_e64 s[0:1], s0, v47
	s_and_saveexec_b64 s[4:5], s[0:1]
	s_cbranch_execz .LBB9_254
; %bb.249:
	v_mov_b32_e32 v2, 0
	global_load_dwordx2 v[6:7], v2, s[42:43] offset:24 sc0 sc1
	s_waitcnt vmcnt(0)
	buffer_inv sc0 sc1
	global_load_dwordx2 v[4:5], v2, s[42:43] offset:40
	global_load_dwordx2 v[8:9], v2, s[42:43]
	s_waitcnt vmcnt(1)
	v_and_b32_e32 v3, v4, v6
	v_and_b32_e32 v4, v5, v7
	v_mul_lo_u32 v4, v4, 24
	v_mul_hi_u32 v5, v3, 24
	v_add_u32_e32 v5, v5, v4
	v_mul_lo_u32 v4, v3, 24
	s_waitcnt vmcnt(0)
	v_lshl_add_u64 v[4:5], v[8:9], 0, v[4:5]
	global_load_dwordx2 v[4:5], v[4:5], off sc0 sc1
	s_waitcnt vmcnt(0)
	global_atomic_cmpswap_x2 v[8:9], v2, v[4:7], s[42:43] offset:24 sc0 sc1
	s_waitcnt vmcnt(0)
	buffer_inv sc0 sc1
	v_cmp_ne_u64_e32 vcc, v[8:9], v[6:7]
	s_and_saveexec_b64 s[6:7], vcc
	s_cbranch_execz .LBB9_253
; %bb.250:
	s_mov_b64 s[10:11], 0
.LBB9_251:                              ; =>This Inner Loop Header: Depth=1
	s_sleep 1
	global_load_dwordx2 v[4:5], v2, s[42:43] offset:40
	global_load_dwordx2 v[10:11], v2, s[42:43]
	v_mov_b64_e32 v[6:7], v[8:9]
	s_waitcnt vmcnt(1)
	v_and_b32_e32 v4, v4, v6
	v_and_b32_e32 v3, v5, v7
	s_waitcnt vmcnt(0)
	v_mad_u64_u32 v[4:5], s[16:17], v4, 24, v[10:11]
	v_mov_b32_e32 v8, v5
	v_mad_u64_u32 v[8:9], s[16:17], v3, 24, v[8:9]
	v_mov_b32_e32 v5, v8
	global_load_dwordx2 v[4:5], v[4:5], off sc0 sc1
	s_waitcnt vmcnt(0)
	global_atomic_cmpswap_x2 v[8:9], v2, v[4:7], s[42:43] offset:24 sc0 sc1
	s_waitcnt vmcnt(0)
	buffer_inv sc0 sc1
	v_cmp_eq_u64_e32 vcc, v[8:9], v[6:7]
	s_or_b64 s[10:11], vcc, s[10:11]
	s_andn2_b64 exec, exec, s[10:11]
	s_cbranch_execnz .LBB9_251
; %bb.252:
	s_or_b64 exec, exec, s[10:11]
.LBB9_253:
	s_or_b64 exec, exec, s[6:7]
.LBB9_254:
	s_or_b64 exec, exec, s[4:5]
	v_mov_b32_e32 v2, 0
	global_load_dwordx2 v[10:11], v2, s[42:43] offset:40
	global_load_dwordx4 v[4:7], v2, s[42:43]
	v_readfirstlane_b32 s4, v8
	v_readfirstlane_b32 s5, v9
	s_mov_b64 s[6:7], exec
	s_waitcnt vmcnt(1)
	v_readfirstlane_b32 s10, v10
	v_readfirstlane_b32 s11, v11
	s_and_b64 s[10:11], s[4:5], s[10:11]
	s_mul_i32 s15, s11, 24
	s_mul_hi_u32 s16, s10, 24
	s_add_i32 s17, s16, s15
	s_mul_i32 s16, s10, 24
	s_waitcnt vmcnt(0)
	v_lshl_add_u64 v[8:9], v[4:5], 0, s[16:17]
	s_and_saveexec_b64 s[16:17], s[0:1]
	s_cbranch_execz .LBB9_256
; %bb.255:
	v_mov_b64_e32 v[10:11], s[6:7]
	v_mov_b32_e32 v12, 2
	v_mov_b32_e32 v13, 1
	global_store_dwordx4 v[8:9], v[10:13], off offset:8
.LBB9_256:
	s_or_b64 exec, exec, s[16:17]
	s_lshl_b64 s[6:7], s[10:11], 12
	v_lshl_add_u64 v[6:7], v[6:7], 0, s[6:7]
	s_movk_i32 s6, 0xff1d
	s_mov_b32 s16, 0
	v_and_or_b32 v0, v0, s6, 34
	v_mov_b32_e32 v3, v2
	v_readfirstlane_b32 s6, v6
	v_readfirstlane_b32 s7, v7
	s_mov_b32 s17, s16
	s_mov_b32 s18, s16
	;; [unrolled: 1-line block ×3, first 2 shown]
	s_nop 1
	global_store_dwordx4 v36, v[0:3], s[6:7]
	s_nop 1
	v_mov_b64_e32 v[0:1], s[16:17]
	v_mov_b64_e32 v[2:3], s[18:19]
	global_store_dwordx4 v36, v[0:3], s[6:7] offset:16
	global_store_dwordx4 v36, v[0:3], s[6:7] offset:32
	;; [unrolled: 1-line block ×3, first 2 shown]
	s_and_saveexec_b64 s[6:7], s[0:1]
	s_cbranch_execz .LBB9_264
; %bb.257:
	v_mov_b32_e32 v6, 0
	global_load_dwordx2 v[12:13], v6, s[42:43] offset:32 sc0 sc1
	global_load_dwordx2 v[0:1], v6, s[42:43] offset:40
	v_mov_b32_e32 v10, s4
	v_mov_b32_e32 v11, s5
	s_waitcnt vmcnt(0)
	v_readfirstlane_b32 s10, v0
	v_readfirstlane_b32 s11, v1
	s_and_b64 s[10:11], s[10:11], s[4:5]
	s_mul_i32 s11, s11, 24
	s_mul_hi_u32 s15, s10, 24
	s_mul_i32 s10, s10, 24
	s_add_i32 s11, s15, s11
	v_lshl_add_u64 v[4:5], v[4:5], 0, s[10:11]
	global_store_dwordx2 v[4:5], v[12:13], off
	buffer_wbl2 sc0 sc1
	s_waitcnt vmcnt(0)
	global_atomic_cmpswap_x2 v[2:3], v6, v[10:13], s[42:43] offset:32 sc0 sc1
	s_waitcnt vmcnt(0)
	v_cmp_ne_u64_e32 vcc, v[2:3], v[12:13]
	s_and_saveexec_b64 s[10:11], vcc
	s_cbranch_execz .LBB9_260
; %bb.258:
	s_mov_b64 s[16:17], 0
.LBB9_259:                              ; =>This Inner Loop Header: Depth=1
	s_sleep 1
	global_store_dwordx2 v[4:5], v[2:3], off
	v_mov_b32_e32 v0, s4
	v_mov_b32_e32 v1, s5
	buffer_wbl2 sc0 sc1
	s_waitcnt vmcnt(0)
	global_atomic_cmpswap_x2 v[0:1], v6, v[0:3], s[42:43] offset:32 sc0 sc1
	s_waitcnt vmcnt(0)
	v_cmp_eq_u64_e32 vcc, v[0:1], v[2:3]
	s_or_b64 s[16:17], vcc, s[16:17]
	v_mov_b64_e32 v[2:3], v[0:1]
	s_andn2_b64 exec, exec, s[16:17]
	s_cbranch_execnz .LBB9_259
.LBB9_260:
	s_or_b64 exec, exec, s[10:11]
	v_mov_b32_e32 v3, 0
	global_load_dwordx2 v[0:1], v3, s[42:43] offset:16
	s_mov_b64 s[10:11], exec
	v_mbcnt_lo_u32_b32 v2, s10, 0
	v_mbcnt_hi_u32_b32 v2, s11, v2
	v_cmp_eq_u32_e32 vcc, 0, v2
	s_and_saveexec_b64 s[16:17], vcc
	s_cbranch_execz .LBB9_262
; %bb.261:
	s_bcnt1_i32_b64 s10, s[10:11]
	v_mov_b32_e32 v2, s10
	buffer_wbl2 sc0 sc1
	s_waitcnt vmcnt(0)
	global_atomic_add_x2 v[0:1], v[2:3], off offset:8 sc1
.LBB9_262:
	s_or_b64 exec, exec, s[16:17]
	s_waitcnt vmcnt(0)
	global_load_dwordx2 v[2:3], v[0:1], off offset:16
	s_waitcnt vmcnt(0)
	v_cmp_eq_u64_e32 vcc, 0, v[2:3]
	s_cbranch_vccnz .LBB9_264
; %bb.263:
	global_load_dword v0, v[0:1], off offset:24
	v_mov_b32_e32 v1, 0
	buffer_wbl2 sc0 sc1
	s_waitcnt vmcnt(0)
	global_store_dwordx2 v[2:3], v[0:1], off sc0 sc1
	v_and_b32_e32 v0, 0xffffff, v0
	s_nop 0
	v_readfirstlane_b32 m0, v0
	s_sendmsg sendmsg(MSG_INTERRUPT)
.LBB9_264:
	s_or_b64 exec, exec, s[6:7]
	s_branch .LBB9_268
.LBB9_265:                              ;   in Loop: Header=BB9_268 Depth=1
	s_or_b64 exec, exec, s[6:7]
	v_readfirstlane_b32 s6, v0
	s_cmp_eq_u32 s6, 0
	s_cbranch_scc1 .LBB9_267
; %bb.266:                              ;   in Loop: Header=BB9_268 Depth=1
	s_sleep 1
	s_cbranch_execnz .LBB9_268
	s_branch .LBB9_270
.LBB9_267:
	s_branch .LBB9_270
.LBB9_268:                              ; =>This Inner Loop Header: Depth=1
	v_mov_b32_e32 v0, 1
	s_and_saveexec_b64 s[6:7], s[0:1]
	s_cbranch_execz .LBB9_265
; %bb.269:                              ;   in Loop: Header=BB9_268 Depth=1
	global_load_dword v0, v[8:9], off offset:20 sc0 sc1
	s_waitcnt vmcnt(0)
	buffer_inv sc0 sc1
	v_and_b32_e32 v0, 1, v0
	s_branch .LBB9_265
.LBB9_270:
	s_and_saveexec_b64 s[6:7], s[0:1]
	s_cbranch_execz .LBB9_273
; %bb.271:
	v_mov_b32_e32 v6, 0
	global_load_dwordx2 v[4:5], v6, s[42:43] offset:40
	global_load_dwordx2 v[8:9], v6, s[42:43] offset:24 sc0 sc1
	global_load_dwordx2 v[10:11], v6, s[42:43]
	s_mov_b64 s[0:1], 0
	s_waitcnt vmcnt(2)
	v_lshl_add_u64 v[0:1], v[4:5], 0, 1
	v_lshl_add_u64 v[12:13], v[0:1], 0, s[4:5]
	v_cmp_eq_u64_e32 vcc, 0, v[12:13]
	s_waitcnt vmcnt(1)
	v_mov_b32_e32 v2, v8
	v_cndmask_b32_e32 v1, v13, v1, vcc
	v_cndmask_b32_e32 v0, v12, v0, vcc
	v_and_b32_e32 v3, v1, v5
	v_and_b32_e32 v4, v0, v4
	v_mul_lo_u32 v3, v3, 24
	v_mul_hi_u32 v5, v4, 24
	v_mul_lo_u32 v4, v4, 24
	v_add_u32_e32 v5, v5, v3
	s_waitcnt vmcnt(0)
	v_lshl_add_u64 v[4:5], v[10:11], 0, v[4:5]
	global_store_dwordx2 v[4:5], v[8:9], off
	v_mov_b32_e32 v3, v9
	buffer_wbl2 sc0 sc1
	s_waitcnt vmcnt(0)
	global_atomic_cmpswap_x2 v[2:3], v6, v[0:3], s[42:43] offset:24 sc0 sc1
	s_waitcnt vmcnt(0)
	v_cmp_ne_u64_e32 vcc, v[2:3], v[8:9]
	s_and_b64 exec, exec, vcc
	s_cbranch_execz .LBB9_273
.LBB9_272:                              ; =>This Inner Loop Header: Depth=1
	s_sleep 1
	global_store_dwordx2 v[4:5], v[2:3], off
	buffer_wbl2 sc0 sc1
	s_waitcnt vmcnt(0)
	global_atomic_cmpswap_x2 v[8:9], v6, v[0:3], s[42:43] offset:24 sc0 sc1
	s_waitcnt vmcnt(0)
	v_cmp_eq_u64_e32 vcc, v[8:9], v[2:3]
	s_or_b64 s[0:1], vcc, s[0:1]
	v_mov_b64_e32 v[2:3], v[8:9]
	s_andn2_b64 exec, exec, s[0:1]
	s_cbranch_execnz .LBB9_272
.LBB9_273:
	s_or_b64 exec, exec, s[6:7]
.LBB9_274:
	v_readfirstlane_b32 s0, v47
	s_waitcnt vmcnt(0)
	v_mov_b64_e32 v[4:5], 0
	v_cmp_eq_u32_e64 s[0:1], s0, v47
	s_and_saveexec_b64 s[4:5], s[0:1]
	s_cbranch_execz .LBB9_280
; %bb.275:
	v_mov_b32_e32 v0, 0
	global_load_dwordx2 v[6:7], v0, s[42:43] offset:24 sc0 sc1
	s_waitcnt vmcnt(0)
	buffer_inv sc0 sc1
	global_load_dwordx2 v[2:3], v0, s[42:43] offset:40
	global_load_dwordx2 v[4:5], v0, s[42:43]
	s_waitcnt vmcnt(1)
	v_and_b32_e32 v1, v2, v6
	v_and_b32_e32 v2, v3, v7
	v_mul_lo_u32 v2, v2, 24
	v_mul_hi_u32 v3, v1, 24
	v_add_u32_e32 v3, v3, v2
	v_mul_lo_u32 v2, v1, 24
	s_waitcnt vmcnt(0)
	v_lshl_add_u64 v[2:3], v[4:5], 0, v[2:3]
	global_load_dwordx2 v[4:5], v[2:3], off sc0 sc1
	s_waitcnt vmcnt(0)
	global_atomic_cmpswap_x2 v[4:5], v0, v[4:7], s[42:43] offset:24 sc0 sc1
	s_waitcnt vmcnt(0)
	buffer_inv sc0 sc1
	v_cmp_ne_u64_e32 vcc, v[4:5], v[6:7]
	s_and_saveexec_b64 s[6:7], vcc
	s_cbranch_execz .LBB9_279
; %bb.276:
	s_mov_b64 s[10:11], 0
.LBB9_277:                              ; =>This Inner Loop Header: Depth=1
	s_sleep 1
	global_load_dwordx2 v[2:3], v0, s[42:43] offset:40
	global_load_dwordx2 v[8:9], v0, s[42:43]
	v_mov_b64_e32 v[6:7], v[4:5]
	s_waitcnt vmcnt(1)
	v_and_b32_e32 v2, v2, v6
	v_and_b32_e32 v1, v3, v7
	s_waitcnt vmcnt(0)
	v_mad_u64_u32 v[2:3], s[16:17], v2, 24, v[8:9]
	v_mov_b32_e32 v4, v3
	v_mad_u64_u32 v[4:5], s[16:17], v1, 24, v[4:5]
	v_mov_b32_e32 v3, v4
	global_load_dwordx2 v[4:5], v[2:3], off sc0 sc1
	s_waitcnt vmcnt(0)
	global_atomic_cmpswap_x2 v[4:5], v0, v[4:7], s[42:43] offset:24 sc0 sc1
	s_waitcnt vmcnt(0)
	buffer_inv sc0 sc1
	v_cmp_eq_u64_e32 vcc, v[4:5], v[6:7]
	s_or_b64 s[10:11], vcc, s[10:11]
	s_andn2_b64 exec, exec, s[10:11]
	s_cbranch_execnz .LBB9_277
; %bb.278:
	s_or_b64 exec, exec, s[10:11]
.LBB9_279:
	s_or_b64 exec, exec, s[6:7]
.LBB9_280:
	s_or_b64 exec, exec, s[4:5]
	v_mov_b32_e32 v37, 0
	global_load_dwordx2 v[6:7], v37, s[42:43] offset:40
	global_load_dwordx4 v[0:3], v37, s[42:43]
	v_readfirstlane_b32 s4, v4
	v_readfirstlane_b32 s5, v5
	s_mov_b64 s[6:7], exec
	s_waitcnt vmcnt(1)
	v_readfirstlane_b32 s10, v6
	v_readfirstlane_b32 s11, v7
	s_and_b64 s[10:11], s[4:5], s[10:11]
	s_mul_i32 s15, s11, 24
	s_mul_hi_u32 s16, s10, 24
	s_add_i32 s17, s16, s15
	s_mul_i32 s16, s10, 24
	s_waitcnt vmcnt(0)
	v_lshl_add_u64 v[4:5], v[0:1], 0, s[16:17]
	s_and_saveexec_b64 s[16:17], s[0:1]
	s_cbranch_execz .LBB9_282
; %bb.281:
	v_mov_b64_e32 v[6:7], s[6:7]
	v_mov_b32_e32 v8, 2
	v_mov_b32_e32 v9, 1
	global_store_dwordx4 v[4:5], v[6:9], off offset:8
.LBB9_282:
	s_or_b64 exec, exec, s[16:17]
	s_lshl_b64 s[6:7], s[10:11], 12
	v_lshl_add_u64 v[6:7], v[2:3], 0, s[6:7]
	s_mov_b32 s16, 0
	v_mov_b32_e32 v8, 33
	v_mov_b32_e32 v9, v37
	;; [unrolled: 1-line block ×4, first 2 shown]
	v_readfirstlane_b32 s6, v6
	v_readfirstlane_b32 s7, v7
	s_mov_b32 s17, s16
	s_mov_b32 s18, s16
	;; [unrolled: 1-line block ×3, first 2 shown]
	s_nop 1
	global_store_dwordx4 v36, v[8:11], s[6:7]
	s_nop 1
	v_mov_b64_e32 v[8:9], s[16:17]
	v_mov_b64_e32 v[10:11], s[18:19]
	global_store_dwordx4 v36, v[8:11], s[6:7] offset:16
	global_store_dwordx4 v36, v[8:11], s[6:7] offset:32
	;; [unrolled: 1-line block ×3, first 2 shown]
	s_and_saveexec_b64 s[6:7], s[0:1]
	s_cbranch_execz .LBB9_290
; %bb.283:
	v_mov_b32_e32 v10, 0
	global_load_dwordx2 v[14:15], v10, s[42:43] offset:32 sc0 sc1
	global_load_dwordx2 v[2:3], v10, s[42:43] offset:40
	v_mov_b32_e32 v12, s4
	v_mov_b32_e32 v13, s5
	s_waitcnt vmcnt(0)
	v_readfirstlane_b32 s10, v2
	v_readfirstlane_b32 s11, v3
	s_and_b64 s[10:11], s[10:11], s[4:5]
	s_mul_i32 s11, s11, 24
	s_mul_hi_u32 s15, s10, 24
	s_mul_i32 s10, s10, 24
	s_add_i32 s11, s15, s11
	v_lshl_add_u64 v[8:9], v[0:1], 0, s[10:11]
	global_store_dwordx2 v[8:9], v[14:15], off
	buffer_wbl2 sc0 sc1
	s_waitcnt vmcnt(0)
	global_atomic_cmpswap_x2 v[2:3], v10, v[12:15], s[42:43] offset:32 sc0 sc1
	s_waitcnt vmcnt(0)
	v_cmp_ne_u64_e32 vcc, v[2:3], v[14:15]
	s_and_saveexec_b64 s[10:11], vcc
	s_cbranch_execz .LBB9_286
; %bb.284:
	s_mov_b64 s[16:17], 0
.LBB9_285:                              ; =>This Inner Loop Header: Depth=1
	s_sleep 1
	global_store_dwordx2 v[8:9], v[2:3], off
	v_mov_b32_e32 v0, s4
	v_mov_b32_e32 v1, s5
	buffer_wbl2 sc0 sc1
	s_waitcnt vmcnt(0)
	global_atomic_cmpswap_x2 v[0:1], v10, v[0:3], s[42:43] offset:32 sc0 sc1
	s_waitcnt vmcnt(0)
	v_cmp_eq_u64_e32 vcc, v[0:1], v[2:3]
	s_or_b64 s[16:17], vcc, s[16:17]
	v_mov_b64_e32 v[2:3], v[0:1]
	s_andn2_b64 exec, exec, s[16:17]
	s_cbranch_execnz .LBB9_285
.LBB9_286:
	s_or_b64 exec, exec, s[10:11]
	v_mov_b32_e32 v3, 0
	global_load_dwordx2 v[0:1], v3, s[42:43] offset:16
	s_mov_b64 s[10:11], exec
	v_mbcnt_lo_u32_b32 v2, s10, 0
	v_mbcnt_hi_u32_b32 v2, s11, v2
	v_cmp_eq_u32_e32 vcc, 0, v2
	s_and_saveexec_b64 s[16:17], vcc
	s_cbranch_execz .LBB9_288
; %bb.287:
	s_bcnt1_i32_b64 s10, s[10:11]
	v_mov_b32_e32 v2, s10
	buffer_wbl2 sc0 sc1
	s_waitcnt vmcnt(0)
	global_atomic_add_x2 v[0:1], v[2:3], off offset:8 sc1
.LBB9_288:
	s_or_b64 exec, exec, s[16:17]
	s_waitcnt vmcnt(0)
	global_load_dwordx2 v[2:3], v[0:1], off offset:16
	s_waitcnt vmcnt(0)
	v_cmp_eq_u64_e32 vcc, 0, v[2:3]
	s_cbranch_vccnz .LBB9_290
; %bb.289:
	global_load_dword v0, v[0:1], off offset:24
	v_mov_b32_e32 v1, 0
	buffer_wbl2 sc0 sc1
	s_waitcnt vmcnt(0)
	global_store_dwordx2 v[2:3], v[0:1], off sc0 sc1
	v_and_b32_e32 v0, 0xffffff, v0
	s_nop 0
	v_readfirstlane_b32 m0, v0
	s_sendmsg sendmsg(MSG_INTERRUPT)
.LBB9_290:
	s_or_b64 exec, exec, s[6:7]
	v_lshl_add_u64 v[0:1], v[6:7], 0, v[36:37]
	s_branch .LBB9_294
.LBB9_291:                              ;   in Loop: Header=BB9_294 Depth=1
	s_or_b64 exec, exec, s[6:7]
	v_readfirstlane_b32 s6, v2
	s_cmp_eq_u32 s6, 0
	s_cbranch_scc1 .LBB9_293
; %bb.292:                              ;   in Loop: Header=BB9_294 Depth=1
	s_sleep 1
	s_cbranch_execnz .LBB9_294
	s_branch .LBB9_296
.LBB9_293:
	s_branch .LBB9_296
.LBB9_294:                              ; =>This Inner Loop Header: Depth=1
	v_mov_b32_e32 v2, 1
	s_and_saveexec_b64 s[6:7], s[0:1]
	s_cbranch_execz .LBB9_291
; %bb.295:                              ;   in Loop: Header=BB9_294 Depth=1
	global_load_dword v2, v[4:5], off offset:20 sc0 sc1
	s_waitcnt vmcnt(0)
	buffer_inv sc0 sc1
	v_and_b32_e32 v2, 1, v2
	s_branch .LBB9_291
.LBB9_296:
	global_load_dwordx2 v[0:1], v[0:1], off
	s_and_saveexec_b64 s[6:7], s[0:1]
	s_cbranch_execz .LBB9_299
; %bb.297:
	v_mov_b32_e32 v8, 0
	global_load_dwordx2 v[6:7], v8, s[42:43] offset:40
	global_load_dwordx2 v[10:11], v8, s[42:43] offset:24 sc0 sc1
	global_load_dwordx2 v[12:13], v8, s[42:43]
	s_mov_b64 s[0:1], 0
	s_waitcnt vmcnt(2)
	v_lshl_add_u64 v[2:3], v[6:7], 0, 1
	v_lshl_add_u64 v[14:15], v[2:3], 0, s[4:5]
	v_cmp_eq_u64_e32 vcc, 0, v[14:15]
	s_waitcnt vmcnt(1)
	v_mov_b32_e32 v4, v10
	v_cndmask_b32_e32 v3, v15, v3, vcc
	v_cndmask_b32_e32 v2, v14, v2, vcc
	v_and_b32_e32 v5, v3, v7
	v_and_b32_e32 v6, v2, v6
	v_mul_lo_u32 v5, v5, 24
	v_mul_hi_u32 v7, v6, 24
	v_mul_lo_u32 v6, v6, 24
	v_add_u32_e32 v7, v7, v5
	s_waitcnt vmcnt(0)
	v_lshl_add_u64 v[6:7], v[12:13], 0, v[6:7]
	global_store_dwordx2 v[6:7], v[10:11], off
	v_mov_b32_e32 v5, v11
	buffer_wbl2 sc0 sc1
	s_waitcnt vmcnt(0)
	global_atomic_cmpswap_x2 v[4:5], v8, v[2:5], s[42:43] offset:24 sc0 sc1
	s_waitcnt vmcnt(0)
	v_cmp_ne_u64_e32 vcc, v[4:5], v[10:11]
	s_and_b64 exec, exec, vcc
	s_cbranch_execz .LBB9_299
.LBB9_298:                              ; =>This Inner Loop Header: Depth=1
	s_sleep 1
	global_store_dwordx2 v[6:7], v[4:5], off
	buffer_wbl2 sc0 sc1
	s_waitcnt vmcnt(0)
	global_atomic_cmpswap_x2 v[10:11], v8, v[2:5], s[42:43] offset:24 sc0 sc1
	s_waitcnt vmcnt(0)
	v_cmp_eq_u64_e32 vcc, v[10:11], v[4:5]
	s_or_b64 s[0:1], vcc, s[0:1]
	v_mov_b64_e32 v[4:5], v[10:11]
	s_andn2_b64 exec, exec, s[0:1]
	s_cbranch_execnz .LBB9_298
.LBB9_299:
	s_or_b64 exec, exec, s[6:7]
	s_getpc_b64 s[4:5]
	s_add_u32 s4, s4, .str.6@rel32@lo+4
	s_addc_u32 s5, s5, .str.6@rel32@hi+12
	s_cmp_lg_u64 s[4:5], 0
	s_cselect_b64 s[44:45], -1, 0
	s_and_b64 vcc, exec, s[44:45]
	s_cbranch_vccz .LBB9_384
; %bb.300:
	s_waitcnt vmcnt(0)
	v_and_b32_e32 v28, 2, v0
	v_mov_b32_e32 v31, 0
	v_and_b32_e32 v2, -3, v0
	v_mov_b32_e32 v3, v1
	s_mov_b64 s[6:7], 3
	v_mov_b32_e32 v6, 2
	v_mov_b32_e32 v7, 1
	s_branch .LBB9_302
.LBB9_301:                              ;   in Loop: Header=BB9_302 Depth=1
	s_or_b64 exec, exec, s[18:19]
	s_sub_u32 s6, s6, s10
	s_subb_u32 s7, s7, s11
	s_add_u32 s4, s4, s10
	s_addc_u32 s5, s5, s11
	s_cmp_lg_u64 s[6:7], 0
	s_cbranch_scc0 .LBB9_383
.LBB9_302:                              ; =>This Loop Header: Depth=1
                                        ;     Child Loop BB9_305 Depth 2
                                        ;     Child Loop BB9_312 Depth 2
	;; [unrolled: 1-line block ×11, first 2 shown]
	v_cmp_lt_u64_e64 s[0:1], s[6:7], 56
	s_and_b64 s[0:1], s[0:1], exec
	v_cmp_gt_u64_e64 s[0:1], s[6:7], 7
	s_cselect_b32 s11, s7, 0
	s_cselect_b32 s10, s6, 56
	s_and_b64 vcc, exec, s[0:1]
	s_cbranch_vccnz .LBB9_307
; %bb.303:                              ;   in Loop: Header=BB9_302 Depth=1
	s_mov_b64 s[0:1], 0
	s_cmp_eq_u64 s[6:7], 0
	v_mov_b64_e32 v[10:11], 0
	s_cbranch_scc1 .LBB9_306
; %bb.304:                              ;   in Loop: Header=BB9_302 Depth=1
	s_lshl_b64 s[16:17], s[10:11], 3
	s_mov_b64 s[18:19], 0
	v_mov_b64_e32 v[10:11], 0
	s_mov_b64 s[20:21], s[4:5]
.LBB9_305:                              ;   Parent Loop BB9_302 Depth=1
                                        ; =>  This Inner Loop Header: Depth=2
	global_load_ubyte v4, v31, s[20:21]
	s_waitcnt vmcnt(0)
	v_and_b32_e32 v30, 0xffff, v4
	v_lshlrev_b64 v[4:5], s18, v[30:31]
	s_add_u32 s18, s18, 8
	s_addc_u32 s19, s19, 0
	s_add_u32 s20, s20, 1
	s_addc_u32 s21, s21, 0
	v_or_b32_e32 v10, v4, v10
	s_cmp_lg_u32 s16, s18
	v_or_b32_e32 v11, v5, v11
	s_cbranch_scc1 .LBB9_305
.LBB9_306:                              ;   in Loop: Header=BB9_302 Depth=1
	s_mov_b32 s15, 0
	s_andn2_b64 vcc, exec, s[0:1]
	s_mov_b64 s[0:1], s[4:5]
	s_cbranch_vccz .LBB9_308
	s_branch .LBB9_309
.LBB9_307:                              ;   in Loop: Header=BB9_302 Depth=1
                                        ; implicit-def: $vgpr10_vgpr11
                                        ; implicit-def: $sgpr15
	s_mov_b64 s[0:1], s[4:5]
.LBB9_308:                              ;   in Loop: Header=BB9_302 Depth=1
	global_load_dwordx2 v[10:11], v31, s[4:5]
	s_add_i32 s15, s10, -8
	s_add_u32 s0, s4, 8
	s_addc_u32 s1, s5, 0
.LBB9_309:                              ;   in Loop: Header=BB9_302 Depth=1
	s_cmp_gt_u32 s15, 7
	s_cbranch_scc1 .LBB9_313
; %bb.310:                              ;   in Loop: Header=BB9_302 Depth=1
	s_cmp_eq_u32 s15, 0
	s_cbranch_scc1 .LBB9_314
; %bb.311:                              ;   in Loop: Header=BB9_302 Depth=1
	s_mov_b64 s[16:17], 0
	v_mov_b64_e32 v[12:13], 0
	s_mov_b64 s[18:19], 0
.LBB9_312:                              ;   Parent Loop BB9_302 Depth=1
                                        ; =>  This Inner Loop Header: Depth=2
	s_add_u32 s20, s0, s18
	s_addc_u32 s21, s1, s19
	global_load_ubyte v4, v31, s[20:21]
	s_add_u32 s18, s18, 1
	s_addc_u32 s19, s19, 0
	s_waitcnt vmcnt(0)
	v_and_b32_e32 v30, 0xffff, v4
	v_lshlrev_b64 v[4:5], s16, v[30:31]
	s_add_u32 s16, s16, 8
	s_addc_u32 s17, s17, 0
	v_or_b32_e32 v12, v4, v12
	s_cmp_lg_u32 s15, s18
	v_or_b32_e32 v13, v5, v13
	s_cbranch_scc1 .LBB9_312
	s_branch .LBB9_315
.LBB9_313:                              ;   in Loop: Header=BB9_302 Depth=1
                                        ; implicit-def: $vgpr12_vgpr13
                                        ; implicit-def: $sgpr20
	s_branch .LBB9_316
.LBB9_314:                              ;   in Loop: Header=BB9_302 Depth=1
	v_mov_b64_e32 v[12:13], 0
.LBB9_315:                              ;   in Loop: Header=BB9_302 Depth=1
	s_mov_b32 s20, 0
	s_cbranch_execnz .LBB9_317
.LBB9_316:                              ;   in Loop: Header=BB9_302 Depth=1
	global_load_dwordx2 v[12:13], v31, s[0:1]
	s_add_i32 s20, s15, -8
	s_add_u32 s0, s0, 8
	s_addc_u32 s1, s1, 0
.LBB9_317:                              ;   in Loop: Header=BB9_302 Depth=1
	s_cmp_gt_u32 s20, 7
	s_cbranch_scc1 .LBB9_321
; %bb.318:                              ;   in Loop: Header=BB9_302 Depth=1
	s_cmp_eq_u32 s20, 0
	s_cbranch_scc1 .LBB9_322
; %bb.319:                              ;   in Loop: Header=BB9_302 Depth=1
	s_mov_b64 s[16:17], 0
	v_mov_b64_e32 v[14:15], 0
	s_mov_b64 s[18:19], 0
.LBB9_320:                              ;   Parent Loop BB9_302 Depth=1
                                        ; =>  This Inner Loop Header: Depth=2
	s_add_u32 s22, s0, s18
	s_addc_u32 s23, s1, s19
	global_load_ubyte v4, v31, s[22:23]
	s_add_u32 s18, s18, 1
	s_addc_u32 s19, s19, 0
	s_waitcnt vmcnt(0)
	v_and_b32_e32 v30, 0xffff, v4
	v_lshlrev_b64 v[4:5], s16, v[30:31]
	s_add_u32 s16, s16, 8
	s_addc_u32 s17, s17, 0
	v_or_b32_e32 v14, v4, v14
	s_cmp_lg_u32 s20, s18
	v_or_b32_e32 v15, v5, v15
	s_cbranch_scc1 .LBB9_320
	s_branch .LBB9_323
.LBB9_321:                              ;   in Loop: Header=BB9_302 Depth=1
                                        ; implicit-def: $sgpr15
	s_branch .LBB9_324
.LBB9_322:                              ;   in Loop: Header=BB9_302 Depth=1
	v_mov_b64_e32 v[14:15], 0
.LBB9_323:                              ;   in Loop: Header=BB9_302 Depth=1
	s_mov_b32 s15, 0
	s_cbranch_execnz .LBB9_325
.LBB9_324:                              ;   in Loop: Header=BB9_302 Depth=1
	global_load_dwordx2 v[14:15], v31, s[0:1]
	s_add_i32 s15, s20, -8
	s_add_u32 s0, s0, 8
	s_addc_u32 s1, s1, 0
.LBB9_325:                              ;   in Loop: Header=BB9_302 Depth=1
	s_cmp_gt_u32 s15, 7
	s_cbranch_scc1 .LBB9_329
; %bb.326:                              ;   in Loop: Header=BB9_302 Depth=1
	s_cmp_eq_u32 s15, 0
	s_cbranch_scc1 .LBB9_330
; %bb.327:                              ;   in Loop: Header=BB9_302 Depth=1
	s_mov_b64 s[16:17], 0
	v_mov_b64_e32 v[16:17], 0
	s_mov_b64 s[18:19], 0
.LBB9_328:                              ;   Parent Loop BB9_302 Depth=1
                                        ; =>  This Inner Loop Header: Depth=2
	s_add_u32 s20, s0, s18
	s_addc_u32 s21, s1, s19
	global_load_ubyte v4, v31, s[20:21]
	s_add_u32 s18, s18, 1
	s_addc_u32 s19, s19, 0
	s_waitcnt vmcnt(0)
	v_and_b32_e32 v30, 0xffff, v4
	v_lshlrev_b64 v[4:5], s16, v[30:31]
	s_add_u32 s16, s16, 8
	s_addc_u32 s17, s17, 0
	v_or_b32_e32 v16, v4, v16
	s_cmp_lg_u32 s15, s18
	v_or_b32_e32 v17, v5, v17
	s_cbranch_scc1 .LBB9_328
	s_branch .LBB9_331
.LBB9_329:                              ;   in Loop: Header=BB9_302 Depth=1
                                        ; implicit-def: $vgpr16_vgpr17
                                        ; implicit-def: $sgpr20
	s_branch .LBB9_332
.LBB9_330:                              ;   in Loop: Header=BB9_302 Depth=1
	v_mov_b64_e32 v[16:17], 0
.LBB9_331:                              ;   in Loop: Header=BB9_302 Depth=1
	s_mov_b32 s20, 0
	s_cbranch_execnz .LBB9_333
.LBB9_332:                              ;   in Loop: Header=BB9_302 Depth=1
	global_load_dwordx2 v[16:17], v31, s[0:1]
	s_add_i32 s20, s15, -8
	s_add_u32 s0, s0, 8
	s_addc_u32 s1, s1, 0
.LBB9_333:                              ;   in Loop: Header=BB9_302 Depth=1
	s_cmp_gt_u32 s20, 7
	s_cbranch_scc1 .LBB9_337
; %bb.334:                              ;   in Loop: Header=BB9_302 Depth=1
	s_cmp_eq_u32 s20, 0
	s_cbranch_scc1 .LBB9_338
; %bb.335:                              ;   in Loop: Header=BB9_302 Depth=1
	s_mov_b64 s[16:17], 0
	v_mov_b64_e32 v[18:19], 0
	s_mov_b64 s[18:19], 0
.LBB9_336:                              ;   Parent Loop BB9_302 Depth=1
                                        ; =>  This Inner Loop Header: Depth=2
	s_add_u32 s22, s0, s18
	s_addc_u32 s23, s1, s19
	global_load_ubyte v4, v31, s[22:23]
	s_add_u32 s18, s18, 1
	s_addc_u32 s19, s19, 0
	s_waitcnt vmcnt(0)
	v_and_b32_e32 v30, 0xffff, v4
	v_lshlrev_b64 v[4:5], s16, v[30:31]
	s_add_u32 s16, s16, 8
	s_addc_u32 s17, s17, 0
	v_or_b32_e32 v18, v4, v18
	s_cmp_lg_u32 s20, s18
	v_or_b32_e32 v19, v5, v19
	s_cbranch_scc1 .LBB9_336
	s_branch .LBB9_339
.LBB9_337:                              ;   in Loop: Header=BB9_302 Depth=1
                                        ; implicit-def: $sgpr15
	s_branch .LBB9_340
.LBB9_338:                              ;   in Loop: Header=BB9_302 Depth=1
	v_mov_b64_e32 v[18:19], 0
.LBB9_339:                              ;   in Loop: Header=BB9_302 Depth=1
	s_mov_b32 s15, 0
	s_cbranch_execnz .LBB9_341
.LBB9_340:                              ;   in Loop: Header=BB9_302 Depth=1
	global_load_dwordx2 v[18:19], v31, s[0:1]
	s_add_i32 s15, s20, -8
	s_add_u32 s0, s0, 8
	s_addc_u32 s1, s1, 0
.LBB9_341:                              ;   in Loop: Header=BB9_302 Depth=1
	s_cmp_gt_u32 s15, 7
	s_cbranch_scc1 .LBB9_345
; %bb.342:                              ;   in Loop: Header=BB9_302 Depth=1
	s_cmp_eq_u32 s15, 0
	s_cbranch_scc1 .LBB9_346
; %bb.343:                              ;   in Loop: Header=BB9_302 Depth=1
	s_mov_b64 s[16:17], 0
	v_mov_b64_e32 v[20:21], 0
	s_mov_b64 s[18:19], 0
.LBB9_344:                              ;   Parent Loop BB9_302 Depth=1
                                        ; =>  This Inner Loop Header: Depth=2
	s_add_u32 s20, s0, s18
	s_addc_u32 s21, s1, s19
	global_load_ubyte v4, v31, s[20:21]
	s_add_u32 s18, s18, 1
	s_addc_u32 s19, s19, 0
	s_waitcnt vmcnt(0)
	v_and_b32_e32 v30, 0xffff, v4
	v_lshlrev_b64 v[4:5], s16, v[30:31]
	s_add_u32 s16, s16, 8
	s_addc_u32 s17, s17, 0
	v_or_b32_e32 v20, v4, v20
	s_cmp_lg_u32 s15, s18
	v_or_b32_e32 v21, v5, v21
	s_cbranch_scc1 .LBB9_344
	s_branch .LBB9_347
.LBB9_345:                              ;   in Loop: Header=BB9_302 Depth=1
                                        ; implicit-def: $vgpr20_vgpr21
                                        ; implicit-def: $sgpr20
	s_branch .LBB9_348
.LBB9_346:                              ;   in Loop: Header=BB9_302 Depth=1
	v_mov_b64_e32 v[20:21], 0
.LBB9_347:                              ;   in Loop: Header=BB9_302 Depth=1
	s_mov_b32 s20, 0
	s_cbranch_execnz .LBB9_349
.LBB9_348:                              ;   in Loop: Header=BB9_302 Depth=1
	global_load_dwordx2 v[20:21], v31, s[0:1]
	s_add_i32 s20, s15, -8
	s_add_u32 s0, s0, 8
	s_addc_u32 s1, s1, 0
.LBB9_349:                              ;   in Loop: Header=BB9_302 Depth=1
	s_cmp_gt_u32 s20, 7
	s_cbranch_scc1 .LBB9_353
; %bb.350:                              ;   in Loop: Header=BB9_302 Depth=1
	s_cmp_eq_u32 s20, 0
	s_cbranch_scc1 .LBB9_354
; %bb.351:                              ;   in Loop: Header=BB9_302 Depth=1
	s_mov_b64 s[16:17], 0
	v_mov_b64_e32 v[22:23], 0
	s_mov_b64 s[18:19], s[0:1]
.LBB9_352:                              ;   Parent Loop BB9_302 Depth=1
                                        ; =>  This Inner Loop Header: Depth=2
	global_load_ubyte v4, v31, s[18:19]
	s_add_i32 s20, s20, -1
	s_waitcnt vmcnt(0)
	v_and_b32_e32 v30, 0xffff, v4
	v_lshlrev_b64 v[4:5], s16, v[30:31]
	s_add_u32 s16, s16, 8
	s_addc_u32 s17, s17, 0
	s_add_u32 s18, s18, 1
	s_addc_u32 s19, s19, 0
	v_or_b32_e32 v22, v4, v22
	s_cmp_lg_u32 s20, 0
	v_or_b32_e32 v23, v5, v23
	s_cbranch_scc1 .LBB9_352
	s_branch .LBB9_355
.LBB9_353:                              ;   in Loop: Header=BB9_302 Depth=1
	s_branch .LBB9_356
.LBB9_354:                              ;   in Loop: Header=BB9_302 Depth=1
	v_mov_b64_e32 v[22:23], 0
.LBB9_355:                              ;   in Loop: Header=BB9_302 Depth=1
	s_cbranch_execnz .LBB9_357
.LBB9_356:                              ;   in Loop: Header=BB9_302 Depth=1
	global_load_dwordx2 v[22:23], v31, s[0:1]
.LBB9_357:                              ;   in Loop: Header=BB9_302 Depth=1
	v_readfirstlane_b32 s0, v47
	s_waitcnt vmcnt(0)
	v_mov_b64_e32 v[4:5], 0
	v_cmp_eq_u32_e64 s[0:1], s0, v47
	s_and_saveexec_b64 s[16:17], s[0:1]
	s_cbranch_execz .LBB9_363
; %bb.358:                              ;   in Loop: Header=BB9_302 Depth=1
	global_load_dwordx2 v[26:27], v31, s[42:43] offset:24 sc0 sc1
	s_waitcnt vmcnt(0)
	buffer_inv sc0 sc1
	global_load_dwordx2 v[4:5], v31, s[42:43] offset:40
	global_load_dwordx2 v[8:9], v31, s[42:43]
	s_waitcnt vmcnt(1)
	v_and_b32_e32 v4, v4, v26
	v_and_b32_e32 v5, v5, v27
	v_mul_lo_u32 v5, v5, 24
	v_mul_hi_u32 v24, v4, 24
	v_add_u32_e32 v5, v24, v5
	v_mul_lo_u32 v4, v4, 24
	s_waitcnt vmcnt(0)
	v_lshl_add_u64 v[4:5], v[8:9], 0, v[4:5]
	global_load_dwordx2 v[24:25], v[4:5], off sc0 sc1
	s_waitcnt vmcnt(0)
	global_atomic_cmpswap_x2 v[4:5], v31, v[24:27], s[42:43] offset:24 sc0 sc1
	s_waitcnt vmcnt(0)
	buffer_inv sc0 sc1
	v_cmp_ne_u64_e32 vcc, v[4:5], v[26:27]
	s_and_saveexec_b64 s[18:19], vcc
	s_cbranch_execz .LBB9_362
; %bb.359:                              ;   in Loop: Header=BB9_302 Depth=1
	s_mov_b64 s[20:21], 0
.LBB9_360:                              ;   Parent Loop BB9_302 Depth=1
                                        ; =>  This Inner Loop Header: Depth=2
	s_sleep 1
	global_load_dwordx2 v[8:9], v31, s[42:43] offset:40
	global_load_dwordx2 v[24:25], v31, s[42:43]
	v_mov_b64_e32 v[26:27], v[4:5]
	s_waitcnt vmcnt(1)
	v_and_b32_e32 v4, v8, v26
	s_waitcnt vmcnt(0)
	v_mad_u64_u32 v[4:5], s[22:23], v4, 24, v[24:25]
	v_and_b32_e32 v9, v9, v27
	v_mov_b32_e32 v8, v5
	v_mad_u64_u32 v[8:9], s[22:23], v9, 24, v[8:9]
	v_mov_b32_e32 v5, v8
	global_load_dwordx2 v[24:25], v[4:5], off sc0 sc1
	s_waitcnt vmcnt(0)
	global_atomic_cmpswap_x2 v[4:5], v31, v[24:27], s[42:43] offset:24 sc0 sc1
	s_waitcnt vmcnt(0)
	buffer_inv sc0 sc1
	v_cmp_eq_u64_e32 vcc, v[4:5], v[26:27]
	s_or_b64 s[20:21], vcc, s[20:21]
	s_andn2_b64 exec, exec, s[20:21]
	s_cbranch_execnz .LBB9_360
; %bb.361:                              ;   in Loop: Header=BB9_302 Depth=1
	s_or_b64 exec, exec, s[20:21]
.LBB9_362:                              ;   in Loop: Header=BB9_302 Depth=1
	s_or_b64 exec, exec, s[18:19]
.LBB9_363:                              ;   in Loop: Header=BB9_302 Depth=1
	s_or_b64 exec, exec, s[16:17]
	global_load_dwordx2 v[8:9], v31, s[42:43] offset:40
	global_load_dwordx4 v[24:27], v31, s[42:43]
	v_readfirstlane_b32 s16, v4
	v_readfirstlane_b32 s17, v5
	s_mov_b64 s[18:19], exec
	s_waitcnt vmcnt(1)
	v_readfirstlane_b32 s20, v8
	v_readfirstlane_b32 s21, v9
	s_and_b64 s[20:21], s[16:17], s[20:21]
	s_mul_i32 s15, s21, 24
	s_mul_hi_u32 s22, s20, 24
	s_add_i32 s23, s22, s15
	s_mul_i32 s22, s20, 24
	s_waitcnt vmcnt(0)
	v_lshl_add_u64 v[32:33], v[24:25], 0, s[22:23]
	s_and_saveexec_b64 s[22:23], s[0:1]
	s_cbranch_execz .LBB9_365
; %bb.364:                              ;   in Loop: Header=BB9_302 Depth=1
	v_mov_b64_e32 v[4:5], s[18:19]
	global_store_dwordx4 v[32:33], v[4:7], off offset:8
.LBB9_365:                              ;   in Loop: Header=BB9_302 Depth=1
	s_or_b64 exec, exec, s[22:23]
	s_nop 0
	v_or_b32_e32 v5, v2, v28
	v_cmp_gt_u64_e64 vcc, s[6:7], 56
	s_lshl_b32 s15, s10, 2
	s_lshl_b64 s[18:19], s[20:21], 12
	v_cndmask_b32_e32 v2, v5, v2, vcc
	s_add_i32 s15, s15, 28
	v_lshl_add_u64 v[26:27], v[26:27], 0, s[18:19]
	v_or_b32_e32 v4, 0, v3
	s_and_b32 s15, s15, 0x1e0
	v_and_b32_e32 v2, 0xffffff1f, v2
	v_cndmask_b32_e32 v9, v4, v3, vcc
	v_or_b32_e32 v8, s15, v2
	v_readfirstlane_b32 s18, v26
	v_readfirstlane_b32 s19, v27
	s_nop 4
	global_store_dwordx4 v36, v[8:11], s[18:19]
	global_store_dwordx4 v36, v[12:15], s[18:19] offset:16
	global_store_dwordx4 v36, v[16:19], s[18:19] offset:32
	;; [unrolled: 1-line block ×3, first 2 shown]
	s_and_saveexec_b64 s[18:19], s[0:1]
	s_cbranch_execz .LBB9_373
; %bb.366:                              ;   in Loop: Header=BB9_302 Depth=1
	global_load_dwordx2 v[12:13], v31, s[42:43] offset:32 sc0 sc1
	global_load_dwordx2 v[2:3], v31, s[42:43] offset:40
	v_mov_b32_e32 v10, s16
	v_mov_b32_e32 v11, s17
	s_waitcnt vmcnt(0)
	v_readfirstlane_b32 s20, v2
	v_readfirstlane_b32 s21, v3
	s_and_b64 s[20:21], s[20:21], s[16:17]
	s_mul_i32 s15, s21, 24
	s_mul_hi_u32 s21, s20, 24
	s_mul_i32 s20, s20, 24
	s_add_i32 s21, s21, s15
	v_lshl_add_u64 v[8:9], v[24:25], 0, s[20:21]
	global_store_dwordx2 v[8:9], v[12:13], off
	buffer_wbl2 sc0 sc1
	s_waitcnt vmcnt(0)
	global_atomic_cmpswap_x2 v[4:5], v31, v[10:13], s[42:43] offset:32 sc0 sc1
	s_waitcnt vmcnt(0)
	v_cmp_ne_u64_e32 vcc, v[4:5], v[12:13]
	s_and_saveexec_b64 s[20:21], vcc
	s_cbranch_execz .LBB9_369
; %bb.367:                              ;   in Loop: Header=BB9_302 Depth=1
	s_mov_b64 s[22:23], 0
.LBB9_368:                              ;   Parent Loop BB9_302 Depth=1
                                        ; =>  This Inner Loop Header: Depth=2
	s_sleep 1
	global_store_dwordx2 v[8:9], v[4:5], off
	v_mov_b32_e32 v2, s16
	v_mov_b32_e32 v3, s17
	buffer_wbl2 sc0 sc1
	s_waitcnt vmcnt(0)
	global_atomic_cmpswap_x2 v[2:3], v31, v[2:5], s[42:43] offset:32 sc0 sc1
	s_waitcnt vmcnt(0)
	v_cmp_eq_u64_e32 vcc, v[2:3], v[4:5]
	s_or_b64 s[22:23], vcc, s[22:23]
	v_mov_b64_e32 v[4:5], v[2:3]
	s_andn2_b64 exec, exec, s[22:23]
	s_cbranch_execnz .LBB9_368
.LBB9_369:                              ;   in Loop: Header=BB9_302 Depth=1
	s_or_b64 exec, exec, s[20:21]
	global_load_dwordx2 v[2:3], v31, s[42:43] offset:16
	s_mov_b64 s[22:23], exec
	v_mbcnt_lo_u32_b32 v4, s22, 0
	v_mbcnt_hi_u32_b32 v4, s23, v4
	v_cmp_eq_u32_e32 vcc, 0, v4
	s_and_saveexec_b64 s[20:21], vcc
	s_cbranch_execz .LBB9_371
; %bb.370:                              ;   in Loop: Header=BB9_302 Depth=1
	s_bcnt1_i32_b64 s15, s[22:23]
	v_mov_b32_e32 v30, s15
	buffer_wbl2 sc0 sc1
	s_waitcnt vmcnt(0)
	global_atomic_add_x2 v[2:3], v[30:31], off offset:8 sc1
.LBB9_371:                              ;   in Loop: Header=BB9_302 Depth=1
	s_or_b64 exec, exec, s[20:21]
	s_waitcnt vmcnt(0)
	global_load_dwordx2 v[4:5], v[2:3], off offset:16
	s_waitcnt vmcnt(0)
	v_cmp_eq_u64_e32 vcc, 0, v[4:5]
	s_cbranch_vccnz .LBB9_373
; %bb.372:                              ;   in Loop: Header=BB9_302 Depth=1
	global_load_dword v30, v[2:3], off offset:24
	s_waitcnt vmcnt(0)
	v_and_b32_e32 v2, 0xffffff, v30
	s_nop 0
	v_readfirstlane_b32 m0, v2
	buffer_wbl2 sc0 sc1
	global_store_dwordx2 v[4:5], v[30:31], off sc0 sc1
	s_sendmsg sendmsg(MSG_INTERRUPT)
.LBB9_373:                              ;   in Loop: Header=BB9_302 Depth=1
	s_or_b64 exec, exec, s[18:19]
	v_mov_b32_e32 v37, v31
	v_lshl_add_u64 v[2:3], v[26:27], 0, v[36:37]
	s_branch .LBB9_377
.LBB9_374:                              ;   in Loop: Header=BB9_377 Depth=2
	s_or_b64 exec, exec, s[18:19]
	v_readfirstlane_b32 s15, v4
	s_cmp_eq_u32 s15, 0
	s_cbranch_scc1 .LBB9_376
; %bb.375:                              ;   in Loop: Header=BB9_377 Depth=2
	s_sleep 1
	s_cbranch_execnz .LBB9_377
	s_branch .LBB9_379
.LBB9_376:                              ;   in Loop: Header=BB9_302 Depth=1
	s_branch .LBB9_379
.LBB9_377:                              ;   Parent Loop BB9_302 Depth=1
                                        ; =>  This Inner Loop Header: Depth=2
	v_mov_b32_e32 v4, 1
	s_and_saveexec_b64 s[18:19], s[0:1]
	s_cbranch_execz .LBB9_374
; %bb.378:                              ;   in Loop: Header=BB9_377 Depth=2
	global_load_dword v4, v[32:33], off offset:20 sc0 sc1
	s_waitcnt vmcnt(0)
	buffer_inv sc0 sc1
	v_and_b32_e32 v4, 1, v4
	s_branch .LBB9_374
.LBB9_379:                              ;   in Loop: Header=BB9_302 Depth=1
	global_load_dwordx4 v[2:5], v[2:3], off
	s_and_saveexec_b64 s[18:19], s[0:1]
	s_cbranch_execz .LBB9_301
; %bb.380:                              ;   in Loop: Header=BB9_302 Depth=1
	global_load_dwordx2 v[4:5], v31, s[42:43] offset:40
	global_load_dwordx2 v[12:13], v31, s[42:43] offset:24 sc0 sc1
	global_load_dwordx2 v[14:15], v31, s[42:43]
	s_waitcnt vmcnt(2)
	v_lshl_add_u64 v[8:9], v[4:5], 0, 1
	v_lshl_add_u64 v[16:17], v[8:9], 0, s[16:17]
	v_cmp_eq_u64_e32 vcc, 0, v[16:17]
	s_waitcnt vmcnt(1)
	v_mov_b32_e32 v10, v12
	v_cndmask_b32_e32 v9, v17, v9, vcc
	v_cndmask_b32_e32 v8, v16, v8, vcc
	v_and_b32_e32 v5, v9, v5
	v_and_b32_e32 v4, v8, v4
	v_mul_lo_u32 v5, v5, 24
	v_mul_hi_u32 v11, v4, 24
	v_mul_lo_u32 v4, v4, 24
	v_add_u32_e32 v5, v11, v5
	s_waitcnt vmcnt(0)
	v_lshl_add_u64 v[4:5], v[14:15], 0, v[4:5]
	global_store_dwordx2 v[4:5], v[12:13], off
	v_mov_b32_e32 v11, v13
	buffer_wbl2 sc0 sc1
	s_waitcnt vmcnt(0)
	global_atomic_cmpswap_x2 v[10:11], v31, v[8:11], s[42:43] offset:24 sc0 sc1
	s_waitcnt vmcnt(0)
	v_cmp_ne_u64_e32 vcc, v[10:11], v[12:13]
	s_and_b64 exec, exec, vcc
	s_cbranch_execz .LBB9_301
; %bb.381:                              ;   in Loop: Header=BB9_302 Depth=1
	s_mov_b64 s[0:1], 0
.LBB9_382:                              ;   Parent Loop BB9_302 Depth=1
                                        ; =>  This Inner Loop Header: Depth=2
	s_sleep 1
	global_store_dwordx2 v[4:5], v[10:11], off
	buffer_wbl2 sc0 sc1
	s_waitcnt vmcnt(0)
	global_atomic_cmpswap_x2 v[12:13], v31, v[8:11], s[42:43] offset:24 sc0 sc1
	s_waitcnt vmcnt(0)
	v_cmp_eq_u64_e32 vcc, v[12:13], v[10:11]
	s_or_b64 s[0:1], vcc, s[0:1]
	v_mov_b64_e32 v[10:11], v[12:13]
	s_andn2_b64 exec, exec, s[0:1]
	s_cbranch_execnz .LBB9_382
	s_branch .LBB9_301
.LBB9_383:
	s_branch .LBB9_411
.LBB9_384:
                                        ; implicit-def: $vgpr2_vgpr3
	s_cbranch_execz .LBB9_411
; %bb.385:
	v_readfirstlane_b32 s0, v47
	s_waitcnt vmcnt(0)
	v_mov_b64_e32 v[2:3], 0
	v_cmp_eq_u32_e64 s[0:1], s0, v47
	s_and_saveexec_b64 s[4:5], s[0:1]
	s_cbranch_execz .LBB9_391
; %bb.386:
	v_mov_b32_e32 v4, 0
	global_load_dwordx2 v[8:9], v4, s[42:43] offset:24 sc0 sc1
	s_waitcnt vmcnt(0)
	buffer_inv sc0 sc1
	global_load_dwordx2 v[2:3], v4, s[42:43] offset:40
	global_load_dwordx2 v[6:7], v4, s[42:43]
	s_waitcnt vmcnt(1)
	v_and_b32_e32 v2, v2, v8
	v_and_b32_e32 v3, v3, v9
	v_mul_lo_u32 v3, v3, 24
	v_mul_hi_u32 v5, v2, 24
	v_add_u32_e32 v3, v5, v3
	v_mul_lo_u32 v2, v2, 24
	s_waitcnt vmcnt(0)
	v_lshl_add_u64 v[2:3], v[6:7], 0, v[2:3]
	global_load_dwordx2 v[6:7], v[2:3], off sc0 sc1
	s_waitcnt vmcnt(0)
	global_atomic_cmpswap_x2 v[2:3], v4, v[6:9], s[42:43] offset:24 sc0 sc1
	s_waitcnt vmcnt(0)
	buffer_inv sc0 sc1
	v_cmp_ne_u64_e32 vcc, v[2:3], v[8:9]
	s_and_saveexec_b64 s[6:7], vcc
	s_cbranch_execz .LBB9_390
; %bb.387:
	s_mov_b64 s[10:11], 0
.LBB9_388:                              ; =>This Inner Loop Header: Depth=1
	s_sleep 1
	global_load_dwordx2 v[6:7], v4, s[42:43] offset:40
	global_load_dwordx2 v[10:11], v4, s[42:43]
	v_mov_b64_e32 v[8:9], v[2:3]
	s_waitcnt vmcnt(1)
	v_and_b32_e32 v2, v6, v8
	s_waitcnt vmcnt(0)
	v_mad_u64_u32 v[2:3], s[16:17], v2, 24, v[10:11]
	v_and_b32_e32 v5, v7, v9
	v_mov_b32_e32 v6, v3
	v_mad_u64_u32 v[6:7], s[16:17], v5, 24, v[6:7]
	v_mov_b32_e32 v3, v6
	global_load_dwordx2 v[6:7], v[2:3], off sc0 sc1
	s_waitcnt vmcnt(0)
	global_atomic_cmpswap_x2 v[2:3], v4, v[6:9], s[42:43] offset:24 sc0 sc1
	s_waitcnt vmcnt(0)
	buffer_inv sc0 sc1
	v_cmp_eq_u64_e32 vcc, v[2:3], v[8:9]
	s_or_b64 s[10:11], vcc, s[10:11]
	s_andn2_b64 exec, exec, s[10:11]
	s_cbranch_execnz .LBB9_388
; %bb.389:
	s_or_b64 exec, exec, s[10:11]
.LBB9_390:
	s_or_b64 exec, exec, s[6:7]
.LBB9_391:
	s_or_b64 exec, exec, s[4:5]
	v_mov_b32_e32 v37, 0
	global_load_dwordx2 v[8:9], v37, s[42:43] offset:40
	global_load_dwordx4 v[4:7], v37, s[42:43]
	v_readfirstlane_b32 s4, v2
	v_readfirstlane_b32 s5, v3
	s_mov_b64 s[6:7], exec
	s_waitcnt vmcnt(1)
	v_readfirstlane_b32 s10, v8
	v_readfirstlane_b32 s11, v9
	s_and_b64 s[10:11], s[4:5], s[10:11]
	s_mul_i32 s15, s11, 24
	s_mul_hi_u32 s16, s10, 24
	s_add_i32 s17, s16, s15
	s_mul_i32 s16, s10, 24
	s_waitcnt vmcnt(0)
	v_lshl_add_u64 v[8:9], v[4:5], 0, s[16:17]
	s_and_saveexec_b64 s[16:17], s[0:1]
	s_cbranch_execz .LBB9_393
; %bb.392:
	v_mov_b64_e32 v[10:11], s[6:7]
	v_mov_b32_e32 v12, 2
	v_mov_b32_e32 v13, 1
	global_store_dwordx4 v[8:9], v[10:13], off offset:8
.LBB9_393:
	s_or_b64 exec, exec, s[16:17]
	s_lshl_b64 s[6:7], s[10:11], 12
	v_lshl_add_u64 v[6:7], v[6:7], 0, s[6:7]
	s_movk_i32 s6, 0xff1f
	s_mov_b32 s16, 0
	v_and_or_b32 v0, v0, s6, 32
	v_mov_b32_e32 v2, v37
	v_mov_b32_e32 v3, v37
	v_readfirstlane_b32 s6, v6
	v_readfirstlane_b32 s7, v7
	s_mov_b32 s17, s16
	s_mov_b32 s18, s16
	;; [unrolled: 1-line block ×3, first 2 shown]
	s_nop 1
	global_store_dwordx4 v36, v[0:3], s[6:7]
	s_nop 1
	v_mov_b64_e32 v[0:1], s[16:17]
	v_mov_b64_e32 v[2:3], s[18:19]
	global_store_dwordx4 v36, v[0:3], s[6:7] offset:16
	global_store_dwordx4 v36, v[0:3], s[6:7] offset:32
	;; [unrolled: 1-line block ×3, first 2 shown]
	s_and_saveexec_b64 s[6:7], s[0:1]
	s_cbranch_execz .LBB9_401
; %bb.394:
	v_mov_b32_e32 v10, 0
	global_load_dwordx2 v[14:15], v10, s[42:43] offset:32 sc0 sc1
	global_load_dwordx2 v[0:1], v10, s[42:43] offset:40
	v_mov_b32_e32 v12, s4
	v_mov_b32_e32 v13, s5
	s_waitcnt vmcnt(0)
	v_readfirstlane_b32 s10, v0
	v_readfirstlane_b32 s11, v1
	s_and_b64 s[10:11], s[10:11], s[4:5]
	s_mul_i32 s11, s11, 24
	s_mul_hi_u32 s15, s10, 24
	s_mul_i32 s10, s10, 24
	s_add_i32 s11, s15, s11
	v_lshl_add_u64 v[4:5], v[4:5], 0, s[10:11]
	global_store_dwordx2 v[4:5], v[14:15], off
	buffer_wbl2 sc0 sc1
	s_waitcnt vmcnt(0)
	global_atomic_cmpswap_x2 v[2:3], v10, v[12:15], s[42:43] offset:32 sc0 sc1
	s_waitcnt vmcnt(0)
	v_cmp_ne_u64_e32 vcc, v[2:3], v[14:15]
	s_and_saveexec_b64 s[10:11], vcc
	s_cbranch_execz .LBB9_397
; %bb.395:
	s_mov_b64 s[16:17], 0
.LBB9_396:                              ; =>This Inner Loop Header: Depth=1
	s_sleep 1
	global_store_dwordx2 v[4:5], v[2:3], off
	v_mov_b32_e32 v0, s4
	v_mov_b32_e32 v1, s5
	buffer_wbl2 sc0 sc1
	s_waitcnt vmcnt(0)
	global_atomic_cmpswap_x2 v[0:1], v10, v[0:3], s[42:43] offset:32 sc0 sc1
	s_waitcnt vmcnt(0)
	v_cmp_eq_u64_e32 vcc, v[0:1], v[2:3]
	s_or_b64 s[16:17], vcc, s[16:17]
	v_mov_b64_e32 v[2:3], v[0:1]
	s_andn2_b64 exec, exec, s[16:17]
	s_cbranch_execnz .LBB9_396
.LBB9_397:
	s_or_b64 exec, exec, s[10:11]
	v_mov_b32_e32 v3, 0
	global_load_dwordx2 v[0:1], v3, s[42:43] offset:16
	s_mov_b64 s[10:11], exec
	v_mbcnt_lo_u32_b32 v2, s10, 0
	v_mbcnt_hi_u32_b32 v2, s11, v2
	v_cmp_eq_u32_e32 vcc, 0, v2
	s_and_saveexec_b64 s[16:17], vcc
	s_cbranch_execz .LBB9_399
; %bb.398:
	s_bcnt1_i32_b64 s10, s[10:11]
	v_mov_b32_e32 v2, s10
	buffer_wbl2 sc0 sc1
	s_waitcnt vmcnt(0)
	global_atomic_add_x2 v[0:1], v[2:3], off offset:8 sc1
.LBB9_399:
	s_or_b64 exec, exec, s[16:17]
	s_waitcnt vmcnt(0)
	global_load_dwordx2 v[2:3], v[0:1], off offset:16
	s_waitcnt vmcnt(0)
	v_cmp_eq_u64_e32 vcc, 0, v[2:3]
	s_cbranch_vccnz .LBB9_401
; %bb.400:
	global_load_dword v0, v[0:1], off offset:24
	v_mov_b32_e32 v1, 0
	buffer_wbl2 sc0 sc1
	s_waitcnt vmcnt(0)
	global_store_dwordx2 v[2:3], v[0:1], off sc0 sc1
	v_and_b32_e32 v0, 0xffffff, v0
	s_nop 0
	v_readfirstlane_b32 m0, v0
	s_sendmsg sendmsg(MSG_INTERRUPT)
.LBB9_401:
	s_or_b64 exec, exec, s[6:7]
	v_lshl_add_u64 v[0:1], v[6:7], 0, v[36:37]
	s_branch .LBB9_405
.LBB9_402:                              ;   in Loop: Header=BB9_405 Depth=1
	s_or_b64 exec, exec, s[6:7]
	v_readfirstlane_b32 s6, v2
	s_cmp_eq_u32 s6, 0
	s_cbranch_scc1 .LBB9_404
; %bb.403:                              ;   in Loop: Header=BB9_405 Depth=1
	s_sleep 1
	s_cbranch_execnz .LBB9_405
	s_branch .LBB9_407
.LBB9_404:
	s_branch .LBB9_407
.LBB9_405:                              ; =>This Inner Loop Header: Depth=1
	v_mov_b32_e32 v2, 1
	s_and_saveexec_b64 s[6:7], s[0:1]
	s_cbranch_execz .LBB9_402
; %bb.406:                              ;   in Loop: Header=BB9_405 Depth=1
	global_load_dword v2, v[8:9], off offset:20 sc0 sc1
	s_waitcnt vmcnt(0)
	buffer_inv sc0 sc1
	v_and_b32_e32 v2, 1, v2
	s_branch .LBB9_402
.LBB9_407:
	global_load_dwordx2 v[2:3], v[0:1], off
	s_and_saveexec_b64 s[6:7], s[0:1]
	s_cbranch_execz .LBB9_410
; %bb.408:
	v_mov_b32_e32 v8, 0
	global_load_dwordx2 v[0:1], v8, s[42:43] offset:40
	global_load_dwordx2 v[10:11], v8, s[42:43] offset:24 sc0 sc1
	global_load_dwordx2 v[12:13], v8, s[42:43]
	s_mov_b64 s[0:1], 0
	s_waitcnt vmcnt(2)
	v_lshl_add_u64 v[4:5], v[0:1], 0, 1
	v_lshl_add_u64 v[14:15], v[4:5], 0, s[4:5]
	v_cmp_eq_u64_e32 vcc, 0, v[14:15]
	s_waitcnt vmcnt(1)
	v_mov_b32_e32 v6, v10
	v_cndmask_b32_e32 v5, v15, v5, vcc
	v_cndmask_b32_e32 v4, v14, v4, vcc
	v_and_b32_e32 v1, v5, v1
	v_and_b32_e32 v0, v4, v0
	v_mul_lo_u32 v1, v1, 24
	v_mul_hi_u32 v7, v0, 24
	v_mul_lo_u32 v0, v0, 24
	v_add_u32_e32 v1, v7, v1
	s_waitcnt vmcnt(0)
	v_lshl_add_u64 v[0:1], v[12:13], 0, v[0:1]
	global_store_dwordx2 v[0:1], v[10:11], off
	v_mov_b32_e32 v7, v11
	buffer_wbl2 sc0 sc1
	s_waitcnt vmcnt(0)
	global_atomic_cmpswap_x2 v[6:7], v8, v[4:7], s[42:43] offset:24 sc0 sc1
	s_waitcnt vmcnt(0)
	v_cmp_ne_u64_e32 vcc, v[6:7], v[10:11]
	s_and_b64 exec, exec, vcc
	s_cbranch_execz .LBB9_410
.LBB9_409:                              ; =>This Inner Loop Header: Depth=1
	s_sleep 1
	global_store_dwordx2 v[0:1], v[6:7], off
	buffer_wbl2 sc0 sc1
	s_waitcnt vmcnt(0)
	global_atomic_cmpswap_x2 v[10:11], v8, v[4:7], s[42:43] offset:24 sc0 sc1
	s_waitcnt vmcnt(0)
	v_cmp_eq_u64_e32 vcc, v[10:11], v[6:7]
	s_or_b64 s[0:1], vcc, s[0:1]
	v_mov_b64_e32 v[6:7], v[10:11]
	s_andn2_b64 exec, exec, s[0:1]
	s_cbranch_execnz .LBB9_409
.LBB9_410:
	s_or_b64 exec, exec, s[6:7]
.LBB9_411:
	v_readfirstlane_b32 s0, v47
	s_waitcnt vmcnt(0)
	v_mov_b64_e32 v[0:1], 0
	v_cmp_eq_u32_e64 s[0:1], s0, v47
	s_and_saveexec_b64 s[4:5], s[0:1]
	s_cbranch_execz .LBB9_417
; %bb.412:
	v_mov_b32_e32 v4, 0
	global_load_dwordx2 v[8:9], v4, s[42:43] offset:24 sc0 sc1
	s_waitcnt vmcnt(0)
	buffer_inv sc0 sc1
	global_load_dwordx2 v[0:1], v4, s[42:43] offset:40
	global_load_dwordx2 v[6:7], v4, s[42:43]
	s_waitcnt vmcnt(1)
	v_and_b32_e32 v0, v0, v8
	v_and_b32_e32 v1, v1, v9
	v_mul_lo_u32 v1, v1, 24
	v_mul_hi_u32 v5, v0, 24
	v_add_u32_e32 v1, v5, v1
	v_mul_lo_u32 v0, v0, 24
	s_waitcnt vmcnt(0)
	v_lshl_add_u64 v[0:1], v[6:7], 0, v[0:1]
	global_load_dwordx2 v[6:7], v[0:1], off sc0 sc1
	s_waitcnt vmcnt(0)
	global_atomic_cmpswap_x2 v[0:1], v4, v[6:9], s[42:43] offset:24 sc0 sc1
	s_waitcnt vmcnt(0)
	buffer_inv sc0 sc1
	v_cmp_ne_u64_e32 vcc, v[0:1], v[8:9]
	s_and_saveexec_b64 s[6:7], vcc
	s_cbranch_execz .LBB9_416
; %bb.413:
	s_mov_b64 s[10:11], 0
.LBB9_414:                              ; =>This Inner Loop Header: Depth=1
	s_sleep 1
	global_load_dwordx2 v[6:7], v4, s[42:43] offset:40
	global_load_dwordx2 v[10:11], v4, s[42:43]
	v_mov_b64_e32 v[8:9], v[0:1]
	s_waitcnt vmcnt(1)
	v_and_b32_e32 v0, v6, v8
	s_waitcnt vmcnt(0)
	v_mad_u64_u32 v[0:1], s[16:17], v0, 24, v[10:11]
	v_and_b32_e32 v5, v7, v9
	v_mov_b32_e32 v6, v1
	v_mad_u64_u32 v[6:7], s[16:17], v5, 24, v[6:7]
	v_mov_b32_e32 v1, v6
	global_load_dwordx2 v[6:7], v[0:1], off sc0 sc1
	s_waitcnt vmcnt(0)
	global_atomic_cmpswap_x2 v[0:1], v4, v[6:9], s[42:43] offset:24 sc0 sc1
	s_waitcnt vmcnt(0)
	buffer_inv sc0 sc1
	v_cmp_eq_u64_e32 vcc, v[0:1], v[8:9]
	s_or_b64 s[10:11], vcc, s[10:11]
	s_andn2_b64 exec, exec, s[10:11]
	s_cbranch_execnz .LBB9_414
; %bb.415:
	s_or_b64 exec, exec, s[10:11]
.LBB9_416:
	s_or_b64 exec, exec, s[6:7]
.LBB9_417:
	s_or_b64 exec, exec, s[4:5]
	v_mov_b32_e32 v5, 0
	global_load_dwordx2 v[10:11], v5, s[42:43] offset:40
	global_load_dwordx4 v[6:9], v5, s[42:43]
	v_readfirstlane_b32 s4, v0
	v_readfirstlane_b32 s5, v1
	s_mov_b64 s[6:7], exec
	s_waitcnt vmcnt(1)
	v_readfirstlane_b32 s10, v10
	v_readfirstlane_b32 s11, v11
	s_and_b64 s[10:11], s[4:5], s[10:11]
	s_mul_i32 s15, s11, 24
	s_mul_hi_u32 s16, s10, 24
	s_add_i32 s17, s16, s15
	s_mul_i32 s16, s10, 24
	s_waitcnt vmcnt(0)
	v_lshl_add_u64 v[10:11], v[6:7], 0, s[16:17]
	s_and_saveexec_b64 s[16:17], s[0:1]
	s_cbranch_execz .LBB9_419
; %bb.418:
	v_mov_b64_e32 v[12:13], s[6:7]
	v_mov_b32_e32 v14, 2
	v_mov_b32_e32 v15, 1
	global_store_dwordx4 v[10:11], v[12:15], off offset:8
.LBB9_419:
	s_or_b64 exec, exec, s[16:17]
	s_lshl_b64 s[6:7], s[10:11], 12
	v_lshl_add_u64 v[0:1], v[8:9], 0, s[6:7]
	s_movk_i32 s6, 0xff1d
	s_mov_b32 s16, 0
	v_and_or_b32 v2, v2, s6, 34
	v_mov_b32_e32 v4, 10
	v_readfirstlane_b32 s6, v0
	v_readfirstlane_b32 s7, v1
	s_mov_b32 s17, s16
	s_mov_b32 s18, s16
	;; [unrolled: 1-line block ×3, first 2 shown]
	s_nop 1
	global_store_dwordx4 v36, v[2:5], s[6:7]
	v_mov_b64_e32 v[0:1], s[16:17]
	s_nop 0
	v_mov_b64_e32 v[2:3], s[18:19]
	global_store_dwordx4 v36, v[0:3], s[6:7] offset:16
	global_store_dwordx4 v36, v[0:3], s[6:7] offset:32
	;; [unrolled: 1-line block ×3, first 2 shown]
	s_and_saveexec_b64 s[6:7], s[0:1]
	s_cbranch_execz .LBB9_427
; %bb.420:
	v_mov_b32_e32 v8, 0
	global_load_dwordx2 v[14:15], v8, s[42:43] offset:32 sc0 sc1
	global_load_dwordx2 v[0:1], v8, s[42:43] offset:40
	v_mov_b32_e32 v12, s4
	v_mov_b32_e32 v13, s5
	s_waitcnt vmcnt(0)
	v_readfirstlane_b32 s10, v0
	v_readfirstlane_b32 s11, v1
	s_and_b64 s[10:11], s[10:11], s[4:5]
	s_mul_i32 s11, s11, 24
	s_mul_hi_u32 s15, s10, 24
	s_mul_i32 s10, s10, 24
	s_add_i32 s11, s15, s11
	v_lshl_add_u64 v[4:5], v[6:7], 0, s[10:11]
	global_store_dwordx2 v[4:5], v[14:15], off
	buffer_wbl2 sc0 sc1
	s_waitcnt vmcnt(0)
	global_atomic_cmpswap_x2 v[2:3], v8, v[12:15], s[42:43] offset:32 sc0 sc1
	s_waitcnt vmcnt(0)
	v_cmp_ne_u64_e32 vcc, v[2:3], v[14:15]
	s_and_saveexec_b64 s[10:11], vcc
	s_cbranch_execz .LBB9_423
; %bb.421:
	s_mov_b64 s[16:17], 0
.LBB9_422:                              ; =>This Inner Loop Header: Depth=1
	s_sleep 1
	global_store_dwordx2 v[4:5], v[2:3], off
	v_mov_b32_e32 v0, s4
	v_mov_b32_e32 v1, s5
	buffer_wbl2 sc0 sc1
	s_waitcnt vmcnt(0)
	global_atomic_cmpswap_x2 v[0:1], v8, v[0:3], s[42:43] offset:32 sc0 sc1
	s_waitcnt vmcnt(0)
	v_cmp_eq_u64_e32 vcc, v[0:1], v[2:3]
	s_or_b64 s[16:17], vcc, s[16:17]
	v_mov_b64_e32 v[2:3], v[0:1]
	s_andn2_b64 exec, exec, s[16:17]
	s_cbranch_execnz .LBB9_422
.LBB9_423:
	s_or_b64 exec, exec, s[10:11]
	v_mov_b32_e32 v3, 0
	global_load_dwordx2 v[0:1], v3, s[42:43] offset:16
	s_mov_b64 s[10:11], exec
	v_mbcnt_lo_u32_b32 v2, s10, 0
	v_mbcnt_hi_u32_b32 v2, s11, v2
	v_cmp_eq_u32_e32 vcc, 0, v2
	s_and_saveexec_b64 s[16:17], vcc
	s_cbranch_execz .LBB9_425
; %bb.424:
	s_bcnt1_i32_b64 s10, s[10:11]
	v_mov_b32_e32 v2, s10
	buffer_wbl2 sc0 sc1
	s_waitcnt vmcnt(0)
	global_atomic_add_x2 v[0:1], v[2:3], off offset:8 sc1
.LBB9_425:
	s_or_b64 exec, exec, s[16:17]
	s_waitcnt vmcnt(0)
	global_load_dwordx2 v[2:3], v[0:1], off offset:16
	s_waitcnt vmcnt(0)
	v_cmp_eq_u64_e32 vcc, 0, v[2:3]
	s_cbranch_vccnz .LBB9_427
; %bb.426:
	global_load_dword v0, v[0:1], off offset:24
	v_mov_b32_e32 v1, 0
	buffer_wbl2 sc0 sc1
	s_waitcnt vmcnt(0)
	global_store_dwordx2 v[2:3], v[0:1], off sc0 sc1
	v_and_b32_e32 v0, 0xffffff, v0
	s_nop 0
	v_readfirstlane_b32 m0, v0
	s_sendmsg sendmsg(MSG_INTERRUPT)
.LBB9_427:
	s_or_b64 exec, exec, s[6:7]
	s_branch .LBB9_431
.LBB9_428:                              ;   in Loop: Header=BB9_431 Depth=1
	s_or_b64 exec, exec, s[6:7]
	v_readfirstlane_b32 s6, v0
	s_cmp_eq_u32 s6, 0
	s_cbranch_scc1 .LBB9_430
; %bb.429:                              ;   in Loop: Header=BB9_431 Depth=1
	s_sleep 1
	s_cbranch_execnz .LBB9_431
	s_branch .LBB9_433
.LBB9_430:
	s_branch .LBB9_433
.LBB9_431:                              ; =>This Inner Loop Header: Depth=1
	v_mov_b32_e32 v0, 1
	s_and_saveexec_b64 s[6:7], s[0:1]
	s_cbranch_execz .LBB9_428
; %bb.432:                              ;   in Loop: Header=BB9_431 Depth=1
	global_load_dword v0, v[10:11], off offset:20 sc0 sc1
	s_waitcnt vmcnt(0)
	buffer_inv sc0 sc1
	v_and_b32_e32 v0, 1, v0
	s_branch .LBB9_428
.LBB9_433:
	s_and_saveexec_b64 s[6:7], s[0:1]
	s_cbranch_execz .LBB9_436
; %bb.434:
	v_mov_b32_e32 v6, 0
	global_load_dwordx2 v[4:5], v6, s[42:43] offset:40
	global_load_dwordx2 v[8:9], v6, s[42:43] offset:24 sc0 sc1
	global_load_dwordx2 v[10:11], v6, s[42:43]
	s_mov_b64 s[0:1], 0
	s_waitcnt vmcnt(2)
	v_lshl_add_u64 v[0:1], v[4:5], 0, 1
	v_lshl_add_u64 v[12:13], v[0:1], 0, s[4:5]
	v_cmp_eq_u64_e32 vcc, 0, v[12:13]
	s_waitcnt vmcnt(1)
	v_mov_b32_e32 v2, v8
	v_cndmask_b32_e32 v1, v13, v1, vcc
	v_cndmask_b32_e32 v0, v12, v0, vcc
	v_and_b32_e32 v3, v1, v5
	v_and_b32_e32 v4, v0, v4
	v_mul_lo_u32 v3, v3, 24
	v_mul_hi_u32 v5, v4, 24
	v_mul_lo_u32 v4, v4, 24
	v_add_u32_e32 v5, v5, v3
	s_waitcnt vmcnt(0)
	v_lshl_add_u64 v[4:5], v[10:11], 0, v[4:5]
	global_store_dwordx2 v[4:5], v[8:9], off
	v_mov_b32_e32 v3, v9
	buffer_wbl2 sc0 sc1
	s_waitcnt vmcnt(0)
	global_atomic_cmpswap_x2 v[2:3], v6, v[0:3], s[42:43] offset:24 sc0 sc1
	s_waitcnt vmcnt(0)
	v_cmp_ne_u64_e32 vcc, v[2:3], v[8:9]
	s_and_b64 exec, exec, vcc
	s_cbranch_execz .LBB9_436
.LBB9_435:                              ; =>This Inner Loop Header: Depth=1
	s_sleep 1
	global_store_dwordx2 v[4:5], v[2:3], off
	buffer_wbl2 sc0 sc1
	s_waitcnt vmcnt(0)
	global_atomic_cmpswap_x2 v[8:9], v6, v[0:3], s[42:43] offset:24 sc0 sc1
	s_waitcnt vmcnt(0)
	v_cmp_eq_u64_e32 vcc, v[8:9], v[2:3]
	s_or_b64 s[0:1], vcc, s[0:1]
	v_mov_b64_e32 v[2:3], v[8:9]
	s_andn2_b64 exec, exec, s[0:1]
	s_cbranch_execnz .LBB9_435
.LBB9_436:
	s_or_b64 exec, exec, s[6:7]
	v_readfirstlane_b32 s0, v47
	v_mov_b64_e32 v[4:5], 0
	s_nop 0
	v_cmp_eq_u32_e64 s[0:1], s0, v47
	s_and_saveexec_b64 s[4:5], s[0:1]
	s_cbranch_execz .LBB9_442
; %bb.437:
	v_mov_b32_e32 v0, 0
	global_load_dwordx2 v[6:7], v0, s[42:43] offset:24 sc0 sc1
	s_waitcnt vmcnt(0)
	buffer_inv sc0 sc1
	global_load_dwordx2 v[2:3], v0, s[42:43] offset:40
	global_load_dwordx2 v[4:5], v0, s[42:43]
	s_waitcnt vmcnt(1)
	v_and_b32_e32 v1, v2, v6
	v_and_b32_e32 v2, v3, v7
	v_mul_lo_u32 v2, v2, 24
	v_mul_hi_u32 v3, v1, 24
	v_add_u32_e32 v3, v3, v2
	v_mul_lo_u32 v2, v1, 24
	s_waitcnt vmcnt(0)
	v_lshl_add_u64 v[2:3], v[4:5], 0, v[2:3]
	global_load_dwordx2 v[4:5], v[2:3], off sc0 sc1
	s_waitcnt vmcnt(0)
	global_atomic_cmpswap_x2 v[4:5], v0, v[4:7], s[42:43] offset:24 sc0 sc1
	s_waitcnt vmcnt(0)
	buffer_inv sc0 sc1
	v_cmp_ne_u64_e32 vcc, v[4:5], v[6:7]
	s_and_saveexec_b64 s[6:7], vcc
	s_cbranch_execz .LBB9_441
; %bb.438:
	s_mov_b64 s[10:11], 0
.LBB9_439:                              ; =>This Inner Loop Header: Depth=1
	s_sleep 1
	global_load_dwordx2 v[2:3], v0, s[42:43] offset:40
	global_load_dwordx2 v[8:9], v0, s[42:43]
	v_mov_b64_e32 v[6:7], v[4:5]
	s_waitcnt vmcnt(1)
	v_and_b32_e32 v2, v2, v6
	v_and_b32_e32 v1, v3, v7
	s_waitcnt vmcnt(0)
	v_mad_u64_u32 v[2:3], s[16:17], v2, 24, v[8:9]
	v_mov_b32_e32 v4, v3
	v_mad_u64_u32 v[4:5], s[16:17], v1, 24, v[4:5]
	v_mov_b32_e32 v3, v4
	global_load_dwordx2 v[4:5], v[2:3], off sc0 sc1
	s_waitcnt vmcnt(0)
	global_atomic_cmpswap_x2 v[4:5], v0, v[4:7], s[42:43] offset:24 sc0 sc1
	s_waitcnt vmcnt(0)
	buffer_inv sc0 sc1
	v_cmp_eq_u64_e32 vcc, v[4:5], v[6:7]
	s_or_b64 s[10:11], vcc, s[10:11]
	s_andn2_b64 exec, exec, s[10:11]
	s_cbranch_execnz .LBB9_439
; %bb.440:
	s_or_b64 exec, exec, s[10:11]
.LBB9_441:
	s_or_b64 exec, exec, s[6:7]
.LBB9_442:
	s_or_b64 exec, exec, s[4:5]
	v_mov_b32_e32 v37, 0
	global_load_dwordx2 v[6:7], v37, s[42:43] offset:40
	global_load_dwordx4 v[0:3], v37, s[42:43]
	v_readfirstlane_b32 s4, v4
	v_readfirstlane_b32 s5, v5
	s_mov_b64 s[6:7], exec
	s_waitcnt vmcnt(1)
	v_readfirstlane_b32 s10, v6
	v_readfirstlane_b32 s11, v7
	s_and_b64 s[10:11], s[4:5], s[10:11]
	s_mul_i32 s15, s11, 24
	s_mul_hi_u32 s16, s10, 24
	s_add_i32 s17, s16, s15
	s_mul_i32 s16, s10, 24
	s_waitcnt vmcnt(0)
	v_lshl_add_u64 v[4:5], v[0:1], 0, s[16:17]
	s_and_saveexec_b64 s[16:17], s[0:1]
	s_cbranch_execz .LBB9_444
; %bb.443:
	v_mov_b64_e32 v[6:7], s[6:7]
	v_mov_b32_e32 v8, 2
	v_mov_b32_e32 v9, 1
	global_store_dwordx4 v[4:5], v[6:9], off offset:8
.LBB9_444:
	s_or_b64 exec, exec, s[16:17]
	s_lshl_b64 s[6:7], s[10:11], 12
	v_lshl_add_u64 v[6:7], v[2:3], 0, s[6:7]
	s_mov_b32 s16, 0
	v_mov_b32_e32 v8, 33
	v_mov_b32_e32 v9, v37
	;; [unrolled: 1-line block ×4, first 2 shown]
	v_readfirstlane_b32 s6, v6
	v_readfirstlane_b32 s7, v7
	s_mov_b32 s17, s16
	s_mov_b32 s18, s16
	;; [unrolled: 1-line block ×3, first 2 shown]
	s_nop 1
	global_store_dwordx4 v36, v[8:11], s[6:7]
	s_nop 1
	v_mov_b64_e32 v[8:9], s[16:17]
	v_mov_b64_e32 v[10:11], s[18:19]
	global_store_dwordx4 v36, v[8:11], s[6:7] offset:16
	global_store_dwordx4 v36, v[8:11], s[6:7] offset:32
	;; [unrolled: 1-line block ×3, first 2 shown]
	s_and_saveexec_b64 s[6:7], s[0:1]
	s_cbranch_execz .LBB9_452
; %bb.445:
	v_mov_b32_e32 v10, 0
	global_load_dwordx2 v[14:15], v10, s[42:43] offset:32 sc0 sc1
	global_load_dwordx2 v[2:3], v10, s[42:43] offset:40
	v_mov_b32_e32 v12, s4
	v_mov_b32_e32 v13, s5
	s_waitcnt vmcnt(0)
	v_readfirstlane_b32 s10, v2
	v_readfirstlane_b32 s11, v3
	s_and_b64 s[10:11], s[10:11], s[4:5]
	s_mul_i32 s11, s11, 24
	s_mul_hi_u32 s15, s10, 24
	s_mul_i32 s10, s10, 24
	s_add_i32 s11, s15, s11
	v_lshl_add_u64 v[8:9], v[0:1], 0, s[10:11]
	global_store_dwordx2 v[8:9], v[14:15], off
	buffer_wbl2 sc0 sc1
	s_waitcnt vmcnt(0)
	global_atomic_cmpswap_x2 v[2:3], v10, v[12:15], s[42:43] offset:32 sc0 sc1
	s_waitcnt vmcnt(0)
	v_cmp_ne_u64_e32 vcc, v[2:3], v[14:15]
	s_and_saveexec_b64 s[10:11], vcc
	s_cbranch_execz .LBB9_448
; %bb.446:
	s_mov_b64 s[16:17], 0
.LBB9_447:                              ; =>This Inner Loop Header: Depth=1
	s_sleep 1
	global_store_dwordx2 v[8:9], v[2:3], off
	v_mov_b32_e32 v0, s4
	v_mov_b32_e32 v1, s5
	buffer_wbl2 sc0 sc1
	s_waitcnt vmcnt(0)
	global_atomic_cmpswap_x2 v[0:1], v10, v[0:3], s[42:43] offset:32 sc0 sc1
	s_waitcnt vmcnt(0)
	v_cmp_eq_u64_e32 vcc, v[0:1], v[2:3]
	s_or_b64 s[16:17], vcc, s[16:17]
	v_mov_b64_e32 v[2:3], v[0:1]
	s_andn2_b64 exec, exec, s[16:17]
	s_cbranch_execnz .LBB9_447
.LBB9_448:
	s_or_b64 exec, exec, s[10:11]
	v_mov_b32_e32 v3, 0
	global_load_dwordx2 v[0:1], v3, s[42:43] offset:16
	s_mov_b64 s[10:11], exec
	v_mbcnt_lo_u32_b32 v2, s10, 0
	v_mbcnt_hi_u32_b32 v2, s11, v2
	v_cmp_eq_u32_e32 vcc, 0, v2
	s_and_saveexec_b64 s[16:17], vcc
	s_cbranch_execz .LBB9_450
; %bb.449:
	s_bcnt1_i32_b64 s10, s[10:11]
	v_mov_b32_e32 v2, s10
	buffer_wbl2 sc0 sc1
	s_waitcnt vmcnt(0)
	global_atomic_add_x2 v[0:1], v[2:3], off offset:8 sc1
.LBB9_450:
	s_or_b64 exec, exec, s[16:17]
	s_waitcnt vmcnt(0)
	global_load_dwordx2 v[2:3], v[0:1], off offset:16
	s_waitcnt vmcnt(0)
	v_cmp_eq_u64_e32 vcc, 0, v[2:3]
	s_cbranch_vccnz .LBB9_452
; %bb.451:
	global_load_dword v0, v[0:1], off offset:24
	v_mov_b32_e32 v1, 0
	buffer_wbl2 sc0 sc1
	s_waitcnt vmcnt(0)
	global_store_dwordx2 v[2:3], v[0:1], off sc0 sc1
	v_and_b32_e32 v0, 0xffffff, v0
	s_nop 0
	v_readfirstlane_b32 m0, v0
	s_sendmsg sendmsg(MSG_INTERRUPT)
.LBB9_452:
	s_or_b64 exec, exec, s[6:7]
	v_lshl_add_u64 v[0:1], v[6:7], 0, v[36:37]
	s_branch .LBB9_456
.LBB9_453:                              ;   in Loop: Header=BB9_456 Depth=1
	s_or_b64 exec, exec, s[6:7]
	v_readfirstlane_b32 s6, v2
	s_cmp_eq_u32 s6, 0
	s_cbranch_scc1 .LBB9_455
; %bb.454:                              ;   in Loop: Header=BB9_456 Depth=1
	s_sleep 1
	s_cbranch_execnz .LBB9_456
	s_branch .LBB9_458
.LBB9_455:
	s_branch .LBB9_458
.LBB9_456:                              ; =>This Inner Loop Header: Depth=1
	v_mov_b32_e32 v2, 1
	s_and_saveexec_b64 s[6:7], s[0:1]
	s_cbranch_execz .LBB9_453
; %bb.457:                              ;   in Loop: Header=BB9_456 Depth=1
	global_load_dword v2, v[4:5], off offset:20 sc0 sc1
	s_waitcnt vmcnt(0)
	buffer_inv sc0 sc1
	v_and_b32_e32 v2, 1, v2
	s_branch .LBB9_453
.LBB9_458:
	global_load_dwordx2 v[4:5], v[0:1], off
	s_and_saveexec_b64 s[6:7], s[0:1]
	s_cbranch_execz .LBB9_461
; %bb.459:
	v_mov_b32_e32 v8, 0
	global_load_dwordx2 v[6:7], v8, s[42:43] offset:40
	global_load_dwordx2 v[10:11], v8, s[42:43] offset:24 sc0 sc1
	global_load_dwordx2 v[12:13], v8, s[42:43]
	s_mov_b64 s[0:1], 0
	s_waitcnt vmcnt(2)
	v_lshl_add_u64 v[0:1], v[6:7], 0, 1
	v_lshl_add_u64 v[14:15], v[0:1], 0, s[4:5]
	v_cmp_eq_u64_e32 vcc, 0, v[14:15]
	s_waitcnt vmcnt(1)
	v_mov_b32_e32 v2, v10
	v_cndmask_b32_e32 v1, v15, v1, vcc
	v_cndmask_b32_e32 v0, v14, v0, vcc
	v_and_b32_e32 v3, v1, v7
	v_and_b32_e32 v6, v0, v6
	v_mul_lo_u32 v3, v3, 24
	v_mul_hi_u32 v7, v6, 24
	v_mul_lo_u32 v6, v6, 24
	v_add_u32_e32 v7, v7, v3
	s_waitcnt vmcnt(0)
	v_lshl_add_u64 v[6:7], v[12:13], 0, v[6:7]
	global_store_dwordx2 v[6:7], v[10:11], off
	v_mov_b32_e32 v3, v11
	buffer_wbl2 sc0 sc1
	s_waitcnt vmcnt(0)
	global_atomic_cmpswap_x2 v[2:3], v8, v[0:3], s[42:43] offset:24 sc0 sc1
	s_waitcnt vmcnt(0)
	v_cmp_ne_u64_e32 vcc, v[2:3], v[10:11]
	s_and_b64 exec, exec, vcc
	s_cbranch_execz .LBB9_461
.LBB9_460:                              ; =>This Inner Loop Header: Depth=1
	s_sleep 1
	global_store_dwordx2 v[6:7], v[2:3], off
	buffer_wbl2 sc0 sc1
	s_waitcnt vmcnt(0)
	global_atomic_cmpswap_x2 v[10:11], v8, v[0:3], s[42:43] offset:24 sc0 sc1
	s_waitcnt vmcnt(0)
	v_cmp_eq_u64_e32 vcc, v[10:11], v[2:3]
	s_or_b64 s[0:1], vcc, s[0:1]
	v_mov_b64_e32 v[2:3], v[10:11]
	s_andn2_b64 exec, exec, s[0:1]
	s_cbranch_execnz .LBB9_460
.LBB9_461:
	s_or_b64 exec, exec, s[6:7]
	s_and_b64 vcc, exec, s[2:3]
	s_cbranch_vccz .LBB9_546
; %bb.462:
	s_waitcnt vmcnt(0)
	v_and_b32_e32 v26, 2, v4
	v_mov_b32_e32 v29, 0
	v_and_b32_e32 v0, -3, v4
	v_mov_b32_e32 v1, v5
	s_mov_b64 s[6:7], 3
	v_mov_b32_e32 v8, 2
	v_mov_b32_e32 v9, 1
	s_getpc_b64 s[4:5]
	s_add_u32 s4, s4, .str.5@rel32@lo+4
	s_addc_u32 s5, s5, .str.5@rel32@hi+12
	s_branch .LBB9_464
.LBB9_463:                              ;   in Loop: Header=BB9_464 Depth=1
	s_or_b64 exec, exec, s[18:19]
	s_sub_u32 s6, s6, s10
	s_subb_u32 s7, s7, s11
	s_add_u32 s4, s4, s10
	s_addc_u32 s5, s5, s11
	s_cmp_lg_u64 s[6:7], 0
	s_cbranch_scc0 .LBB9_545
.LBB9_464:                              ; =>This Loop Header: Depth=1
                                        ;     Child Loop BB9_467 Depth 2
                                        ;     Child Loop BB9_474 Depth 2
	;; [unrolled: 1-line block ×11, first 2 shown]
	v_cmp_lt_u64_e64 s[0:1], s[6:7], 56
	s_and_b64 s[0:1], s[0:1], exec
	v_cmp_gt_u64_e64 s[0:1], s[6:7], 7
	s_cselect_b32 s11, s7, 0
	s_cselect_b32 s10, s6, 56
	s_and_b64 vcc, exec, s[0:1]
	s_cbranch_vccnz .LBB9_469
; %bb.465:                              ;   in Loop: Header=BB9_464 Depth=1
	s_mov_b64 s[0:1], 0
	s_cmp_eq_u64 s[6:7], 0
	s_waitcnt vmcnt(0)
	v_mov_b64_e32 v[2:3], 0
	s_cbranch_scc1 .LBB9_468
; %bb.466:                              ;   in Loop: Header=BB9_464 Depth=1
	s_lshl_b64 s[16:17], s[10:11], 3
	s_mov_b64 s[18:19], 0
	v_mov_b64_e32 v[2:3], 0
	s_mov_b64 s[20:21], s[4:5]
.LBB9_467:                              ;   Parent Loop BB9_464 Depth=1
                                        ; =>  This Inner Loop Header: Depth=2
	global_load_ubyte v6, v29, s[20:21]
	s_waitcnt vmcnt(0)
	v_and_b32_e32 v28, 0xffff, v6
	v_lshlrev_b64 v[6:7], s18, v[28:29]
	s_add_u32 s18, s18, 8
	s_addc_u32 s19, s19, 0
	s_add_u32 s20, s20, 1
	s_addc_u32 s21, s21, 0
	v_or_b32_e32 v2, v6, v2
	s_cmp_lg_u32 s16, s18
	v_or_b32_e32 v3, v7, v3
	s_cbranch_scc1 .LBB9_467
.LBB9_468:                              ;   in Loop: Header=BB9_464 Depth=1
	s_mov_b32 s15, 0
	s_andn2_b64 vcc, exec, s[0:1]
	s_mov_b64 s[0:1], s[4:5]
	s_cbranch_vccz .LBB9_470
	s_branch .LBB9_471
.LBB9_469:                              ;   in Loop: Header=BB9_464 Depth=1
                                        ; implicit-def: $vgpr2_vgpr3
                                        ; implicit-def: $sgpr15
	s_mov_b64 s[0:1], s[4:5]
.LBB9_470:                              ;   in Loop: Header=BB9_464 Depth=1
	global_load_dwordx2 v[2:3], v29, s[4:5]
	s_add_i32 s15, s10, -8
	s_add_u32 s0, s4, 8
	s_addc_u32 s1, s5, 0
.LBB9_471:                              ;   in Loop: Header=BB9_464 Depth=1
	s_cmp_gt_u32 s15, 7
	s_cbranch_scc1 .LBB9_475
; %bb.472:                              ;   in Loop: Header=BB9_464 Depth=1
	s_cmp_eq_u32 s15, 0
	s_cbranch_scc1 .LBB9_476
; %bb.473:                              ;   in Loop: Header=BB9_464 Depth=1
	s_mov_b64 s[16:17], 0
	v_mov_b64_e32 v[10:11], 0
	s_mov_b64 s[18:19], 0
.LBB9_474:                              ;   Parent Loop BB9_464 Depth=1
                                        ; =>  This Inner Loop Header: Depth=2
	s_add_u32 s20, s0, s18
	s_addc_u32 s21, s1, s19
	global_load_ubyte v6, v29, s[20:21]
	s_add_u32 s18, s18, 1
	s_addc_u32 s19, s19, 0
	s_waitcnt vmcnt(0)
	v_and_b32_e32 v28, 0xffff, v6
	v_lshlrev_b64 v[6:7], s16, v[28:29]
	s_add_u32 s16, s16, 8
	s_addc_u32 s17, s17, 0
	v_or_b32_e32 v10, v6, v10
	s_cmp_lg_u32 s15, s18
	v_or_b32_e32 v11, v7, v11
	s_cbranch_scc1 .LBB9_474
	s_branch .LBB9_477
.LBB9_475:                              ;   in Loop: Header=BB9_464 Depth=1
                                        ; implicit-def: $vgpr10_vgpr11
                                        ; implicit-def: $sgpr20
	s_branch .LBB9_478
.LBB9_476:                              ;   in Loop: Header=BB9_464 Depth=1
	v_mov_b64_e32 v[10:11], 0
.LBB9_477:                              ;   in Loop: Header=BB9_464 Depth=1
	s_mov_b32 s20, 0
	s_cbranch_execnz .LBB9_479
.LBB9_478:                              ;   in Loop: Header=BB9_464 Depth=1
	global_load_dwordx2 v[10:11], v29, s[0:1]
	s_add_i32 s20, s15, -8
	s_add_u32 s0, s0, 8
	s_addc_u32 s1, s1, 0
.LBB9_479:                              ;   in Loop: Header=BB9_464 Depth=1
	s_cmp_gt_u32 s20, 7
	s_cbranch_scc1 .LBB9_483
; %bb.480:                              ;   in Loop: Header=BB9_464 Depth=1
	s_cmp_eq_u32 s20, 0
	s_cbranch_scc1 .LBB9_484
; %bb.481:                              ;   in Loop: Header=BB9_464 Depth=1
	s_mov_b64 s[16:17], 0
	v_mov_b64_e32 v[12:13], 0
	s_mov_b64 s[18:19], 0
.LBB9_482:                              ;   Parent Loop BB9_464 Depth=1
                                        ; =>  This Inner Loop Header: Depth=2
	s_add_u32 s22, s0, s18
	s_addc_u32 s23, s1, s19
	global_load_ubyte v6, v29, s[22:23]
	s_add_u32 s18, s18, 1
	s_addc_u32 s19, s19, 0
	s_waitcnt vmcnt(0)
	v_and_b32_e32 v28, 0xffff, v6
	v_lshlrev_b64 v[6:7], s16, v[28:29]
	s_add_u32 s16, s16, 8
	s_addc_u32 s17, s17, 0
	v_or_b32_e32 v12, v6, v12
	s_cmp_lg_u32 s20, s18
	v_or_b32_e32 v13, v7, v13
	s_cbranch_scc1 .LBB9_482
	s_branch .LBB9_485
.LBB9_483:                              ;   in Loop: Header=BB9_464 Depth=1
                                        ; implicit-def: $sgpr15
	s_branch .LBB9_486
.LBB9_484:                              ;   in Loop: Header=BB9_464 Depth=1
	v_mov_b64_e32 v[12:13], 0
.LBB9_485:                              ;   in Loop: Header=BB9_464 Depth=1
	s_mov_b32 s15, 0
	s_cbranch_execnz .LBB9_487
.LBB9_486:                              ;   in Loop: Header=BB9_464 Depth=1
	global_load_dwordx2 v[12:13], v29, s[0:1]
	s_add_i32 s15, s20, -8
	s_add_u32 s0, s0, 8
	s_addc_u32 s1, s1, 0
.LBB9_487:                              ;   in Loop: Header=BB9_464 Depth=1
	s_cmp_gt_u32 s15, 7
	s_cbranch_scc1 .LBB9_491
; %bb.488:                              ;   in Loop: Header=BB9_464 Depth=1
	s_cmp_eq_u32 s15, 0
	s_cbranch_scc1 .LBB9_492
; %bb.489:                              ;   in Loop: Header=BB9_464 Depth=1
	s_mov_b64 s[16:17], 0
	v_mov_b64_e32 v[14:15], 0
	s_mov_b64 s[18:19], 0
.LBB9_490:                              ;   Parent Loop BB9_464 Depth=1
                                        ; =>  This Inner Loop Header: Depth=2
	s_add_u32 s20, s0, s18
	s_addc_u32 s21, s1, s19
	global_load_ubyte v6, v29, s[20:21]
	s_add_u32 s18, s18, 1
	s_addc_u32 s19, s19, 0
	s_waitcnt vmcnt(0)
	v_and_b32_e32 v28, 0xffff, v6
	v_lshlrev_b64 v[6:7], s16, v[28:29]
	s_add_u32 s16, s16, 8
	s_addc_u32 s17, s17, 0
	v_or_b32_e32 v14, v6, v14
	s_cmp_lg_u32 s15, s18
	v_or_b32_e32 v15, v7, v15
	s_cbranch_scc1 .LBB9_490
	s_branch .LBB9_493
.LBB9_491:                              ;   in Loop: Header=BB9_464 Depth=1
                                        ; implicit-def: $vgpr14_vgpr15
                                        ; implicit-def: $sgpr20
	s_branch .LBB9_494
.LBB9_492:                              ;   in Loop: Header=BB9_464 Depth=1
	v_mov_b64_e32 v[14:15], 0
.LBB9_493:                              ;   in Loop: Header=BB9_464 Depth=1
	s_mov_b32 s20, 0
	s_cbranch_execnz .LBB9_495
.LBB9_494:                              ;   in Loop: Header=BB9_464 Depth=1
	global_load_dwordx2 v[14:15], v29, s[0:1]
	s_add_i32 s20, s15, -8
	s_add_u32 s0, s0, 8
	s_addc_u32 s1, s1, 0
.LBB9_495:                              ;   in Loop: Header=BB9_464 Depth=1
	s_cmp_gt_u32 s20, 7
	s_cbranch_scc1 .LBB9_499
; %bb.496:                              ;   in Loop: Header=BB9_464 Depth=1
	s_cmp_eq_u32 s20, 0
	s_cbranch_scc1 .LBB9_500
; %bb.497:                              ;   in Loop: Header=BB9_464 Depth=1
	s_mov_b64 s[16:17], 0
	v_mov_b64_e32 v[16:17], 0
	s_mov_b64 s[18:19], 0
.LBB9_498:                              ;   Parent Loop BB9_464 Depth=1
                                        ; =>  This Inner Loop Header: Depth=2
	s_add_u32 s22, s0, s18
	s_addc_u32 s23, s1, s19
	global_load_ubyte v6, v29, s[22:23]
	s_add_u32 s18, s18, 1
	s_addc_u32 s19, s19, 0
	s_waitcnt vmcnt(0)
	v_and_b32_e32 v28, 0xffff, v6
	v_lshlrev_b64 v[6:7], s16, v[28:29]
	s_add_u32 s16, s16, 8
	s_addc_u32 s17, s17, 0
	v_or_b32_e32 v16, v6, v16
	s_cmp_lg_u32 s20, s18
	v_or_b32_e32 v17, v7, v17
	s_cbranch_scc1 .LBB9_498
	s_branch .LBB9_501
.LBB9_499:                              ;   in Loop: Header=BB9_464 Depth=1
                                        ; implicit-def: $sgpr15
	s_branch .LBB9_502
.LBB9_500:                              ;   in Loop: Header=BB9_464 Depth=1
	v_mov_b64_e32 v[16:17], 0
.LBB9_501:                              ;   in Loop: Header=BB9_464 Depth=1
	s_mov_b32 s15, 0
	s_cbranch_execnz .LBB9_503
.LBB9_502:                              ;   in Loop: Header=BB9_464 Depth=1
	global_load_dwordx2 v[16:17], v29, s[0:1]
	s_add_i32 s15, s20, -8
	s_add_u32 s0, s0, 8
	s_addc_u32 s1, s1, 0
.LBB9_503:                              ;   in Loop: Header=BB9_464 Depth=1
	s_cmp_gt_u32 s15, 7
	s_cbranch_scc1 .LBB9_507
; %bb.504:                              ;   in Loop: Header=BB9_464 Depth=1
	s_cmp_eq_u32 s15, 0
	s_cbranch_scc1 .LBB9_508
; %bb.505:                              ;   in Loop: Header=BB9_464 Depth=1
	s_mov_b64 s[16:17], 0
	v_mov_b64_e32 v[18:19], 0
	s_mov_b64 s[18:19], 0
.LBB9_506:                              ;   Parent Loop BB9_464 Depth=1
                                        ; =>  This Inner Loop Header: Depth=2
	s_add_u32 s20, s0, s18
	s_addc_u32 s21, s1, s19
	global_load_ubyte v6, v29, s[20:21]
	s_add_u32 s18, s18, 1
	s_addc_u32 s19, s19, 0
	s_waitcnt vmcnt(0)
	v_and_b32_e32 v28, 0xffff, v6
	v_lshlrev_b64 v[6:7], s16, v[28:29]
	s_add_u32 s16, s16, 8
	s_addc_u32 s17, s17, 0
	v_or_b32_e32 v18, v6, v18
	s_cmp_lg_u32 s15, s18
	v_or_b32_e32 v19, v7, v19
	s_cbranch_scc1 .LBB9_506
	s_branch .LBB9_509
.LBB9_507:                              ;   in Loop: Header=BB9_464 Depth=1
                                        ; implicit-def: $vgpr18_vgpr19
                                        ; implicit-def: $sgpr20
	s_branch .LBB9_510
.LBB9_508:                              ;   in Loop: Header=BB9_464 Depth=1
	v_mov_b64_e32 v[18:19], 0
.LBB9_509:                              ;   in Loop: Header=BB9_464 Depth=1
	s_mov_b32 s20, 0
	s_cbranch_execnz .LBB9_511
.LBB9_510:                              ;   in Loop: Header=BB9_464 Depth=1
	global_load_dwordx2 v[18:19], v29, s[0:1]
	s_add_i32 s20, s15, -8
	s_add_u32 s0, s0, 8
	s_addc_u32 s1, s1, 0
.LBB9_511:                              ;   in Loop: Header=BB9_464 Depth=1
	s_cmp_gt_u32 s20, 7
	s_cbranch_scc1 .LBB9_515
; %bb.512:                              ;   in Loop: Header=BB9_464 Depth=1
	s_cmp_eq_u32 s20, 0
	s_cbranch_scc1 .LBB9_516
; %bb.513:                              ;   in Loop: Header=BB9_464 Depth=1
	s_mov_b64 s[16:17], 0
	v_mov_b64_e32 v[20:21], 0
	s_mov_b64 s[18:19], s[0:1]
.LBB9_514:                              ;   Parent Loop BB9_464 Depth=1
                                        ; =>  This Inner Loop Header: Depth=2
	global_load_ubyte v6, v29, s[18:19]
	s_add_i32 s20, s20, -1
	s_waitcnt vmcnt(0)
	v_and_b32_e32 v28, 0xffff, v6
	v_lshlrev_b64 v[6:7], s16, v[28:29]
	s_add_u32 s16, s16, 8
	s_addc_u32 s17, s17, 0
	s_add_u32 s18, s18, 1
	s_addc_u32 s19, s19, 0
	v_or_b32_e32 v20, v6, v20
	s_cmp_lg_u32 s20, 0
	v_or_b32_e32 v21, v7, v21
	s_cbranch_scc1 .LBB9_514
	s_branch .LBB9_517
.LBB9_515:                              ;   in Loop: Header=BB9_464 Depth=1
	s_branch .LBB9_518
.LBB9_516:                              ;   in Loop: Header=BB9_464 Depth=1
	v_mov_b64_e32 v[20:21], 0
.LBB9_517:                              ;   in Loop: Header=BB9_464 Depth=1
	s_cbranch_execnz .LBB9_519
.LBB9_518:                              ;   in Loop: Header=BB9_464 Depth=1
	global_load_dwordx2 v[20:21], v29, s[0:1]
.LBB9_519:                              ;   in Loop: Header=BB9_464 Depth=1
	v_readfirstlane_b32 s0, v47
	v_mov_b64_e32 v[6:7], 0
	s_nop 0
	v_cmp_eq_u32_e64 s[0:1], s0, v47
	s_and_saveexec_b64 s[16:17], s[0:1]
	s_cbranch_execz .LBB9_525
; %bb.520:                              ;   in Loop: Header=BB9_464 Depth=1
	global_load_dwordx2 v[24:25], v29, s[42:43] offset:24 sc0 sc1
	s_waitcnt vmcnt(0)
	buffer_inv sc0 sc1
	global_load_dwordx2 v[6:7], v29, s[42:43] offset:40
	global_load_dwordx2 v[22:23], v29, s[42:43]
	s_waitcnt vmcnt(1)
	v_and_b32_e32 v6, v6, v24
	v_and_b32_e32 v7, v7, v25
	v_mul_lo_u32 v7, v7, 24
	v_mul_hi_u32 v27, v6, 24
	v_add_u32_e32 v7, v27, v7
	v_mul_lo_u32 v6, v6, 24
	s_waitcnt vmcnt(0)
	v_lshl_add_u64 v[6:7], v[22:23], 0, v[6:7]
	global_load_dwordx2 v[22:23], v[6:7], off sc0 sc1
	s_waitcnt vmcnt(0)
	global_atomic_cmpswap_x2 v[6:7], v29, v[22:25], s[42:43] offset:24 sc0 sc1
	s_waitcnt vmcnt(0)
	buffer_inv sc0 sc1
	v_cmp_ne_u64_e32 vcc, v[6:7], v[24:25]
	s_and_saveexec_b64 s[18:19], vcc
	s_cbranch_execz .LBB9_524
; %bb.521:                              ;   in Loop: Header=BB9_464 Depth=1
	s_mov_b64 s[20:21], 0
.LBB9_522:                              ;   Parent Loop BB9_464 Depth=1
                                        ; =>  This Inner Loop Header: Depth=2
	s_sleep 1
	global_load_dwordx2 v[22:23], v29, s[42:43] offset:40
	global_load_dwordx2 v[30:31], v29, s[42:43]
	v_mov_b64_e32 v[24:25], v[6:7]
	s_waitcnt vmcnt(1)
	v_and_b32_e32 v6, v22, v24
	s_waitcnt vmcnt(0)
	v_mad_u64_u32 v[6:7], s[22:23], v6, 24, v[30:31]
	v_and_b32_e32 v23, v23, v25
	v_mov_b32_e32 v22, v7
	v_mad_u64_u32 v[22:23], s[22:23], v23, 24, v[22:23]
	v_mov_b32_e32 v7, v22
	global_load_dwordx2 v[22:23], v[6:7], off sc0 sc1
	s_waitcnt vmcnt(0)
	global_atomic_cmpswap_x2 v[6:7], v29, v[22:25], s[42:43] offset:24 sc0 sc1
	s_waitcnt vmcnt(0)
	buffer_inv sc0 sc1
	v_cmp_eq_u64_e32 vcc, v[6:7], v[24:25]
	s_or_b64 s[20:21], vcc, s[20:21]
	s_andn2_b64 exec, exec, s[20:21]
	s_cbranch_execnz .LBB9_522
; %bb.523:                              ;   in Loop: Header=BB9_464 Depth=1
	s_or_b64 exec, exec, s[20:21]
.LBB9_524:                              ;   in Loop: Header=BB9_464 Depth=1
	s_or_b64 exec, exec, s[18:19]
.LBB9_525:                              ;   in Loop: Header=BB9_464 Depth=1
	s_or_b64 exec, exec, s[16:17]
	global_load_dwordx2 v[30:31], v29, s[42:43] offset:40
	global_load_dwordx4 v[22:25], v29, s[42:43]
	v_readfirstlane_b32 s16, v6
	v_readfirstlane_b32 s17, v7
	s_mov_b64 s[18:19], exec
	s_waitcnt vmcnt(1)
	v_readfirstlane_b32 s20, v30
	v_readfirstlane_b32 s21, v31
	s_and_b64 s[20:21], s[16:17], s[20:21]
	s_mul_i32 s15, s21, 24
	s_mul_hi_u32 s22, s20, 24
	s_add_i32 s23, s22, s15
	s_mul_i32 s22, s20, 24
	s_waitcnt vmcnt(0)
	v_lshl_add_u64 v[30:31], v[22:23], 0, s[22:23]
	s_and_saveexec_b64 s[22:23], s[0:1]
	s_cbranch_execz .LBB9_527
; %bb.526:                              ;   in Loop: Header=BB9_464 Depth=1
	v_mov_b64_e32 v[6:7], s[18:19]
	global_store_dwordx4 v[30:31], v[6:9], off offset:8
.LBB9_527:                              ;   in Loop: Header=BB9_464 Depth=1
	s_or_b64 exec, exec, s[22:23]
	s_lshl_b64 s[18:19], s[20:21], 12
	v_lshl_add_u64 v[6:7], v[24:25], 0, s[18:19]
	v_or_b32_e32 v25, v0, v26
	v_cmp_gt_u64_e64 vcc, s[6:7], 56
	s_lshl_b32 s15, s10, 2
	s_add_i32 s15, s15, 28
	v_cndmask_b32_e32 v0, v25, v0, vcc
	v_or_b32_e32 v24, 0, v1
	s_and_b32 s15, s15, 0x1e0
	v_and_b32_e32 v0, 0xffffff1f, v0
	v_cndmask_b32_e32 v1, v24, v1, vcc
	v_or_b32_e32 v0, s15, v0
	v_readfirstlane_b32 s18, v6
	v_readfirstlane_b32 s19, v7
	s_nop 4
	global_store_dwordx4 v36, v[0:3], s[18:19]
	global_store_dwordx4 v36, v[10:13], s[18:19] offset:16
	global_store_dwordx4 v36, v[14:17], s[18:19] offset:32
	global_store_dwordx4 v36, v[18:21], s[18:19] offset:48
	s_and_saveexec_b64 s[18:19], s[0:1]
	s_cbranch_execz .LBB9_535
; %bb.528:                              ;   in Loop: Header=BB9_464 Depth=1
	global_load_dwordx2 v[14:15], v29, s[42:43] offset:32 sc0 sc1
	global_load_dwordx2 v[0:1], v29, s[42:43] offset:40
	v_mov_b32_e32 v12, s16
	v_mov_b32_e32 v13, s17
	s_waitcnt vmcnt(0)
	v_readfirstlane_b32 s20, v0
	v_readfirstlane_b32 s21, v1
	s_and_b64 s[20:21], s[20:21], s[16:17]
	s_mul_i32 s15, s21, 24
	s_mul_hi_u32 s21, s20, 24
	s_mul_i32 s20, s20, 24
	s_add_i32 s21, s21, s15
	v_lshl_add_u64 v[10:11], v[22:23], 0, s[20:21]
	global_store_dwordx2 v[10:11], v[14:15], off
	buffer_wbl2 sc0 sc1
	s_waitcnt vmcnt(0)
	global_atomic_cmpswap_x2 v[2:3], v29, v[12:15], s[42:43] offset:32 sc0 sc1
	s_waitcnt vmcnt(0)
	v_cmp_ne_u64_e32 vcc, v[2:3], v[14:15]
	s_and_saveexec_b64 s[20:21], vcc
	s_cbranch_execz .LBB9_531
; %bb.529:                              ;   in Loop: Header=BB9_464 Depth=1
	s_mov_b64 s[22:23], 0
.LBB9_530:                              ;   Parent Loop BB9_464 Depth=1
                                        ; =>  This Inner Loop Header: Depth=2
	s_sleep 1
	global_store_dwordx2 v[10:11], v[2:3], off
	v_mov_b32_e32 v0, s16
	v_mov_b32_e32 v1, s17
	buffer_wbl2 sc0 sc1
	s_waitcnt vmcnt(0)
	global_atomic_cmpswap_x2 v[0:1], v29, v[0:3], s[42:43] offset:32 sc0 sc1
	s_waitcnt vmcnt(0)
	v_cmp_eq_u64_e32 vcc, v[0:1], v[2:3]
	s_or_b64 s[22:23], vcc, s[22:23]
	v_mov_b64_e32 v[2:3], v[0:1]
	s_andn2_b64 exec, exec, s[22:23]
	s_cbranch_execnz .LBB9_530
.LBB9_531:                              ;   in Loop: Header=BB9_464 Depth=1
	s_or_b64 exec, exec, s[20:21]
	global_load_dwordx2 v[0:1], v29, s[42:43] offset:16
	s_mov_b64 s[22:23], exec
	v_mbcnt_lo_u32_b32 v2, s22, 0
	v_mbcnt_hi_u32_b32 v2, s23, v2
	v_cmp_eq_u32_e32 vcc, 0, v2
	s_and_saveexec_b64 s[20:21], vcc
	s_cbranch_execz .LBB9_533
; %bb.532:                              ;   in Loop: Header=BB9_464 Depth=1
	s_bcnt1_i32_b64 s15, s[22:23]
	v_mov_b32_e32 v28, s15
	buffer_wbl2 sc0 sc1
	s_waitcnt vmcnt(0)
	global_atomic_add_x2 v[0:1], v[28:29], off offset:8 sc1
.LBB9_533:                              ;   in Loop: Header=BB9_464 Depth=1
	s_or_b64 exec, exec, s[20:21]
	s_waitcnt vmcnt(0)
	global_load_dwordx2 v[2:3], v[0:1], off offset:16
	s_waitcnt vmcnt(0)
	v_cmp_eq_u64_e32 vcc, 0, v[2:3]
	s_cbranch_vccnz .LBB9_535
; %bb.534:                              ;   in Loop: Header=BB9_464 Depth=1
	global_load_dword v28, v[0:1], off offset:24
	s_waitcnt vmcnt(0)
	v_and_b32_e32 v0, 0xffffff, v28
	s_nop 0
	v_readfirstlane_b32 m0, v0
	buffer_wbl2 sc0 sc1
	global_store_dwordx2 v[2:3], v[28:29], off sc0 sc1
	s_sendmsg sendmsg(MSG_INTERRUPT)
.LBB9_535:                              ;   in Loop: Header=BB9_464 Depth=1
	s_or_b64 exec, exec, s[18:19]
	v_mov_b32_e32 v37, v29
	v_lshl_add_u64 v[0:1], v[6:7], 0, v[36:37]
	s_branch .LBB9_539
.LBB9_536:                              ;   in Loop: Header=BB9_539 Depth=2
	s_or_b64 exec, exec, s[18:19]
	v_readfirstlane_b32 s15, v2
	s_cmp_eq_u32 s15, 0
	s_cbranch_scc1 .LBB9_538
; %bb.537:                              ;   in Loop: Header=BB9_539 Depth=2
	s_sleep 1
	s_cbranch_execnz .LBB9_539
	s_branch .LBB9_541
.LBB9_538:                              ;   in Loop: Header=BB9_464 Depth=1
	s_branch .LBB9_541
.LBB9_539:                              ;   Parent Loop BB9_464 Depth=1
                                        ; =>  This Inner Loop Header: Depth=2
	v_mov_b32_e32 v2, 1
	s_and_saveexec_b64 s[18:19], s[0:1]
	s_cbranch_execz .LBB9_536
; %bb.540:                              ;   in Loop: Header=BB9_539 Depth=2
	global_load_dword v2, v[30:31], off offset:20 sc0 sc1
	s_waitcnt vmcnt(0)
	buffer_inv sc0 sc1
	v_and_b32_e32 v2, 1, v2
	s_branch .LBB9_536
.LBB9_541:                              ;   in Loop: Header=BB9_464 Depth=1
	global_load_dwordx4 v[0:3], v[0:1], off
	s_and_saveexec_b64 s[18:19], s[0:1]
	s_cbranch_execz .LBB9_463
; %bb.542:                              ;   in Loop: Header=BB9_464 Depth=1
	global_load_dwordx2 v[2:3], v29, s[42:43] offset:40
	global_load_dwordx2 v[6:7], v29, s[42:43] offset:24 sc0 sc1
	global_load_dwordx2 v[14:15], v29, s[42:43]
	s_waitcnt vmcnt(2)
	v_lshl_add_u64 v[10:11], v[2:3], 0, 1
	v_lshl_add_u64 v[16:17], v[10:11], 0, s[16:17]
	v_cmp_eq_u64_e32 vcc, 0, v[16:17]
	s_waitcnt vmcnt(1)
	v_mov_b32_e32 v12, v6
	v_cndmask_b32_e32 v11, v17, v11, vcc
	v_cndmask_b32_e32 v10, v16, v10, vcc
	v_and_b32_e32 v3, v11, v3
	v_and_b32_e32 v2, v10, v2
	v_mul_lo_u32 v3, v3, 24
	v_mul_hi_u32 v13, v2, 24
	v_mul_lo_u32 v2, v2, 24
	v_add_u32_e32 v3, v13, v3
	s_waitcnt vmcnt(0)
	v_lshl_add_u64 v[2:3], v[14:15], 0, v[2:3]
	global_store_dwordx2 v[2:3], v[6:7], off
	v_mov_b32_e32 v13, v7
	buffer_wbl2 sc0 sc1
	s_waitcnt vmcnt(0)
	global_atomic_cmpswap_x2 v[12:13], v29, v[10:13], s[42:43] offset:24 sc0 sc1
	s_waitcnt vmcnt(0)
	v_cmp_ne_u64_e32 vcc, v[12:13], v[6:7]
	s_and_b64 exec, exec, vcc
	s_cbranch_execz .LBB9_463
; %bb.543:                              ;   in Loop: Header=BB9_464 Depth=1
	s_mov_b64 s[0:1], 0
.LBB9_544:                              ;   Parent Loop BB9_464 Depth=1
                                        ; =>  This Inner Loop Header: Depth=2
	s_sleep 1
	global_store_dwordx2 v[2:3], v[12:13], off
	buffer_wbl2 sc0 sc1
	s_waitcnt vmcnt(0)
	global_atomic_cmpswap_x2 v[6:7], v29, v[10:13], s[42:43] offset:24 sc0 sc1
	s_waitcnt vmcnt(0)
	v_cmp_eq_u64_e32 vcc, v[6:7], v[12:13]
	s_or_b64 s[0:1], vcc, s[0:1]
	v_mov_b64_e32 v[12:13], v[6:7]
	s_andn2_b64 exec, exec, s[0:1]
	s_cbranch_execnz .LBB9_544
	s_branch .LBB9_463
.LBB9_545:
	s_branch .LBB9_573
.LBB9_546:
                                        ; implicit-def: $vgpr0_vgpr1
	s_cbranch_execz .LBB9_573
; %bb.547:
	v_readfirstlane_b32 s0, v47
	v_mov_b64_e32 v[6:7], 0
	s_nop 0
	v_cmp_eq_u32_e64 s[0:1], s0, v47
	s_and_saveexec_b64 s[4:5], s[0:1]
	s_cbranch_execz .LBB9_553
; %bb.548:
	s_waitcnt vmcnt(0)
	v_mov_b32_e32 v0, 0
	global_load_dwordx2 v[8:9], v0, s[42:43] offset:24 sc0 sc1
	s_waitcnt vmcnt(0)
	buffer_inv sc0 sc1
	global_load_dwordx2 v[2:3], v0, s[42:43] offset:40
	global_load_dwordx2 v[6:7], v0, s[42:43]
	s_waitcnt vmcnt(1)
	v_and_b32_e32 v1, v2, v8
	v_and_b32_e32 v2, v3, v9
	v_mul_lo_u32 v2, v2, 24
	v_mul_hi_u32 v3, v1, 24
	v_add_u32_e32 v3, v3, v2
	v_mul_lo_u32 v2, v1, 24
	s_waitcnt vmcnt(0)
	v_lshl_add_u64 v[2:3], v[6:7], 0, v[2:3]
	global_load_dwordx2 v[6:7], v[2:3], off sc0 sc1
	s_waitcnt vmcnt(0)
	global_atomic_cmpswap_x2 v[6:7], v0, v[6:9], s[42:43] offset:24 sc0 sc1
	s_waitcnt vmcnt(0)
	buffer_inv sc0 sc1
	v_cmp_ne_u64_e32 vcc, v[6:7], v[8:9]
	s_and_saveexec_b64 s[6:7], vcc
	s_cbranch_execz .LBB9_552
; %bb.549:
	s_mov_b64 s[10:11], 0
.LBB9_550:                              ; =>This Inner Loop Header: Depth=1
	s_sleep 1
	global_load_dwordx2 v[2:3], v0, s[42:43] offset:40
	global_load_dwordx2 v[10:11], v0, s[42:43]
	v_mov_b64_e32 v[8:9], v[6:7]
	s_waitcnt vmcnt(1)
	v_and_b32_e32 v2, v2, v8
	v_and_b32_e32 v1, v3, v9
	s_waitcnt vmcnt(0)
	v_mad_u64_u32 v[2:3], s[16:17], v2, 24, v[10:11]
	v_mov_b32_e32 v6, v3
	v_mad_u64_u32 v[6:7], s[16:17], v1, 24, v[6:7]
	v_mov_b32_e32 v3, v6
	global_load_dwordx2 v[6:7], v[2:3], off sc0 sc1
	s_waitcnt vmcnt(0)
	global_atomic_cmpswap_x2 v[6:7], v0, v[6:9], s[42:43] offset:24 sc0 sc1
	s_waitcnt vmcnt(0)
	buffer_inv sc0 sc1
	v_cmp_eq_u64_e32 vcc, v[6:7], v[8:9]
	s_or_b64 s[10:11], vcc, s[10:11]
	s_andn2_b64 exec, exec, s[10:11]
	s_cbranch_execnz .LBB9_550
; %bb.551:
	s_or_b64 exec, exec, s[10:11]
.LBB9_552:
	s_or_b64 exec, exec, s[6:7]
.LBB9_553:
	s_or_b64 exec, exec, s[4:5]
	v_mov_b32_e32 v37, 0
	global_load_dwordx2 v[8:9], v37, s[42:43] offset:40
	global_load_dwordx4 v[0:3], v37, s[42:43]
	v_readfirstlane_b32 s4, v6
	v_readfirstlane_b32 s5, v7
	s_mov_b64 s[6:7], exec
	s_waitcnt vmcnt(1)
	v_readfirstlane_b32 s10, v8
	v_readfirstlane_b32 s11, v9
	s_and_b64 s[10:11], s[4:5], s[10:11]
	s_mul_i32 s15, s11, 24
	s_mul_hi_u32 s16, s10, 24
	s_add_i32 s17, s16, s15
	s_mul_i32 s16, s10, 24
	s_waitcnt vmcnt(0)
	v_lshl_add_u64 v[8:9], v[0:1], 0, s[16:17]
	s_and_saveexec_b64 s[16:17], s[0:1]
	s_cbranch_execz .LBB9_555
; %bb.554:
	v_mov_b64_e32 v[10:11], s[6:7]
	v_mov_b32_e32 v12, 2
	v_mov_b32_e32 v13, 1
	global_store_dwordx4 v[8:9], v[10:13], off offset:8
.LBB9_555:
	s_or_b64 exec, exec, s[16:17]
	s_lshl_b64 s[6:7], s[10:11], 12
	v_lshl_add_u64 v[10:11], v[2:3], 0, s[6:7]
	s_movk_i32 s6, 0xff1f
	s_mov_b32 s16, 0
	v_and_or_b32 v4, v4, s6, 32
	v_mov_b32_e32 v6, v37
	v_mov_b32_e32 v7, v37
	v_readfirstlane_b32 s6, v10
	v_readfirstlane_b32 s7, v11
	s_mov_b32 s17, s16
	s_mov_b32 s18, s16
	;; [unrolled: 1-line block ×3, first 2 shown]
	s_nop 1
	global_store_dwordx4 v36, v[4:7], s[6:7]
	v_mov_b64_e32 v[2:3], s[16:17]
	s_nop 0
	v_mov_b64_e32 v[4:5], s[18:19]
	global_store_dwordx4 v36, v[2:5], s[6:7] offset:16
	global_store_dwordx4 v36, v[2:5], s[6:7] offset:32
	;; [unrolled: 1-line block ×3, first 2 shown]
	s_and_saveexec_b64 s[6:7], s[0:1]
	s_cbranch_execz .LBB9_563
; %bb.556:
	v_mov_b32_e32 v6, 0
	global_load_dwordx2 v[14:15], v6, s[42:43] offset:32 sc0 sc1
	global_load_dwordx2 v[2:3], v6, s[42:43] offset:40
	v_mov_b32_e32 v12, s4
	v_mov_b32_e32 v13, s5
	s_waitcnt vmcnt(0)
	v_readfirstlane_b32 s10, v2
	v_readfirstlane_b32 s11, v3
	s_and_b64 s[10:11], s[10:11], s[4:5]
	s_mul_i32 s11, s11, 24
	s_mul_hi_u32 s15, s10, 24
	s_mul_i32 s10, s10, 24
	s_add_i32 s11, s15, s11
	v_lshl_add_u64 v[4:5], v[0:1], 0, s[10:11]
	global_store_dwordx2 v[4:5], v[14:15], off
	buffer_wbl2 sc0 sc1
	s_waitcnt vmcnt(0)
	global_atomic_cmpswap_x2 v[2:3], v6, v[12:15], s[42:43] offset:32 sc0 sc1
	s_waitcnt vmcnt(0)
	v_cmp_ne_u64_e32 vcc, v[2:3], v[14:15]
	s_and_saveexec_b64 s[10:11], vcc
	s_cbranch_execz .LBB9_559
; %bb.557:
	s_mov_b64 s[16:17], 0
.LBB9_558:                              ; =>This Inner Loop Header: Depth=1
	s_sleep 1
	global_store_dwordx2 v[4:5], v[2:3], off
	v_mov_b32_e32 v0, s4
	v_mov_b32_e32 v1, s5
	buffer_wbl2 sc0 sc1
	s_waitcnt vmcnt(0)
	global_atomic_cmpswap_x2 v[0:1], v6, v[0:3], s[42:43] offset:32 sc0 sc1
	s_waitcnt vmcnt(0)
	v_cmp_eq_u64_e32 vcc, v[0:1], v[2:3]
	s_or_b64 s[16:17], vcc, s[16:17]
	v_mov_b64_e32 v[2:3], v[0:1]
	s_andn2_b64 exec, exec, s[16:17]
	s_cbranch_execnz .LBB9_558
.LBB9_559:
	s_or_b64 exec, exec, s[10:11]
	v_mov_b32_e32 v3, 0
	global_load_dwordx2 v[0:1], v3, s[42:43] offset:16
	s_mov_b64 s[10:11], exec
	v_mbcnt_lo_u32_b32 v2, s10, 0
	v_mbcnt_hi_u32_b32 v2, s11, v2
	v_cmp_eq_u32_e32 vcc, 0, v2
	s_and_saveexec_b64 s[16:17], vcc
	s_cbranch_execz .LBB9_561
; %bb.560:
	s_bcnt1_i32_b64 s10, s[10:11]
	v_mov_b32_e32 v2, s10
	buffer_wbl2 sc0 sc1
	s_waitcnt vmcnt(0)
	global_atomic_add_x2 v[0:1], v[2:3], off offset:8 sc1
.LBB9_561:
	s_or_b64 exec, exec, s[16:17]
	s_waitcnt vmcnt(0)
	global_load_dwordx2 v[2:3], v[0:1], off offset:16
	s_waitcnt vmcnt(0)
	v_cmp_eq_u64_e32 vcc, 0, v[2:3]
	s_cbranch_vccnz .LBB9_563
; %bb.562:
	global_load_dword v0, v[0:1], off offset:24
	v_mov_b32_e32 v1, 0
	buffer_wbl2 sc0 sc1
	s_waitcnt vmcnt(0)
	global_store_dwordx2 v[2:3], v[0:1], off sc0 sc1
	v_and_b32_e32 v0, 0xffffff, v0
	s_nop 0
	v_readfirstlane_b32 m0, v0
	s_sendmsg sendmsg(MSG_INTERRUPT)
.LBB9_563:
	s_or_b64 exec, exec, s[6:7]
	v_lshl_add_u64 v[0:1], v[10:11], 0, v[36:37]
	s_branch .LBB9_567
.LBB9_564:                              ;   in Loop: Header=BB9_567 Depth=1
	s_or_b64 exec, exec, s[6:7]
	v_readfirstlane_b32 s6, v2
	s_cmp_eq_u32 s6, 0
	s_cbranch_scc1 .LBB9_566
; %bb.565:                              ;   in Loop: Header=BB9_567 Depth=1
	s_sleep 1
	s_cbranch_execnz .LBB9_567
	s_branch .LBB9_569
.LBB9_566:
	s_branch .LBB9_569
.LBB9_567:                              ; =>This Inner Loop Header: Depth=1
	v_mov_b32_e32 v2, 1
	s_and_saveexec_b64 s[6:7], s[0:1]
	s_cbranch_execz .LBB9_564
; %bb.568:                              ;   in Loop: Header=BB9_567 Depth=1
	global_load_dword v2, v[8:9], off offset:20 sc0 sc1
	s_waitcnt vmcnt(0)
	buffer_inv sc0 sc1
	v_and_b32_e32 v2, 1, v2
	s_branch .LBB9_564
.LBB9_569:
	global_load_dwordx2 v[0:1], v[0:1], off
	s_and_saveexec_b64 s[6:7], s[0:1]
	s_cbranch_execz .LBB9_572
; %bb.570:
	v_mov_b32_e32 v8, 0
	global_load_dwordx2 v[6:7], v8, s[42:43] offset:40
	global_load_dwordx2 v[10:11], v8, s[42:43] offset:24 sc0 sc1
	global_load_dwordx2 v[12:13], v8, s[42:43]
	s_mov_b64 s[0:1], 0
	s_waitcnt vmcnt(2)
	v_lshl_add_u64 v[2:3], v[6:7], 0, 1
	v_lshl_add_u64 v[14:15], v[2:3], 0, s[4:5]
	v_cmp_eq_u64_e32 vcc, 0, v[14:15]
	s_waitcnt vmcnt(1)
	v_mov_b32_e32 v4, v10
	v_cndmask_b32_e32 v3, v15, v3, vcc
	v_cndmask_b32_e32 v2, v14, v2, vcc
	v_and_b32_e32 v5, v3, v7
	v_and_b32_e32 v6, v2, v6
	v_mul_lo_u32 v5, v5, 24
	v_mul_hi_u32 v7, v6, 24
	v_mul_lo_u32 v6, v6, 24
	v_add_u32_e32 v7, v7, v5
	s_waitcnt vmcnt(0)
	v_lshl_add_u64 v[6:7], v[12:13], 0, v[6:7]
	global_store_dwordx2 v[6:7], v[10:11], off
	v_mov_b32_e32 v5, v11
	buffer_wbl2 sc0 sc1
	s_waitcnt vmcnt(0)
	global_atomic_cmpswap_x2 v[4:5], v8, v[2:5], s[42:43] offset:24 sc0 sc1
	s_waitcnt vmcnt(0)
	v_cmp_ne_u64_e32 vcc, v[4:5], v[10:11]
	s_and_b64 exec, exec, vcc
	s_cbranch_execz .LBB9_572
.LBB9_571:                              ; =>This Inner Loop Header: Depth=1
	s_sleep 1
	global_store_dwordx2 v[6:7], v[4:5], off
	buffer_wbl2 sc0 sc1
	s_waitcnt vmcnt(0)
	global_atomic_cmpswap_x2 v[10:11], v8, v[2:5], s[42:43] offset:24 sc0 sc1
	s_waitcnt vmcnt(0)
	v_cmp_eq_u64_e32 vcc, v[10:11], v[4:5]
	s_or_b64 s[0:1], vcc, s[0:1]
	v_mov_b64_e32 v[4:5], v[10:11]
	s_andn2_b64 exec, exec, s[0:1]
	s_cbranch_execnz .LBB9_571
.LBB9_572:
	s_or_b64 exec, exec, s[6:7]
.LBB9_573:
	s_getpc_b64 s[4:5]
	s_add_u32 s4, s4, .str.1@rel32@lo+4
	s_addc_u32 s5, s5, .str.1@rel32@hi+12
	s_cmp_lg_u64 s[4:5], 0
	s_cbranch_scc0 .LBB9_658
; %bb.574:
	s_waitcnt vmcnt(0)
	v_and_b32_e32 v6, -3, v0
	v_mov_b32_e32 v7, v1
	s_mov_b64 s[6:7], 0x53
	v_mov_b32_e32 v27, 0
	v_mov_b32_e32 v4, 2
	;; [unrolled: 1-line block ×3, first 2 shown]
	s_branch .LBB9_576
.LBB9_575:                              ;   in Loop: Header=BB9_576 Depth=1
	s_or_b64 exec, exec, s[18:19]
	s_sub_u32 s6, s6, s10
	s_subb_u32 s7, s7, s11
	s_add_u32 s4, s4, s10
	s_addc_u32 s5, s5, s11
	s_cmp_lg_u64 s[6:7], 0
	s_cbranch_scc0 .LBB9_657
.LBB9_576:                              ; =>This Loop Header: Depth=1
                                        ;     Child Loop BB9_579 Depth 2
                                        ;     Child Loop BB9_586 Depth 2
                                        ;     Child Loop BB9_594 Depth 2
                                        ;     Child Loop BB9_602 Depth 2
                                        ;     Child Loop BB9_610 Depth 2
                                        ;     Child Loop BB9_618 Depth 2
                                        ;     Child Loop BB9_626 Depth 2
                                        ;     Child Loop BB9_634 Depth 2
                                        ;     Child Loop BB9_642 Depth 2
                                        ;     Child Loop BB9_651 Depth 2
                                        ;     Child Loop BB9_656 Depth 2
	v_cmp_lt_u64_e64 s[0:1], s[6:7], 56
	s_and_b64 s[0:1], s[0:1], exec
	v_cmp_gt_u64_e64 s[0:1], s[6:7], 7
	s_cselect_b32 s11, s7, 0
	s_cselect_b32 s10, s6, 56
	s_and_b64 vcc, exec, s[0:1]
	s_cbranch_vccnz .LBB9_581
; %bb.577:                              ;   in Loop: Header=BB9_576 Depth=1
	s_mov_b64 s[0:1], 0
	s_cmp_eq_u64 s[6:7], 0
	s_waitcnt vmcnt(0)
	v_mov_b64_e32 v[8:9], 0
	s_cbranch_scc1 .LBB9_580
; %bb.578:                              ;   in Loop: Header=BB9_576 Depth=1
	s_lshl_b64 s[16:17], s[10:11], 3
	s_mov_b64 s[18:19], 0
	v_mov_b64_e32 v[8:9], 0
	s_mov_b64 s[20:21], s[4:5]
.LBB9_579:                              ;   Parent Loop BB9_576 Depth=1
                                        ; =>  This Inner Loop Header: Depth=2
	global_load_ubyte v2, v27, s[20:21]
	s_waitcnt vmcnt(0)
	v_and_b32_e32 v26, 0xffff, v2
	v_lshlrev_b64 v[2:3], s18, v[26:27]
	s_add_u32 s18, s18, 8
	s_addc_u32 s19, s19, 0
	s_add_u32 s20, s20, 1
	s_addc_u32 s21, s21, 0
	v_or_b32_e32 v8, v2, v8
	s_cmp_lg_u32 s16, s18
	v_or_b32_e32 v9, v3, v9
	s_cbranch_scc1 .LBB9_579
.LBB9_580:                              ;   in Loop: Header=BB9_576 Depth=1
	s_mov_b32 s15, 0
	s_andn2_b64 vcc, exec, s[0:1]
	s_mov_b64 s[0:1], s[4:5]
	s_cbranch_vccz .LBB9_582
	s_branch .LBB9_583
.LBB9_581:                              ;   in Loop: Header=BB9_576 Depth=1
                                        ; implicit-def: $sgpr15
	s_mov_b64 s[0:1], s[4:5]
.LBB9_582:                              ;   in Loop: Header=BB9_576 Depth=1
	global_load_dwordx2 v[8:9], v27, s[4:5]
	s_add_i32 s15, s10, -8
	s_add_u32 s0, s4, 8
	s_addc_u32 s1, s5, 0
.LBB9_583:                              ;   in Loop: Header=BB9_576 Depth=1
	s_cmp_gt_u32 s15, 7
	s_cbranch_scc1 .LBB9_587
; %bb.584:                              ;   in Loop: Header=BB9_576 Depth=1
	s_cmp_eq_u32 s15, 0
	s_cbranch_scc1 .LBB9_588
; %bb.585:                              ;   in Loop: Header=BB9_576 Depth=1
	s_mov_b64 s[16:17], 0
	v_mov_b64_e32 v[10:11], 0
	s_mov_b64 s[18:19], 0
.LBB9_586:                              ;   Parent Loop BB9_576 Depth=1
                                        ; =>  This Inner Loop Header: Depth=2
	s_add_u32 s20, s0, s18
	s_addc_u32 s21, s1, s19
	global_load_ubyte v2, v27, s[20:21]
	s_add_u32 s18, s18, 1
	s_addc_u32 s19, s19, 0
	s_waitcnt vmcnt(0)
	v_and_b32_e32 v26, 0xffff, v2
	v_lshlrev_b64 v[2:3], s16, v[26:27]
	s_add_u32 s16, s16, 8
	s_addc_u32 s17, s17, 0
	v_or_b32_e32 v10, v2, v10
	s_cmp_lg_u32 s15, s18
	v_or_b32_e32 v11, v3, v11
	s_cbranch_scc1 .LBB9_586
	s_branch .LBB9_589
.LBB9_587:                              ;   in Loop: Header=BB9_576 Depth=1
                                        ; implicit-def: $vgpr10_vgpr11
                                        ; implicit-def: $sgpr20
	s_branch .LBB9_590
.LBB9_588:                              ;   in Loop: Header=BB9_576 Depth=1
	v_mov_b64_e32 v[10:11], 0
.LBB9_589:                              ;   in Loop: Header=BB9_576 Depth=1
	s_mov_b32 s20, 0
	s_cbranch_execnz .LBB9_591
.LBB9_590:                              ;   in Loop: Header=BB9_576 Depth=1
	global_load_dwordx2 v[10:11], v27, s[0:1]
	s_add_i32 s20, s15, -8
	s_add_u32 s0, s0, 8
	s_addc_u32 s1, s1, 0
.LBB9_591:                              ;   in Loop: Header=BB9_576 Depth=1
	s_cmp_gt_u32 s20, 7
	s_cbranch_scc1 .LBB9_595
; %bb.592:                              ;   in Loop: Header=BB9_576 Depth=1
	s_cmp_eq_u32 s20, 0
	s_cbranch_scc1 .LBB9_596
; %bb.593:                              ;   in Loop: Header=BB9_576 Depth=1
	s_mov_b64 s[16:17], 0
	v_mov_b64_e32 v[12:13], 0
	s_mov_b64 s[18:19], 0
.LBB9_594:                              ;   Parent Loop BB9_576 Depth=1
                                        ; =>  This Inner Loop Header: Depth=2
	s_add_u32 s22, s0, s18
	s_addc_u32 s23, s1, s19
	global_load_ubyte v2, v27, s[22:23]
	s_add_u32 s18, s18, 1
	s_addc_u32 s19, s19, 0
	s_waitcnt vmcnt(0)
	v_and_b32_e32 v26, 0xffff, v2
	v_lshlrev_b64 v[2:3], s16, v[26:27]
	s_add_u32 s16, s16, 8
	s_addc_u32 s17, s17, 0
	v_or_b32_e32 v12, v2, v12
	s_cmp_lg_u32 s20, s18
	v_or_b32_e32 v13, v3, v13
	s_cbranch_scc1 .LBB9_594
	s_branch .LBB9_597
.LBB9_595:                              ;   in Loop: Header=BB9_576 Depth=1
                                        ; implicit-def: $sgpr15
	s_branch .LBB9_598
.LBB9_596:                              ;   in Loop: Header=BB9_576 Depth=1
	v_mov_b64_e32 v[12:13], 0
.LBB9_597:                              ;   in Loop: Header=BB9_576 Depth=1
	s_mov_b32 s15, 0
	s_cbranch_execnz .LBB9_599
.LBB9_598:                              ;   in Loop: Header=BB9_576 Depth=1
	global_load_dwordx2 v[12:13], v27, s[0:1]
	s_add_i32 s15, s20, -8
	s_add_u32 s0, s0, 8
	s_addc_u32 s1, s1, 0
.LBB9_599:                              ;   in Loop: Header=BB9_576 Depth=1
	s_cmp_gt_u32 s15, 7
	s_cbranch_scc1 .LBB9_603
; %bb.600:                              ;   in Loop: Header=BB9_576 Depth=1
	s_cmp_eq_u32 s15, 0
	s_cbranch_scc1 .LBB9_604
; %bb.601:                              ;   in Loop: Header=BB9_576 Depth=1
	s_mov_b64 s[16:17], 0
	v_mov_b64_e32 v[14:15], 0
	s_mov_b64 s[18:19], 0
.LBB9_602:                              ;   Parent Loop BB9_576 Depth=1
                                        ; =>  This Inner Loop Header: Depth=2
	s_add_u32 s20, s0, s18
	s_addc_u32 s21, s1, s19
	global_load_ubyte v2, v27, s[20:21]
	s_add_u32 s18, s18, 1
	s_addc_u32 s19, s19, 0
	s_waitcnt vmcnt(0)
	v_and_b32_e32 v26, 0xffff, v2
	v_lshlrev_b64 v[2:3], s16, v[26:27]
	s_add_u32 s16, s16, 8
	s_addc_u32 s17, s17, 0
	v_or_b32_e32 v14, v2, v14
	s_cmp_lg_u32 s15, s18
	v_or_b32_e32 v15, v3, v15
	s_cbranch_scc1 .LBB9_602
	s_branch .LBB9_605
.LBB9_603:                              ;   in Loop: Header=BB9_576 Depth=1
                                        ; implicit-def: $vgpr14_vgpr15
                                        ; implicit-def: $sgpr20
	s_branch .LBB9_606
.LBB9_604:                              ;   in Loop: Header=BB9_576 Depth=1
	v_mov_b64_e32 v[14:15], 0
.LBB9_605:                              ;   in Loop: Header=BB9_576 Depth=1
	s_mov_b32 s20, 0
	s_cbranch_execnz .LBB9_607
.LBB9_606:                              ;   in Loop: Header=BB9_576 Depth=1
	global_load_dwordx2 v[14:15], v27, s[0:1]
	s_add_i32 s20, s15, -8
	s_add_u32 s0, s0, 8
	s_addc_u32 s1, s1, 0
.LBB9_607:                              ;   in Loop: Header=BB9_576 Depth=1
	s_cmp_gt_u32 s20, 7
	s_cbranch_scc1 .LBB9_611
; %bb.608:                              ;   in Loop: Header=BB9_576 Depth=1
	s_cmp_eq_u32 s20, 0
	s_cbranch_scc1 .LBB9_612
; %bb.609:                              ;   in Loop: Header=BB9_576 Depth=1
	s_mov_b64 s[16:17], 0
	v_mov_b64_e32 v[16:17], 0
	s_mov_b64 s[18:19], 0
.LBB9_610:                              ;   Parent Loop BB9_576 Depth=1
                                        ; =>  This Inner Loop Header: Depth=2
	s_add_u32 s22, s0, s18
	s_addc_u32 s23, s1, s19
	global_load_ubyte v2, v27, s[22:23]
	s_add_u32 s18, s18, 1
	s_addc_u32 s19, s19, 0
	s_waitcnt vmcnt(0)
	v_and_b32_e32 v26, 0xffff, v2
	v_lshlrev_b64 v[2:3], s16, v[26:27]
	s_add_u32 s16, s16, 8
	s_addc_u32 s17, s17, 0
	v_or_b32_e32 v16, v2, v16
	s_cmp_lg_u32 s20, s18
	v_or_b32_e32 v17, v3, v17
	s_cbranch_scc1 .LBB9_610
	s_branch .LBB9_613
.LBB9_611:                              ;   in Loop: Header=BB9_576 Depth=1
                                        ; implicit-def: $sgpr15
	s_branch .LBB9_614
.LBB9_612:                              ;   in Loop: Header=BB9_576 Depth=1
	v_mov_b64_e32 v[16:17], 0
.LBB9_613:                              ;   in Loop: Header=BB9_576 Depth=1
	s_mov_b32 s15, 0
	s_cbranch_execnz .LBB9_615
.LBB9_614:                              ;   in Loop: Header=BB9_576 Depth=1
	global_load_dwordx2 v[16:17], v27, s[0:1]
	s_add_i32 s15, s20, -8
	s_add_u32 s0, s0, 8
	s_addc_u32 s1, s1, 0
.LBB9_615:                              ;   in Loop: Header=BB9_576 Depth=1
	s_cmp_gt_u32 s15, 7
	s_cbranch_scc1 .LBB9_619
; %bb.616:                              ;   in Loop: Header=BB9_576 Depth=1
	s_cmp_eq_u32 s15, 0
	s_cbranch_scc1 .LBB9_620
; %bb.617:                              ;   in Loop: Header=BB9_576 Depth=1
	s_mov_b64 s[16:17], 0
	v_mov_b64_e32 v[18:19], 0
	s_mov_b64 s[18:19], 0
.LBB9_618:                              ;   Parent Loop BB9_576 Depth=1
                                        ; =>  This Inner Loop Header: Depth=2
	s_add_u32 s20, s0, s18
	s_addc_u32 s21, s1, s19
	global_load_ubyte v2, v27, s[20:21]
	s_add_u32 s18, s18, 1
	s_addc_u32 s19, s19, 0
	s_waitcnt vmcnt(0)
	v_and_b32_e32 v26, 0xffff, v2
	v_lshlrev_b64 v[2:3], s16, v[26:27]
	s_add_u32 s16, s16, 8
	s_addc_u32 s17, s17, 0
	v_or_b32_e32 v18, v2, v18
	s_cmp_lg_u32 s15, s18
	v_or_b32_e32 v19, v3, v19
	s_cbranch_scc1 .LBB9_618
	s_branch .LBB9_621
.LBB9_619:                              ;   in Loop: Header=BB9_576 Depth=1
                                        ; implicit-def: $vgpr18_vgpr19
                                        ; implicit-def: $sgpr20
	s_branch .LBB9_622
.LBB9_620:                              ;   in Loop: Header=BB9_576 Depth=1
	v_mov_b64_e32 v[18:19], 0
.LBB9_621:                              ;   in Loop: Header=BB9_576 Depth=1
	s_mov_b32 s20, 0
	s_cbranch_execnz .LBB9_623
.LBB9_622:                              ;   in Loop: Header=BB9_576 Depth=1
	global_load_dwordx2 v[18:19], v27, s[0:1]
	s_add_i32 s20, s15, -8
	s_add_u32 s0, s0, 8
	s_addc_u32 s1, s1, 0
.LBB9_623:                              ;   in Loop: Header=BB9_576 Depth=1
	s_cmp_gt_u32 s20, 7
	s_cbranch_scc1 .LBB9_627
; %bb.624:                              ;   in Loop: Header=BB9_576 Depth=1
	s_cmp_eq_u32 s20, 0
	s_cbranch_scc1 .LBB9_628
; %bb.625:                              ;   in Loop: Header=BB9_576 Depth=1
	s_mov_b64 s[16:17], 0
	v_mov_b64_e32 v[20:21], 0
	s_mov_b64 s[18:19], s[0:1]
.LBB9_626:                              ;   Parent Loop BB9_576 Depth=1
                                        ; =>  This Inner Loop Header: Depth=2
	global_load_ubyte v2, v27, s[18:19]
	s_add_i32 s20, s20, -1
	s_waitcnt vmcnt(0)
	v_and_b32_e32 v26, 0xffff, v2
	v_lshlrev_b64 v[2:3], s16, v[26:27]
	s_add_u32 s16, s16, 8
	s_addc_u32 s17, s17, 0
	s_add_u32 s18, s18, 1
	s_addc_u32 s19, s19, 0
	v_or_b32_e32 v20, v2, v20
	s_cmp_lg_u32 s20, 0
	v_or_b32_e32 v21, v3, v21
	s_cbranch_scc1 .LBB9_626
	s_branch .LBB9_629
.LBB9_627:                              ;   in Loop: Header=BB9_576 Depth=1
	s_branch .LBB9_630
.LBB9_628:                              ;   in Loop: Header=BB9_576 Depth=1
	v_mov_b64_e32 v[20:21], 0
.LBB9_629:                              ;   in Loop: Header=BB9_576 Depth=1
	s_cbranch_execnz .LBB9_631
.LBB9_630:                              ;   in Loop: Header=BB9_576 Depth=1
	global_load_dwordx2 v[20:21], v27, s[0:1]
.LBB9_631:                              ;   in Loop: Header=BB9_576 Depth=1
	v_readfirstlane_b32 s0, v47
	v_mov_b64_e32 v[2:3], 0
	s_nop 0
	v_cmp_eq_u32_e64 s[0:1], s0, v47
	s_and_saveexec_b64 s[16:17], s[0:1]
	s_cbranch_execz .LBB9_637
; %bb.632:                              ;   in Loop: Header=BB9_576 Depth=1
	global_load_dwordx2 v[24:25], v27, s[42:43] offset:24 sc0 sc1
	s_waitcnt vmcnt(0)
	buffer_inv sc0 sc1
	global_load_dwordx2 v[2:3], v27, s[42:43] offset:40
	global_load_dwordx2 v[22:23], v27, s[42:43]
	s_waitcnt vmcnt(1)
	v_and_b32_e32 v2, v2, v24
	v_and_b32_e32 v3, v3, v25
	v_mul_lo_u32 v3, v3, 24
	v_mul_hi_u32 v26, v2, 24
	v_add_u32_e32 v3, v26, v3
	v_mul_lo_u32 v2, v2, 24
	s_waitcnt vmcnt(0)
	v_lshl_add_u64 v[2:3], v[22:23], 0, v[2:3]
	global_load_dwordx2 v[22:23], v[2:3], off sc0 sc1
	s_waitcnt vmcnt(0)
	global_atomic_cmpswap_x2 v[2:3], v27, v[22:25], s[42:43] offset:24 sc0 sc1
	s_waitcnt vmcnt(0)
	buffer_inv sc0 sc1
	v_cmp_ne_u64_e32 vcc, v[2:3], v[24:25]
	s_and_saveexec_b64 s[18:19], vcc
	s_cbranch_execz .LBB9_636
; %bb.633:                              ;   in Loop: Header=BB9_576 Depth=1
	s_mov_b64 s[20:21], 0
.LBB9_634:                              ;   Parent Loop BB9_576 Depth=1
                                        ; =>  This Inner Loop Header: Depth=2
	s_sleep 1
	global_load_dwordx2 v[22:23], v27, s[42:43] offset:40
	global_load_dwordx2 v[28:29], v27, s[42:43]
	v_mov_b64_e32 v[24:25], v[2:3]
	s_waitcnt vmcnt(1)
	v_and_b32_e32 v2, v22, v24
	s_waitcnt vmcnt(0)
	v_mad_u64_u32 v[2:3], s[22:23], v2, 24, v[28:29]
	v_and_b32_e32 v23, v23, v25
	v_mov_b32_e32 v22, v3
	v_mad_u64_u32 v[22:23], s[22:23], v23, 24, v[22:23]
	v_mov_b32_e32 v3, v22
	global_load_dwordx2 v[22:23], v[2:3], off sc0 sc1
	s_waitcnt vmcnt(0)
	global_atomic_cmpswap_x2 v[2:3], v27, v[22:25], s[42:43] offset:24 sc0 sc1
	s_waitcnt vmcnt(0)
	buffer_inv sc0 sc1
	v_cmp_eq_u64_e32 vcc, v[2:3], v[24:25]
	s_or_b64 s[20:21], vcc, s[20:21]
	s_andn2_b64 exec, exec, s[20:21]
	s_cbranch_execnz .LBB9_634
; %bb.635:                              ;   in Loop: Header=BB9_576 Depth=1
	s_or_b64 exec, exec, s[20:21]
.LBB9_636:                              ;   in Loop: Header=BB9_576 Depth=1
	s_or_b64 exec, exec, s[18:19]
.LBB9_637:                              ;   in Loop: Header=BB9_576 Depth=1
	s_or_b64 exec, exec, s[16:17]
	global_load_dwordx2 v[28:29], v27, s[42:43] offset:40
	global_load_dwordx4 v[22:25], v27, s[42:43]
	v_readfirstlane_b32 s16, v2
	v_readfirstlane_b32 s17, v3
	s_mov_b64 s[18:19], exec
	s_waitcnt vmcnt(1)
	v_readfirstlane_b32 s20, v28
	v_readfirstlane_b32 s21, v29
	s_and_b64 s[20:21], s[16:17], s[20:21]
	s_mul_i32 s15, s21, 24
	s_mul_hi_u32 s22, s20, 24
	s_add_i32 s23, s22, s15
	s_mul_i32 s22, s20, 24
	s_waitcnt vmcnt(0)
	v_lshl_add_u64 v[28:29], v[22:23], 0, s[22:23]
	s_and_saveexec_b64 s[22:23], s[0:1]
	s_cbranch_execz .LBB9_639
; %bb.638:                              ;   in Loop: Header=BB9_576 Depth=1
	v_mov_b64_e32 v[2:3], s[18:19]
	global_store_dwordx4 v[28:29], v[2:5], off offset:8
.LBB9_639:                              ;   in Loop: Header=BB9_576 Depth=1
	s_or_b64 exec, exec, s[22:23]
	s_lshl_b64 s[18:19], s[20:21], 12
	v_lshl_add_u64 v[2:3], v[24:25], 0, s[18:19]
	v_or_b32_e32 v24, 2, v6
	v_cmp_gt_u64_e64 vcc, s[6:7], 56
	s_lshl_b32 s15, s10, 2
	s_add_i32 s15, s15, 28
	v_cndmask_b32_e32 v6, v24, v6, vcc
	s_and_b32 s15, s15, 0x1e0
	v_and_b32_e32 v6, 0xffffff1f, v6
	v_or_b32_e32 v6, s15, v6
	v_readfirstlane_b32 s18, v2
	v_readfirstlane_b32 s19, v3
	s_nop 4
	global_store_dwordx4 v36, v[6:9], s[18:19]
	global_store_dwordx4 v36, v[10:13], s[18:19] offset:16
	global_store_dwordx4 v36, v[14:17], s[18:19] offset:32
	;; [unrolled: 1-line block ×3, first 2 shown]
	s_and_saveexec_b64 s[18:19], s[0:1]
	s_cbranch_execz .LBB9_647
; %bb.640:                              ;   in Loop: Header=BB9_576 Depth=1
	global_load_dwordx2 v[14:15], v27, s[42:43] offset:32 sc0 sc1
	global_load_dwordx2 v[6:7], v27, s[42:43] offset:40
	v_mov_b32_e32 v12, s16
	v_mov_b32_e32 v13, s17
	s_waitcnt vmcnt(0)
	v_readfirstlane_b32 s20, v6
	v_readfirstlane_b32 s21, v7
	s_and_b64 s[20:21], s[20:21], s[16:17]
	s_mul_i32 s15, s21, 24
	s_mul_hi_u32 s21, s20, 24
	s_mul_i32 s20, s20, 24
	s_add_i32 s21, s21, s15
	v_lshl_add_u64 v[10:11], v[22:23], 0, s[20:21]
	global_store_dwordx2 v[10:11], v[14:15], off
	buffer_wbl2 sc0 sc1
	s_waitcnt vmcnt(0)
	global_atomic_cmpswap_x2 v[8:9], v27, v[12:15], s[42:43] offset:32 sc0 sc1
	s_waitcnt vmcnt(0)
	v_cmp_ne_u64_e32 vcc, v[8:9], v[14:15]
	s_and_saveexec_b64 s[20:21], vcc
	s_cbranch_execz .LBB9_643
; %bb.641:                              ;   in Loop: Header=BB9_576 Depth=1
	s_mov_b64 s[22:23], 0
.LBB9_642:                              ;   Parent Loop BB9_576 Depth=1
                                        ; =>  This Inner Loop Header: Depth=2
	s_sleep 1
	global_store_dwordx2 v[10:11], v[8:9], off
	v_mov_b32_e32 v6, s16
	v_mov_b32_e32 v7, s17
	buffer_wbl2 sc0 sc1
	s_waitcnt vmcnt(0)
	global_atomic_cmpswap_x2 v[6:7], v27, v[6:9], s[42:43] offset:32 sc0 sc1
	s_waitcnt vmcnt(0)
	v_cmp_eq_u64_e32 vcc, v[6:7], v[8:9]
	s_or_b64 s[22:23], vcc, s[22:23]
	v_mov_b64_e32 v[8:9], v[6:7]
	s_andn2_b64 exec, exec, s[22:23]
	s_cbranch_execnz .LBB9_642
.LBB9_643:                              ;   in Loop: Header=BB9_576 Depth=1
	s_or_b64 exec, exec, s[20:21]
	global_load_dwordx2 v[6:7], v27, s[42:43] offset:16
	s_mov_b64 s[22:23], exec
	v_mbcnt_lo_u32_b32 v8, s22, 0
	v_mbcnt_hi_u32_b32 v8, s23, v8
	v_cmp_eq_u32_e32 vcc, 0, v8
	s_and_saveexec_b64 s[20:21], vcc
	s_cbranch_execz .LBB9_645
; %bb.644:                              ;   in Loop: Header=BB9_576 Depth=1
	s_bcnt1_i32_b64 s15, s[22:23]
	v_mov_b32_e32 v26, s15
	buffer_wbl2 sc0 sc1
	s_waitcnt vmcnt(0)
	global_atomic_add_x2 v[6:7], v[26:27], off offset:8 sc1
.LBB9_645:                              ;   in Loop: Header=BB9_576 Depth=1
	s_or_b64 exec, exec, s[20:21]
	s_waitcnt vmcnt(0)
	global_load_dwordx2 v[8:9], v[6:7], off offset:16
	s_waitcnt vmcnt(0)
	v_cmp_eq_u64_e32 vcc, 0, v[8:9]
	s_cbranch_vccnz .LBB9_647
; %bb.646:                              ;   in Loop: Header=BB9_576 Depth=1
	global_load_dword v26, v[6:7], off offset:24
	s_waitcnt vmcnt(0)
	v_and_b32_e32 v6, 0xffffff, v26
	s_nop 0
	v_readfirstlane_b32 m0, v6
	buffer_wbl2 sc0 sc1
	global_store_dwordx2 v[8:9], v[26:27], off sc0 sc1
	s_sendmsg sendmsg(MSG_INTERRUPT)
.LBB9_647:                              ;   in Loop: Header=BB9_576 Depth=1
	s_or_b64 exec, exec, s[18:19]
	v_mov_b32_e32 v37, v27
	v_lshl_add_u64 v[2:3], v[2:3], 0, v[36:37]
	s_branch .LBB9_651
.LBB9_648:                              ;   in Loop: Header=BB9_651 Depth=2
	s_or_b64 exec, exec, s[18:19]
	v_readfirstlane_b32 s15, v6
	s_cmp_eq_u32 s15, 0
	s_cbranch_scc1 .LBB9_650
; %bb.649:                              ;   in Loop: Header=BB9_651 Depth=2
	s_sleep 1
	s_cbranch_execnz .LBB9_651
	s_branch .LBB9_653
.LBB9_650:                              ;   in Loop: Header=BB9_576 Depth=1
	s_branch .LBB9_653
.LBB9_651:                              ;   Parent Loop BB9_576 Depth=1
                                        ; =>  This Inner Loop Header: Depth=2
	v_mov_b32_e32 v6, 1
	s_and_saveexec_b64 s[18:19], s[0:1]
	s_cbranch_execz .LBB9_648
; %bb.652:                              ;   in Loop: Header=BB9_651 Depth=2
	global_load_dword v6, v[28:29], off offset:20 sc0 sc1
	s_waitcnt vmcnt(0)
	buffer_inv sc0 sc1
	v_and_b32_e32 v6, 1, v6
	s_branch .LBB9_648
.LBB9_653:                              ;   in Loop: Header=BB9_576 Depth=1
	global_load_dwordx4 v[6:9], v[2:3], off
	s_and_saveexec_b64 s[18:19], s[0:1]
	s_cbranch_execz .LBB9_575
; %bb.654:                              ;   in Loop: Header=BB9_576 Depth=1
	global_load_dwordx2 v[2:3], v27, s[42:43] offset:40
	global_load_dwordx2 v[12:13], v27, s[42:43] offset:24 sc0 sc1
	global_load_dwordx2 v[14:15], v27, s[42:43]
	s_waitcnt vmcnt(2)
	v_lshl_add_u64 v[8:9], v[2:3], 0, 1
	v_lshl_add_u64 v[16:17], v[8:9], 0, s[16:17]
	v_cmp_eq_u64_e32 vcc, 0, v[16:17]
	s_waitcnt vmcnt(1)
	v_mov_b32_e32 v10, v12
	v_cndmask_b32_e32 v9, v17, v9, vcc
	v_cndmask_b32_e32 v8, v16, v8, vcc
	v_and_b32_e32 v3, v9, v3
	v_and_b32_e32 v2, v8, v2
	v_mul_lo_u32 v3, v3, 24
	v_mul_hi_u32 v11, v2, 24
	v_mul_lo_u32 v2, v2, 24
	v_add_u32_e32 v3, v11, v3
	s_waitcnt vmcnt(0)
	v_lshl_add_u64 v[2:3], v[14:15], 0, v[2:3]
	global_store_dwordx2 v[2:3], v[12:13], off
	v_mov_b32_e32 v11, v13
	buffer_wbl2 sc0 sc1
	s_waitcnt vmcnt(0)
	global_atomic_cmpswap_x2 v[10:11], v27, v[8:11], s[42:43] offset:24 sc0 sc1
	s_waitcnt vmcnt(0)
	v_cmp_ne_u64_e32 vcc, v[10:11], v[12:13]
	s_and_b64 exec, exec, vcc
	s_cbranch_execz .LBB9_575
; %bb.655:                              ;   in Loop: Header=BB9_576 Depth=1
	s_mov_b64 s[0:1], 0
.LBB9_656:                              ;   Parent Loop BB9_576 Depth=1
                                        ; =>  This Inner Loop Header: Depth=2
	s_sleep 1
	global_store_dwordx2 v[2:3], v[10:11], off
	buffer_wbl2 sc0 sc1
	s_waitcnt vmcnt(0)
	global_atomic_cmpswap_x2 v[12:13], v27, v[8:11], s[42:43] offset:24 sc0 sc1
	s_waitcnt vmcnt(0)
	v_cmp_eq_u64_e32 vcc, v[12:13], v[10:11]
	s_or_b64 s[0:1], vcc, s[0:1]
	v_mov_b64_e32 v[10:11], v[12:13]
	s_andn2_b64 exec, exec, s[0:1]
	s_cbranch_execnz .LBB9_656
	s_branch .LBB9_575
.LBB9_657:
	s_branch .LBB9_685
.LBB9_658:
	s_cbranch_execz .LBB9_685
; %bb.659:
	v_readfirstlane_b32 s0, v47
	s_waitcnt vmcnt(0)
	v_mov_b64_e32 v[8:9], 0
	v_cmp_eq_u32_e64 s[0:1], s0, v47
	s_and_saveexec_b64 s[4:5], s[0:1]
	s_cbranch_execz .LBB9_665
; %bb.660:
	v_mov_b32_e32 v2, 0
	global_load_dwordx2 v[6:7], v2, s[42:43] offset:24 sc0 sc1
	s_waitcnt vmcnt(0)
	buffer_inv sc0 sc1
	global_load_dwordx2 v[4:5], v2, s[42:43] offset:40
	global_load_dwordx2 v[8:9], v2, s[42:43]
	s_waitcnt vmcnt(1)
	v_and_b32_e32 v3, v4, v6
	v_and_b32_e32 v4, v5, v7
	v_mul_lo_u32 v4, v4, 24
	v_mul_hi_u32 v5, v3, 24
	v_add_u32_e32 v5, v5, v4
	v_mul_lo_u32 v4, v3, 24
	s_waitcnt vmcnt(0)
	v_lshl_add_u64 v[4:5], v[8:9], 0, v[4:5]
	global_load_dwordx2 v[4:5], v[4:5], off sc0 sc1
	s_waitcnt vmcnt(0)
	global_atomic_cmpswap_x2 v[8:9], v2, v[4:7], s[42:43] offset:24 sc0 sc1
	s_waitcnt vmcnt(0)
	buffer_inv sc0 sc1
	v_cmp_ne_u64_e32 vcc, v[8:9], v[6:7]
	s_and_saveexec_b64 s[6:7], vcc
	s_cbranch_execz .LBB9_664
; %bb.661:
	s_mov_b64 s[10:11], 0
.LBB9_662:                              ; =>This Inner Loop Header: Depth=1
	s_sleep 1
	global_load_dwordx2 v[4:5], v2, s[42:43] offset:40
	global_load_dwordx2 v[10:11], v2, s[42:43]
	v_mov_b64_e32 v[6:7], v[8:9]
	s_waitcnt vmcnt(1)
	v_and_b32_e32 v4, v4, v6
	v_and_b32_e32 v3, v5, v7
	s_waitcnt vmcnt(0)
	v_mad_u64_u32 v[4:5], s[16:17], v4, 24, v[10:11]
	v_mov_b32_e32 v8, v5
	v_mad_u64_u32 v[8:9], s[16:17], v3, 24, v[8:9]
	v_mov_b32_e32 v5, v8
	global_load_dwordx2 v[4:5], v[4:5], off sc0 sc1
	s_waitcnt vmcnt(0)
	global_atomic_cmpswap_x2 v[8:9], v2, v[4:7], s[42:43] offset:24 sc0 sc1
	s_waitcnt vmcnt(0)
	buffer_inv sc0 sc1
	v_cmp_eq_u64_e32 vcc, v[8:9], v[6:7]
	s_or_b64 s[10:11], vcc, s[10:11]
	s_andn2_b64 exec, exec, s[10:11]
	s_cbranch_execnz .LBB9_662
; %bb.663:
	s_or_b64 exec, exec, s[10:11]
.LBB9_664:
	s_or_b64 exec, exec, s[6:7]
.LBB9_665:
	s_or_b64 exec, exec, s[4:5]
	v_mov_b32_e32 v2, 0
	global_load_dwordx2 v[10:11], v2, s[42:43] offset:40
	global_load_dwordx4 v[4:7], v2, s[42:43]
	v_readfirstlane_b32 s4, v8
	v_readfirstlane_b32 s5, v9
	s_mov_b64 s[6:7], exec
	s_waitcnt vmcnt(1)
	v_readfirstlane_b32 s10, v10
	v_readfirstlane_b32 s11, v11
	s_and_b64 s[10:11], s[4:5], s[10:11]
	s_mul_i32 s15, s11, 24
	s_mul_hi_u32 s16, s10, 24
	s_add_i32 s17, s16, s15
	s_mul_i32 s16, s10, 24
	s_waitcnt vmcnt(0)
	v_lshl_add_u64 v[8:9], v[4:5], 0, s[16:17]
	s_and_saveexec_b64 s[16:17], s[0:1]
	s_cbranch_execz .LBB9_667
; %bb.666:
	v_mov_b64_e32 v[10:11], s[6:7]
	v_mov_b32_e32 v12, 2
	v_mov_b32_e32 v13, 1
	global_store_dwordx4 v[8:9], v[10:13], off offset:8
.LBB9_667:
	s_or_b64 exec, exec, s[16:17]
	s_lshl_b64 s[6:7], s[10:11], 12
	v_lshl_add_u64 v[6:7], v[6:7], 0, s[6:7]
	s_movk_i32 s6, 0xff1d
	s_mov_b32 s16, 0
	v_and_or_b32 v0, v0, s6, 34
	v_mov_b32_e32 v3, v2
	v_readfirstlane_b32 s6, v6
	v_readfirstlane_b32 s7, v7
	s_mov_b32 s17, s16
	s_mov_b32 s18, s16
	;; [unrolled: 1-line block ×3, first 2 shown]
	s_nop 1
	global_store_dwordx4 v36, v[0:3], s[6:7]
	s_nop 1
	v_mov_b64_e32 v[0:1], s[16:17]
	v_mov_b64_e32 v[2:3], s[18:19]
	global_store_dwordx4 v36, v[0:3], s[6:7] offset:16
	global_store_dwordx4 v36, v[0:3], s[6:7] offset:32
	global_store_dwordx4 v36, v[0:3], s[6:7] offset:48
	s_and_saveexec_b64 s[6:7], s[0:1]
	s_cbranch_execz .LBB9_675
; %bb.668:
	v_mov_b32_e32 v6, 0
	global_load_dwordx2 v[12:13], v6, s[42:43] offset:32 sc0 sc1
	global_load_dwordx2 v[0:1], v6, s[42:43] offset:40
	v_mov_b32_e32 v10, s4
	v_mov_b32_e32 v11, s5
	s_waitcnt vmcnt(0)
	v_readfirstlane_b32 s10, v0
	v_readfirstlane_b32 s11, v1
	s_and_b64 s[10:11], s[10:11], s[4:5]
	s_mul_i32 s11, s11, 24
	s_mul_hi_u32 s15, s10, 24
	s_mul_i32 s10, s10, 24
	s_add_i32 s11, s15, s11
	v_lshl_add_u64 v[4:5], v[4:5], 0, s[10:11]
	global_store_dwordx2 v[4:5], v[12:13], off
	buffer_wbl2 sc0 sc1
	s_waitcnt vmcnt(0)
	global_atomic_cmpswap_x2 v[2:3], v6, v[10:13], s[42:43] offset:32 sc0 sc1
	s_waitcnt vmcnt(0)
	v_cmp_ne_u64_e32 vcc, v[2:3], v[12:13]
	s_and_saveexec_b64 s[10:11], vcc
	s_cbranch_execz .LBB9_671
; %bb.669:
	s_mov_b64 s[16:17], 0
.LBB9_670:                              ; =>This Inner Loop Header: Depth=1
	s_sleep 1
	global_store_dwordx2 v[4:5], v[2:3], off
	v_mov_b32_e32 v0, s4
	v_mov_b32_e32 v1, s5
	buffer_wbl2 sc0 sc1
	s_waitcnt vmcnt(0)
	global_atomic_cmpswap_x2 v[0:1], v6, v[0:3], s[42:43] offset:32 sc0 sc1
	s_waitcnt vmcnt(0)
	v_cmp_eq_u64_e32 vcc, v[0:1], v[2:3]
	s_or_b64 s[16:17], vcc, s[16:17]
	v_mov_b64_e32 v[2:3], v[0:1]
	s_andn2_b64 exec, exec, s[16:17]
	s_cbranch_execnz .LBB9_670
.LBB9_671:
	s_or_b64 exec, exec, s[10:11]
	v_mov_b32_e32 v3, 0
	global_load_dwordx2 v[0:1], v3, s[42:43] offset:16
	s_mov_b64 s[10:11], exec
	v_mbcnt_lo_u32_b32 v2, s10, 0
	v_mbcnt_hi_u32_b32 v2, s11, v2
	v_cmp_eq_u32_e32 vcc, 0, v2
	s_and_saveexec_b64 s[16:17], vcc
	s_cbranch_execz .LBB9_673
; %bb.672:
	s_bcnt1_i32_b64 s10, s[10:11]
	v_mov_b32_e32 v2, s10
	buffer_wbl2 sc0 sc1
	s_waitcnt vmcnt(0)
	global_atomic_add_x2 v[0:1], v[2:3], off offset:8 sc1
.LBB9_673:
	s_or_b64 exec, exec, s[16:17]
	s_waitcnt vmcnt(0)
	global_load_dwordx2 v[2:3], v[0:1], off offset:16
	s_waitcnt vmcnt(0)
	v_cmp_eq_u64_e32 vcc, 0, v[2:3]
	s_cbranch_vccnz .LBB9_675
; %bb.674:
	global_load_dword v0, v[0:1], off offset:24
	v_mov_b32_e32 v1, 0
	buffer_wbl2 sc0 sc1
	s_waitcnt vmcnt(0)
	global_store_dwordx2 v[2:3], v[0:1], off sc0 sc1
	v_and_b32_e32 v0, 0xffffff, v0
	s_nop 0
	v_readfirstlane_b32 m0, v0
	s_sendmsg sendmsg(MSG_INTERRUPT)
.LBB9_675:
	s_or_b64 exec, exec, s[6:7]
	s_branch .LBB9_679
.LBB9_676:                              ;   in Loop: Header=BB9_679 Depth=1
	s_or_b64 exec, exec, s[6:7]
	v_readfirstlane_b32 s6, v0
	s_cmp_eq_u32 s6, 0
	s_cbranch_scc1 .LBB9_678
; %bb.677:                              ;   in Loop: Header=BB9_679 Depth=1
	s_sleep 1
	s_cbranch_execnz .LBB9_679
	s_branch .LBB9_681
.LBB9_678:
	s_branch .LBB9_681
.LBB9_679:                              ; =>This Inner Loop Header: Depth=1
	v_mov_b32_e32 v0, 1
	s_and_saveexec_b64 s[6:7], s[0:1]
	s_cbranch_execz .LBB9_676
; %bb.680:                              ;   in Loop: Header=BB9_679 Depth=1
	global_load_dword v0, v[8:9], off offset:20 sc0 sc1
	s_waitcnt vmcnt(0)
	buffer_inv sc0 sc1
	v_and_b32_e32 v0, 1, v0
	s_branch .LBB9_676
.LBB9_681:
	s_and_saveexec_b64 s[6:7], s[0:1]
	s_cbranch_execz .LBB9_684
; %bb.682:
	v_mov_b32_e32 v6, 0
	global_load_dwordx2 v[4:5], v6, s[42:43] offset:40
	global_load_dwordx2 v[8:9], v6, s[42:43] offset:24 sc0 sc1
	global_load_dwordx2 v[10:11], v6, s[42:43]
	s_mov_b64 s[0:1], 0
	s_waitcnt vmcnt(2)
	v_lshl_add_u64 v[0:1], v[4:5], 0, 1
	v_lshl_add_u64 v[12:13], v[0:1], 0, s[4:5]
	v_cmp_eq_u64_e32 vcc, 0, v[12:13]
	s_waitcnt vmcnt(1)
	v_mov_b32_e32 v2, v8
	v_cndmask_b32_e32 v1, v13, v1, vcc
	v_cndmask_b32_e32 v0, v12, v0, vcc
	v_and_b32_e32 v3, v1, v5
	v_and_b32_e32 v4, v0, v4
	v_mul_lo_u32 v3, v3, 24
	v_mul_hi_u32 v5, v4, 24
	v_mul_lo_u32 v4, v4, 24
	v_add_u32_e32 v5, v5, v3
	s_waitcnt vmcnt(0)
	v_lshl_add_u64 v[4:5], v[10:11], 0, v[4:5]
	global_store_dwordx2 v[4:5], v[8:9], off
	v_mov_b32_e32 v3, v9
	buffer_wbl2 sc0 sc1
	s_waitcnt vmcnt(0)
	global_atomic_cmpswap_x2 v[2:3], v6, v[0:3], s[42:43] offset:24 sc0 sc1
	s_waitcnt vmcnt(0)
	v_cmp_ne_u64_e32 vcc, v[2:3], v[8:9]
	s_and_b64 exec, exec, vcc
	s_cbranch_execz .LBB9_684
.LBB9_683:                              ; =>This Inner Loop Header: Depth=1
	s_sleep 1
	global_store_dwordx2 v[4:5], v[2:3], off
	buffer_wbl2 sc0 sc1
	s_waitcnt vmcnt(0)
	global_atomic_cmpswap_x2 v[8:9], v6, v[0:3], s[42:43] offset:24 sc0 sc1
	s_waitcnt vmcnt(0)
	v_cmp_eq_u64_e32 vcc, v[8:9], v[2:3]
	s_or_b64 s[0:1], vcc, s[0:1]
	v_mov_b64_e32 v[2:3], v[8:9]
	s_andn2_b64 exec, exec, s[0:1]
	s_cbranch_execnz .LBB9_683
.LBB9_684:
	s_or_b64 exec, exec, s[6:7]
.LBB9_685:
	v_readfirstlane_b32 s0, v47
	s_waitcnt vmcnt(0)
	v_mov_b64_e32 v[4:5], 0
	v_cmp_eq_u32_e64 s[0:1], s0, v47
	s_and_saveexec_b64 s[4:5], s[0:1]
	s_cbranch_execz .LBB9_691
; %bb.686:
	v_mov_b32_e32 v0, 0
	global_load_dwordx2 v[6:7], v0, s[42:43] offset:24 sc0 sc1
	s_waitcnt vmcnt(0)
	buffer_inv sc0 sc1
	global_load_dwordx2 v[2:3], v0, s[42:43] offset:40
	global_load_dwordx2 v[4:5], v0, s[42:43]
	s_waitcnt vmcnt(1)
	v_and_b32_e32 v1, v2, v6
	v_and_b32_e32 v2, v3, v7
	v_mul_lo_u32 v2, v2, 24
	v_mul_hi_u32 v3, v1, 24
	v_add_u32_e32 v3, v3, v2
	v_mul_lo_u32 v2, v1, 24
	s_waitcnt vmcnt(0)
	v_lshl_add_u64 v[2:3], v[4:5], 0, v[2:3]
	global_load_dwordx2 v[4:5], v[2:3], off sc0 sc1
	s_waitcnt vmcnt(0)
	global_atomic_cmpswap_x2 v[4:5], v0, v[4:7], s[42:43] offset:24 sc0 sc1
	s_waitcnt vmcnt(0)
	buffer_inv sc0 sc1
	v_cmp_ne_u64_e32 vcc, v[4:5], v[6:7]
	s_and_saveexec_b64 s[6:7], vcc
	s_cbranch_execz .LBB9_690
; %bb.687:
	s_mov_b64 s[10:11], 0
.LBB9_688:                              ; =>This Inner Loop Header: Depth=1
	s_sleep 1
	global_load_dwordx2 v[2:3], v0, s[42:43] offset:40
	global_load_dwordx2 v[8:9], v0, s[42:43]
	v_mov_b64_e32 v[6:7], v[4:5]
	s_waitcnt vmcnt(1)
	v_and_b32_e32 v2, v2, v6
	v_and_b32_e32 v1, v3, v7
	s_waitcnt vmcnt(0)
	v_mad_u64_u32 v[2:3], s[16:17], v2, 24, v[8:9]
	v_mov_b32_e32 v4, v3
	v_mad_u64_u32 v[4:5], s[16:17], v1, 24, v[4:5]
	v_mov_b32_e32 v3, v4
	global_load_dwordx2 v[4:5], v[2:3], off sc0 sc1
	s_waitcnt vmcnt(0)
	global_atomic_cmpswap_x2 v[4:5], v0, v[4:7], s[42:43] offset:24 sc0 sc1
	s_waitcnt vmcnt(0)
	buffer_inv sc0 sc1
	v_cmp_eq_u64_e32 vcc, v[4:5], v[6:7]
	s_or_b64 s[10:11], vcc, s[10:11]
	s_andn2_b64 exec, exec, s[10:11]
	s_cbranch_execnz .LBB9_688
; %bb.689:
	s_or_b64 exec, exec, s[10:11]
.LBB9_690:
	s_or_b64 exec, exec, s[6:7]
.LBB9_691:
	s_or_b64 exec, exec, s[4:5]
	v_mov_b32_e32 v37, 0
	global_load_dwordx2 v[6:7], v37, s[42:43] offset:40
	global_load_dwordx4 v[0:3], v37, s[42:43]
	v_readfirstlane_b32 s4, v4
	v_readfirstlane_b32 s5, v5
	s_mov_b64 s[6:7], exec
	s_waitcnt vmcnt(1)
	v_readfirstlane_b32 s10, v6
	v_readfirstlane_b32 s11, v7
	s_and_b64 s[10:11], s[4:5], s[10:11]
	s_mul_i32 s15, s11, 24
	s_mul_hi_u32 s16, s10, 24
	s_add_i32 s17, s16, s15
	s_mul_i32 s16, s10, 24
	s_waitcnt vmcnt(0)
	v_lshl_add_u64 v[4:5], v[0:1], 0, s[16:17]
	s_and_saveexec_b64 s[16:17], s[0:1]
	s_cbranch_execz .LBB9_693
; %bb.692:
	v_mov_b64_e32 v[6:7], s[6:7]
	v_mov_b32_e32 v8, 2
	v_mov_b32_e32 v9, 1
	global_store_dwordx4 v[4:5], v[6:9], off offset:8
.LBB9_693:
	s_or_b64 exec, exec, s[16:17]
	s_lshl_b64 s[6:7], s[10:11], 12
	v_lshl_add_u64 v[6:7], v[2:3], 0, s[6:7]
	s_mov_b32 s16, 0
	v_mov_b32_e32 v8, 33
	v_mov_b32_e32 v9, v37
	;; [unrolled: 1-line block ×4, first 2 shown]
	v_readfirstlane_b32 s6, v6
	v_readfirstlane_b32 s7, v7
	s_mov_b32 s17, s16
	s_mov_b32 s18, s16
	;; [unrolled: 1-line block ×3, first 2 shown]
	s_nop 1
	global_store_dwordx4 v36, v[8:11], s[6:7]
	s_nop 1
	v_mov_b64_e32 v[8:9], s[16:17]
	v_mov_b64_e32 v[10:11], s[18:19]
	global_store_dwordx4 v36, v[8:11], s[6:7] offset:16
	global_store_dwordx4 v36, v[8:11], s[6:7] offset:32
	;; [unrolled: 1-line block ×3, first 2 shown]
	s_and_saveexec_b64 s[6:7], s[0:1]
	s_cbranch_execz .LBB9_701
; %bb.694:
	v_mov_b32_e32 v10, 0
	global_load_dwordx2 v[14:15], v10, s[42:43] offset:32 sc0 sc1
	global_load_dwordx2 v[2:3], v10, s[42:43] offset:40
	v_mov_b32_e32 v12, s4
	v_mov_b32_e32 v13, s5
	s_waitcnt vmcnt(0)
	v_readfirstlane_b32 s10, v2
	v_readfirstlane_b32 s11, v3
	s_and_b64 s[10:11], s[10:11], s[4:5]
	s_mul_i32 s11, s11, 24
	s_mul_hi_u32 s15, s10, 24
	s_mul_i32 s10, s10, 24
	s_add_i32 s11, s15, s11
	v_lshl_add_u64 v[8:9], v[0:1], 0, s[10:11]
	global_store_dwordx2 v[8:9], v[14:15], off
	buffer_wbl2 sc0 sc1
	s_waitcnt vmcnt(0)
	global_atomic_cmpswap_x2 v[2:3], v10, v[12:15], s[42:43] offset:32 sc0 sc1
	s_waitcnt vmcnt(0)
	v_cmp_ne_u64_e32 vcc, v[2:3], v[14:15]
	s_and_saveexec_b64 s[10:11], vcc
	s_cbranch_execz .LBB9_697
; %bb.695:
	s_mov_b64 s[16:17], 0
.LBB9_696:                              ; =>This Inner Loop Header: Depth=1
	s_sleep 1
	global_store_dwordx2 v[8:9], v[2:3], off
	v_mov_b32_e32 v0, s4
	v_mov_b32_e32 v1, s5
	buffer_wbl2 sc0 sc1
	s_waitcnt vmcnt(0)
	global_atomic_cmpswap_x2 v[0:1], v10, v[0:3], s[42:43] offset:32 sc0 sc1
	s_waitcnt vmcnt(0)
	v_cmp_eq_u64_e32 vcc, v[0:1], v[2:3]
	s_or_b64 s[16:17], vcc, s[16:17]
	v_mov_b64_e32 v[2:3], v[0:1]
	s_andn2_b64 exec, exec, s[16:17]
	s_cbranch_execnz .LBB9_696
.LBB9_697:
	s_or_b64 exec, exec, s[10:11]
	v_mov_b32_e32 v3, 0
	global_load_dwordx2 v[0:1], v3, s[42:43] offset:16
	s_mov_b64 s[10:11], exec
	v_mbcnt_lo_u32_b32 v2, s10, 0
	v_mbcnt_hi_u32_b32 v2, s11, v2
	v_cmp_eq_u32_e32 vcc, 0, v2
	s_and_saveexec_b64 s[16:17], vcc
	s_cbranch_execz .LBB9_699
; %bb.698:
	s_bcnt1_i32_b64 s10, s[10:11]
	v_mov_b32_e32 v2, s10
	buffer_wbl2 sc0 sc1
	s_waitcnt vmcnt(0)
	global_atomic_add_x2 v[0:1], v[2:3], off offset:8 sc1
.LBB9_699:
	s_or_b64 exec, exec, s[16:17]
	s_waitcnt vmcnt(0)
	global_load_dwordx2 v[2:3], v[0:1], off offset:16
	s_waitcnt vmcnt(0)
	v_cmp_eq_u64_e32 vcc, 0, v[2:3]
	s_cbranch_vccnz .LBB9_701
; %bb.700:
	global_load_dword v0, v[0:1], off offset:24
	v_mov_b32_e32 v1, 0
	buffer_wbl2 sc0 sc1
	s_waitcnt vmcnt(0)
	global_store_dwordx2 v[2:3], v[0:1], off sc0 sc1
	v_and_b32_e32 v0, 0xffffff, v0
	s_nop 0
	v_readfirstlane_b32 m0, v0
	s_sendmsg sendmsg(MSG_INTERRUPT)
.LBB9_701:
	s_or_b64 exec, exec, s[6:7]
	v_lshl_add_u64 v[0:1], v[6:7], 0, v[36:37]
	s_branch .LBB9_705
.LBB9_702:                              ;   in Loop: Header=BB9_705 Depth=1
	s_or_b64 exec, exec, s[6:7]
	v_readfirstlane_b32 s6, v2
	s_cmp_eq_u32 s6, 0
	s_cbranch_scc1 .LBB9_704
; %bb.703:                              ;   in Loop: Header=BB9_705 Depth=1
	s_sleep 1
	s_cbranch_execnz .LBB9_705
	s_branch .LBB9_707
.LBB9_704:
	s_branch .LBB9_707
.LBB9_705:                              ; =>This Inner Loop Header: Depth=1
	v_mov_b32_e32 v2, 1
	s_and_saveexec_b64 s[6:7], s[0:1]
	s_cbranch_execz .LBB9_702
; %bb.706:                              ;   in Loop: Header=BB9_705 Depth=1
	global_load_dword v2, v[4:5], off offset:20 sc0 sc1
	s_waitcnt vmcnt(0)
	buffer_inv sc0 sc1
	v_and_b32_e32 v2, 1, v2
	s_branch .LBB9_702
.LBB9_707:
	global_load_dwordx2 v[0:1], v[0:1], off
	s_and_saveexec_b64 s[6:7], s[0:1]
	s_cbranch_execz .LBB9_710
; %bb.708:
	v_mov_b32_e32 v8, 0
	global_load_dwordx2 v[6:7], v8, s[42:43] offset:40
	global_load_dwordx2 v[10:11], v8, s[42:43] offset:24 sc0 sc1
	global_load_dwordx2 v[12:13], v8, s[42:43]
	s_mov_b64 s[0:1], 0
	s_waitcnt vmcnt(2)
	v_lshl_add_u64 v[2:3], v[6:7], 0, 1
	v_lshl_add_u64 v[14:15], v[2:3], 0, s[4:5]
	v_cmp_eq_u64_e32 vcc, 0, v[14:15]
	s_waitcnt vmcnt(1)
	v_mov_b32_e32 v4, v10
	v_cndmask_b32_e32 v3, v15, v3, vcc
	v_cndmask_b32_e32 v2, v14, v2, vcc
	v_and_b32_e32 v5, v3, v7
	v_and_b32_e32 v6, v2, v6
	v_mul_lo_u32 v5, v5, 24
	v_mul_hi_u32 v7, v6, 24
	v_mul_lo_u32 v6, v6, 24
	v_add_u32_e32 v7, v7, v5
	s_waitcnt vmcnt(0)
	v_lshl_add_u64 v[6:7], v[12:13], 0, v[6:7]
	global_store_dwordx2 v[6:7], v[10:11], off
	v_mov_b32_e32 v5, v11
	buffer_wbl2 sc0 sc1
	s_waitcnt vmcnt(0)
	global_atomic_cmpswap_x2 v[4:5], v8, v[2:5], s[42:43] offset:24 sc0 sc1
	s_waitcnt vmcnt(0)
	v_cmp_ne_u64_e32 vcc, v[4:5], v[10:11]
	s_and_b64 exec, exec, vcc
	s_cbranch_execz .LBB9_710
.LBB9_709:                              ; =>This Inner Loop Header: Depth=1
	s_sleep 1
	global_store_dwordx2 v[6:7], v[4:5], off
	buffer_wbl2 sc0 sc1
	s_waitcnt vmcnt(0)
	global_atomic_cmpswap_x2 v[10:11], v8, v[2:5], s[42:43] offset:24 sc0 sc1
	s_waitcnt vmcnt(0)
	v_cmp_eq_u64_e32 vcc, v[10:11], v[4:5]
	s_or_b64 s[0:1], vcc, s[0:1]
	v_mov_b64_e32 v[4:5], v[10:11]
	s_andn2_b64 exec, exec, s[0:1]
	s_cbranch_execnz .LBB9_709
.LBB9_710:
	s_or_b64 exec, exec, s[6:7]
	s_and_b64 vcc, exec, s[44:45]
	s_cbranch_vccz .LBB9_795
; %bb.711:
	s_waitcnt vmcnt(0)
	v_and_b32_e32 v28, 2, v0
	v_mov_b32_e32 v31, 0
	v_and_b32_e32 v2, -3, v0
	v_mov_b32_e32 v3, v1
	s_mov_b64 s[6:7], 3
	v_mov_b32_e32 v6, 2
	v_mov_b32_e32 v7, 1
	s_getpc_b64 s[4:5]
	s_add_u32 s4, s4, .str.6@rel32@lo+4
	s_addc_u32 s5, s5, .str.6@rel32@hi+12
	s_branch .LBB9_713
.LBB9_712:                              ;   in Loop: Header=BB9_713 Depth=1
	s_or_b64 exec, exec, s[18:19]
	s_sub_u32 s6, s6, s10
	s_subb_u32 s7, s7, s11
	s_add_u32 s4, s4, s10
	s_addc_u32 s5, s5, s11
	s_cmp_lg_u64 s[6:7], 0
	s_cbranch_scc0 .LBB9_794
.LBB9_713:                              ; =>This Loop Header: Depth=1
                                        ;     Child Loop BB9_716 Depth 2
                                        ;     Child Loop BB9_723 Depth 2
	;; [unrolled: 1-line block ×11, first 2 shown]
	v_cmp_lt_u64_e64 s[0:1], s[6:7], 56
	s_and_b64 s[0:1], s[0:1], exec
	v_cmp_gt_u64_e64 s[0:1], s[6:7], 7
	s_cselect_b32 s11, s7, 0
	s_cselect_b32 s10, s6, 56
	s_and_b64 vcc, exec, s[0:1]
	s_cbranch_vccnz .LBB9_718
; %bb.714:                              ;   in Loop: Header=BB9_713 Depth=1
	s_mov_b64 s[0:1], 0
	s_cmp_eq_u64 s[6:7], 0
	v_mov_b64_e32 v[10:11], 0
	s_cbranch_scc1 .LBB9_717
; %bb.715:                              ;   in Loop: Header=BB9_713 Depth=1
	s_lshl_b64 s[16:17], s[10:11], 3
	s_mov_b64 s[18:19], 0
	v_mov_b64_e32 v[10:11], 0
	s_mov_b64 s[20:21], s[4:5]
.LBB9_716:                              ;   Parent Loop BB9_713 Depth=1
                                        ; =>  This Inner Loop Header: Depth=2
	global_load_ubyte v4, v31, s[20:21]
	s_waitcnt vmcnt(0)
	v_and_b32_e32 v30, 0xffff, v4
	v_lshlrev_b64 v[4:5], s18, v[30:31]
	s_add_u32 s18, s18, 8
	s_addc_u32 s19, s19, 0
	s_add_u32 s20, s20, 1
	s_addc_u32 s21, s21, 0
	v_or_b32_e32 v10, v4, v10
	s_cmp_lg_u32 s16, s18
	v_or_b32_e32 v11, v5, v11
	s_cbranch_scc1 .LBB9_716
.LBB9_717:                              ;   in Loop: Header=BB9_713 Depth=1
	s_mov_b32 s15, 0
	s_andn2_b64 vcc, exec, s[0:1]
	s_mov_b64 s[0:1], s[4:5]
	s_cbranch_vccz .LBB9_719
	s_branch .LBB9_720
.LBB9_718:                              ;   in Loop: Header=BB9_713 Depth=1
                                        ; implicit-def: $vgpr10_vgpr11
                                        ; implicit-def: $sgpr15
	s_mov_b64 s[0:1], s[4:5]
.LBB9_719:                              ;   in Loop: Header=BB9_713 Depth=1
	global_load_dwordx2 v[10:11], v31, s[4:5]
	s_add_i32 s15, s10, -8
	s_add_u32 s0, s4, 8
	s_addc_u32 s1, s5, 0
.LBB9_720:                              ;   in Loop: Header=BB9_713 Depth=1
	s_cmp_gt_u32 s15, 7
	s_cbranch_scc1 .LBB9_724
; %bb.721:                              ;   in Loop: Header=BB9_713 Depth=1
	s_cmp_eq_u32 s15, 0
	s_cbranch_scc1 .LBB9_725
; %bb.722:                              ;   in Loop: Header=BB9_713 Depth=1
	s_mov_b64 s[16:17], 0
	v_mov_b64_e32 v[12:13], 0
	s_mov_b64 s[18:19], 0
.LBB9_723:                              ;   Parent Loop BB9_713 Depth=1
                                        ; =>  This Inner Loop Header: Depth=2
	s_add_u32 s20, s0, s18
	s_addc_u32 s21, s1, s19
	global_load_ubyte v4, v31, s[20:21]
	s_add_u32 s18, s18, 1
	s_addc_u32 s19, s19, 0
	s_waitcnt vmcnt(0)
	v_and_b32_e32 v30, 0xffff, v4
	v_lshlrev_b64 v[4:5], s16, v[30:31]
	s_add_u32 s16, s16, 8
	s_addc_u32 s17, s17, 0
	v_or_b32_e32 v12, v4, v12
	s_cmp_lg_u32 s15, s18
	v_or_b32_e32 v13, v5, v13
	s_cbranch_scc1 .LBB9_723
	s_branch .LBB9_726
.LBB9_724:                              ;   in Loop: Header=BB9_713 Depth=1
                                        ; implicit-def: $vgpr12_vgpr13
                                        ; implicit-def: $sgpr20
	s_branch .LBB9_727
.LBB9_725:                              ;   in Loop: Header=BB9_713 Depth=1
	v_mov_b64_e32 v[12:13], 0
.LBB9_726:                              ;   in Loop: Header=BB9_713 Depth=1
	s_mov_b32 s20, 0
	s_cbranch_execnz .LBB9_728
.LBB9_727:                              ;   in Loop: Header=BB9_713 Depth=1
	global_load_dwordx2 v[12:13], v31, s[0:1]
	s_add_i32 s20, s15, -8
	s_add_u32 s0, s0, 8
	s_addc_u32 s1, s1, 0
.LBB9_728:                              ;   in Loop: Header=BB9_713 Depth=1
	s_cmp_gt_u32 s20, 7
	s_cbranch_scc1 .LBB9_732
; %bb.729:                              ;   in Loop: Header=BB9_713 Depth=1
	s_cmp_eq_u32 s20, 0
	s_cbranch_scc1 .LBB9_733
; %bb.730:                              ;   in Loop: Header=BB9_713 Depth=1
	s_mov_b64 s[16:17], 0
	v_mov_b64_e32 v[14:15], 0
	s_mov_b64 s[18:19], 0
.LBB9_731:                              ;   Parent Loop BB9_713 Depth=1
                                        ; =>  This Inner Loop Header: Depth=2
	s_add_u32 s22, s0, s18
	s_addc_u32 s23, s1, s19
	global_load_ubyte v4, v31, s[22:23]
	s_add_u32 s18, s18, 1
	s_addc_u32 s19, s19, 0
	s_waitcnt vmcnt(0)
	v_and_b32_e32 v30, 0xffff, v4
	v_lshlrev_b64 v[4:5], s16, v[30:31]
	s_add_u32 s16, s16, 8
	s_addc_u32 s17, s17, 0
	v_or_b32_e32 v14, v4, v14
	s_cmp_lg_u32 s20, s18
	v_or_b32_e32 v15, v5, v15
	s_cbranch_scc1 .LBB9_731
	s_branch .LBB9_734
.LBB9_732:                              ;   in Loop: Header=BB9_713 Depth=1
                                        ; implicit-def: $sgpr15
	s_branch .LBB9_735
.LBB9_733:                              ;   in Loop: Header=BB9_713 Depth=1
	v_mov_b64_e32 v[14:15], 0
.LBB9_734:                              ;   in Loop: Header=BB9_713 Depth=1
	s_mov_b32 s15, 0
	s_cbranch_execnz .LBB9_736
.LBB9_735:                              ;   in Loop: Header=BB9_713 Depth=1
	global_load_dwordx2 v[14:15], v31, s[0:1]
	s_add_i32 s15, s20, -8
	s_add_u32 s0, s0, 8
	s_addc_u32 s1, s1, 0
.LBB9_736:                              ;   in Loop: Header=BB9_713 Depth=1
	s_cmp_gt_u32 s15, 7
	s_cbranch_scc1 .LBB9_740
; %bb.737:                              ;   in Loop: Header=BB9_713 Depth=1
	s_cmp_eq_u32 s15, 0
	s_cbranch_scc1 .LBB9_741
; %bb.738:                              ;   in Loop: Header=BB9_713 Depth=1
	s_mov_b64 s[16:17], 0
	v_mov_b64_e32 v[16:17], 0
	s_mov_b64 s[18:19], 0
.LBB9_739:                              ;   Parent Loop BB9_713 Depth=1
                                        ; =>  This Inner Loop Header: Depth=2
	s_add_u32 s20, s0, s18
	s_addc_u32 s21, s1, s19
	global_load_ubyte v4, v31, s[20:21]
	s_add_u32 s18, s18, 1
	s_addc_u32 s19, s19, 0
	s_waitcnt vmcnt(0)
	v_and_b32_e32 v30, 0xffff, v4
	v_lshlrev_b64 v[4:5], s16, v[30:31]
	s_add_u32 s16, s16, 8
	s_addc_u32 s17, s17, 0
	v_or_b32_e32 v16, v4, v16
	s_cmp_lg_u32 s15, s18
	v_or_b32_e32 v17, v5, v17
	s_cbranch_scc1 .LBB9_739
	s_branch .LBB9_742
.LBB9_740:                              ;   in Loop: Header=BB9_713 Depth=1
                                        ; implicit-def: $vgpr16_vgpr17
                                        ; implicit-def: $sgpr20
	s_branch .LBB9_743
.LBB9_741:                              ;   in Loop: Header=BB9_713 Depth=1
	v_mov_b64_e32 v[16:17], 0
.LBB9_742:                              ;   in Loop: Header=BB9_713 Depth=1
	s_mov_b32 s20, 0
	s_cbranch_execnz .LBB9_744
.LBB9_743:                              ;   in Loop: Header=BB9_713 Depth=1
	global_load_dwordx2 v[16:17], v31, s[0:1]
	s_add_i32 s20, s15, -8
	s_add_u32 s0, s0, 8
	s_addc_u32 s1, s1, 0
.LBB9_744:                              ;   in Loop: Header=BB9_713 Depth=1
	s_cmp_gt_u32 s20, 7
	s_cbranch_scc1 .LBB9_748
; %bb.745:                              ;   in Loop: Header=BB9_713 Depth=1
	s_cmp_eq_u32 s20, 0
	s_cbranch_scc1 .LBB9_749
; %bb.746:                              ;   in Loop: Header=BB9_713 Depth=1
	s_mov_b64 s[16:17], 0
	v_mov_b64_e32 v[18:19], 0
	s_mov_b64 s[18:19], 0
.LBB9_747:                              ;   Parent Loop BB9_713 Depth=1
                                        ; =>  This Inner Loop Header: Depth=2
	s_add_u32 s22, s0, s18
	s_addc_u32 s23, s1, s19
	global_load_ubyte v4, v31, s[22:23]
	s_add_u32 s18, s18, 1
	s_addc_u32 s19, s19, 0
	s_waitcnt vmcnt(0)
	v_and_b32_e32 v30, 0xffff, v4
	v_lshlrev_b64 v[4:5], s16, v[30:31]
	s_add_u32 s16, s16, 8
	s_addc_u32 s17, s17, 0
	v_or_b32_e32 v18, v4, v18
	s_cmp_lg_u32 s20, s18
	v_or_b32_e32 v19, v5, v19
	s_cbranch_scc1 .LBB9_747
	s_branch .LBB9_750
.LBB9_748:                              ;   in Loop: Header=BB9_713 Depth=1
                                        ; implicit-def: $sgpr15
	s_branch .LBB9_751
.LBB9_749:                              ;   in Loop: Header=BB9_713 Depth=1
	v_mov_b64_e32 v[18:19], 0
.LBB9_750:                              ;   in Loop: Header=BB9_713 Depth=1
	s_mov_b32 s15, 0
	s_cbranch_execnz .LBB9_752
.LBB9_751:                              ;   in Loop: Header=BB9_713 Depth=1
	global_load_dwordx2 v[18:19], v31, s[0:1]
	s_add_i32 s15, s20, -8
	s_add_u32 s0, s0, 8
	s_addc_u32 s1, s1, 0
.LBB9_752:                              ;   in Loop: Header=BB9_713 Depth=1
	s_cmp_gt_u32 s15, 7
	s_cbranch_scc1 .LBB9_756
; %bb.753:                              ;   in Loop: Header=BB9_713 Depth=1
	s_cmp_eq_u32 s15, 0
	s_cbranch_scc1 .LBB9_757
; %bb.754:                              ;   in Loop: Header=BB9_713 Depth=1
	s_mov_b64 s[16:17], 0
	v_mov_b64_e32 v[20:21], 0
	s_mov_b64 s[18:19], 0
.LBB9_755:                              ;   Parent Loop BB9_713 Depth=1
                                        ; =>  This Inner Loop Header: Depth=2
	s_add_u32 s20, s0, s18
	s_addc_u32 s21, s1, s19
	global_load_ubyte v4, v31, s[20:21]
	s_add_u32 s18, s18, 1
	s_addc_u32 s19, s19, 0
	s_waitcnt vmcnt(0)
	v_and_b32_e32 v30, 0xffff, v4
	v_lshlrev_b64 v[4:5], s16, v[30:31]
	s_add_u32 s16, s16, 8
	s_addc_u32 s17, s17, 0
	v_or_b32_e32 v20, v4, v20
	s_cmp_lg_u32 s15, s18
	v_or_b32_e32 v21, v5, v21
	s_cbranch_scc1 .LBB9_755
	s_branch .LBB9_758
.LBB9_756:                              ;   in Loop: Header=BB9_713 Depth=1
                                        ; implicit-def: $vgpr20_vgpr21
                                        ; implicit-def: $sgpr20
	s_branch .LBB9_759
.LBB9_757:                              ;   in Loop: Header=BB9_713 Depth=1
	v_mov_b64_e32 v[20:21], 0
.LBB9_758:                              ;   in Loop: Header=BB9_713 Depth=1
	s_mov_b32 s20, 0
	s_cbranch_execnz .LBB9_760
.LBB9_759:                              ;   in Loop: Header=BB9_713 Depth=1
	global_load_dwordx2 v[20:21], v31, s[0:1]
	s_add_i32 s20, s15, -8
	s_add_u32 s0, s0, 8
	s_addc_u32 s1, s1, 0
.LBB9_760:                              ;   in Loop: Header=BB9_713 Depth=1
	s_cmp_gt_u32 s20, 7
	s_cbranch_scc1 .LBB9_764
; %bb.761:                              ;   in Loop: Header=BB9_713 Depth=1
	s_cmp_eq_u32 s20, 0
	s_cbranch_scc1 .LBB9_765
; %bb.762:                              ;   in Loop: Header=BB9_713 Depth=1
	s_mov_b64 s[16:17], 0
	v_mov_b64_e32 v[22:23], 0
	s_mov_b64 s[18:19], s[0:1]
.LBB9_763:                              ;   Parent Loop BB9_713 Depth=1
                                        ; =>  This Inner Loop Header: Depth=2
	global_load_ubyte v4, v31, s[18:19]
	s_add_i32 s20, s20, -1
	s_waitcnt vmcnt(0)
	v_and_b32_e32 v30, 0xffff, v4
	v_lshlrev_b64 v[4:5], s16, v[30:31]
	s_add_u32 s16, s16, 8
	s_addc_u32 s17, s17, 0
	s_add_u32 s18, s18, 1
	s_addc_u32 s19, s19, 0
	v_or_b32_e32 v22, v4, v22
	s_cmp_lg_u32 s20, 0
	v_or_b32_e32 v23, v5, v23
	s_cbranch_scc1 .LBB9_763
	s_branch .LBB9_766
.LBB9_764:                              ;   in Loop: Header=BB9_713 Depth=1
	s_branch .LBB9_767
.LBB9_765:                              ;   in Loop: Header=BB9_713 Depth=1
	v_mov_b64_e32 v[22:23], 0
.LBB9_766:                              ;   in Loop: Header=BB9_713 Depth=1
	s_cbranch_execnz .LBB9_768
.LBB9_767:                              ;   in Loop: Header=BB9_713 Depth=1
	global_load_dwordx2 v[22:23], v31, s[0:1]
.LBB9_768:                              ;   in Loop: Header=BB9_713 Depth=1
	v_readfirstlane_b32 s0, v47
	s_waitcnt vmcnt(0)
	v_mov_b64_e32 v[4:5], 0
	v_cmp_eq_u32_e64 s[0:1], s0, v47
	s_and_saveexec_b64 s[16:17], s[0:1]
	s_cbranch_execz .LBB9_774
; %bb.769:                              ;   in Loop: Header=BB9_713 Depth=1
	global_load_dwordx2 v[26:27], v31, s[42:43] offset:24 sc0 sc1
	s_waitcnt vmcnt(0)
	buffer_inv sc0 sc1
	global_load_dwordx2 v[4:5], v31, s[42:43] offset:40
	global_load_dwordx2 v[8:9], v31, s[42:43]
	s_waitcnt vmcnt(1)
	v_and_b32_e32 v4, v4, v26
	v_and_b32_e32 v5, v5, v27
	v_mul_lo_u32 v5, v5, 24
	v_mul_hi_u32 v24, v4, 24
	v_add_u32_e32 v5, v24, v5
	v_mul_lo_u32 v4, v4, 24
	s_waitcnt vmcnt(0)
	v_lshl_add_u64 v[4:5], v[8:9], 0, v[4:5]
	global_load_dwordx2 v[24:25], v[4:5], off sc0 sc1
	s_waitcnt vmcnt(0)
	global_atomic_cmpswap_x2 v[4:5], v31, v[24:27], s[42:43] offset:24 sc0 sc1
	s_waitcnt vmcnt(0)
	buffer_inv sc0 sc1
	v_cmp_ne_u64_e32 vcc, v[4:5], v[26:27]
	s_and_saveexec_b64 s[18:19], vcc
	s_cbranch_execz .LBB9_773
; %bb.770:                              ;   in Loop: Header=BB9_713 Depth=1
	s_mov_b64 s[20:21], 0
.LBB9_771:                              ;   Parent Loop BB9_713 Depth=1
                                        ; =>  This Inner Loop Header: Depth=2
	s_sleep 1
	global_load_dwordx2 v[8:9], v31, s[42:43] offset:40
	global_load_dwordx2 v[24:25], v31, s[42:43]
	v_mov_b64_e32 v[26:27], v[4:5]
	s_waitcnt vmcnt(1)
	v_and_b32_e32 v4, v8, v26
	s_waitcnt vmcnt(0)
	v_mad_u64_u32 v[4:5], s[22:23], v4, 24, v[24:25]
	v_and_b32_e32 v9, v9, v27
	v_mov_b32_e32 v8, v5
	v_mad_u64_u32 v[8:9], s[22:23], v9, 24, v[8:9]
	v_mov_b32_e32 v5, v8
	global_load_dwordx2 v[24:25], v[4:5], off sc0 sc1
	s_waitcnt vmcnt(0)
	global_atomic_cmpswap_x2 v[4:5], v31, v[24:27], s[42:43] offset:24 sc0 sc1
	s_waitcnt vmcnt(0)
	buffer_inv sc0 sc1
	v_cmp_eq_u64_e32 vcc, v[4:5], v[26:27]
	s_or_b64 s[20:21], vcc, s[20:21]
	s_andn2_b64 exec, exec, s[20:21]
	s_cbranch_execnz .LBB9_771
; %bb.772:                              ;   in Loop: Header=BB9_713 Depth=1
	s_or_b64 exec, exec, s[20:21]
.LBB9_773:                              ;   in Loop: Header=BB9_713 Depth=1
	s_or_b64 exec, exec, s[18:19]
.LBB9_774:                              ;   in Loop: Header=BB9_713 Depth=1
	s_or_b64 exec, exec, s[16:17]
	global_load_dwordx2 v[8:9], v31, s[42:43] offset:40
	global_load_dwordx4 v[24:27], v31, s[42:43]
	v_readfirstlane_b32 s16, v4
	v_readfirstlane_b32 s17, v5
	s_mov_b64 s[18:19], exec
	s_waitcnt vmcnt(1)
	v_readfirstlane_b32 s20, v8
	v_readfirstlane_b32 s21, v9
	s_and_b64 s[20:21], s[16:17], s[20:21]
	s_mul_i32 s15, s21, 24
	s_mul_hi_u32 s22, s20, 24
	s_add_i32 s23, s22, s15
	s_mul_i32 s22, s20, 24
	s_waitcnt vmcnt(0)
	v_lshl_add_u64 v[32:33], v[24:25], 0, s[22:23]
	s_and_saveexec_b64 s[22:23], s[0:1]
	s_cbranch_execz .LBB9_776
; %bb.775:                              ;   in Loop: Header=BB9_713 Depth=1
	v_mov_b64_e32 v[4:5], s[18:19]
	global_store_dwordx4 v[32:33], v[4:7], off offset:8
.LBB9_776:                              ;   in Loop: Header=BB9_713 Depth=1
	s_or_b64 exec, exec, s[22:23]
	s_nop 0
	v_or_b32_e32 v5, v2, v28
	v_cmp_gt_u64_e64 vcc, s[6:7], 56
	s_lshl_b32 s15, s10, 2
	s_lshl_b64 s[18:19], s[20:21], 12
	v_cndmask_b32_e32 v2, v5, v2, vcc
	s_add_i32 s15, s15, 28
	v_lshl_add_u64 v[26:27], v[26:27], 0, s[18:19]
	v_or_b32_e32 v4, 0, v3
	s_and_b32 s15, s15, 0x1e0
	v_and_b32_e32 v2, 0xffffff1f, v2
	v_cndmask_b32_e32 v9, v4, v3, vcc
	v_or_b32_e32 v8, s15, v2
	v_readfirstlane_b32 s18, v26
	v_readfirstlane_b32 s19, v27
	s_nop 4
	global_store_dwordx4 v36, v[8:11], s[18:19]
	global_store_dwordx4 v36, v[12:15], s[18:19] offset:16
	global_store_dwordx4 v36, v[16:19], s[18:19] offset:32
	;; [unrolled: 1-line block ×3, first 2 shown]
	s_and_saveexec_b64 s[18:19], s[0:1]
	s_cbranch_execz .LBB9_784
; %bb.777:                              ;   in Loop: Header=BB9_713 Depth=1
	global_load_dwordx2 v[12:13], v31, s[42:43] offset:32 sc0 sc1
	global_load_dwordx2 v[2:3], v31, s[42:43] offset:40
	v_mov_b32_e32 v10, s16
	v_mov_b32_e32 v11, s17
	s_waitcnt vmcnt(0)
	v_readfirstlane_b32 s20, v2
	v_readfirstlane_b32 s21, v3
	s_and_b64 s[20:21], s[20:21], s[16:17]
	s_mul_i32 s15, s21, 24
	s_mul_hi_u32 s21, s20, 24
	s_mul_i32 s20, s20, 24
	s_add_i32 s21, s21, s15
	v_lshl_add_u64 v[8:9], v[24:25], 0, s[20:21]
	global_store_dwordx2 v[8:9], v[12:13], off
	buffer_wbl2 sc0 sc1
	s_waitcnt vmcnt(0)
	global_atomic_cmpswap_x2 v[4:5], v31, v[10:13], s[42:43] offset:32 sc0 sc1
	s_waitcnt vmcnt(0)
	v_cmp_ne_u64_e32 vcc, v[4:5], v[12:13]
	s_and_saveexec_b64 s[20:21], vcc
	s_cbranch_execz .LBB9_780
; %bb.778:                              ;   in Loop: Header=BB9_713 Depth=1
	s_mov_b64 s[22:23], 0
.LBB9_779:                              ;   Parent Loop BB9_713 Depth=1
                                        ; =>  This Inner Loop Header: Depth=2
	s_sleep 1
	global_store_dwordx2 v[8:9], v[4:5], off
	v_mov_b32_e32 v2, s16
	v_mov_b32_e32 v3, s17
	buffer_wbl2 sc0 sc1
	s_waitcnt vmcnt(0)
	global_atomic_cmpswap_x2 v[2:3], v31, v[2:5], s[42:43] offset:32 sc0 sc1
	s_waitcnt vmcnt(0)
	v_cmp_eq_u64_e32 vcc, v[2:3], v[4:5]
	s_or_b64 s[22:23], vcc, s[22:23]
	v_mov_b64_e32 v[4:5], v[2:3]
	s_andn2_b64 exec, exec, s[22:23]
	s_cbranch_execnz .LBB9_779
.LBB9_780:                              ;   in Loop: Header=BB9_713 Depth=1
	s_or_b64 exec, exec, s[20:21]
	global_load_dwordx2 v[2:3], v31, s[42:43] offset:16
	s_mov_b64 s[22:23], exec
	v_mbcnt_lo_u32_b32 v4, s22, 0
	v_mbcnt_hi_u32_b32 v4, s23, v4
	v_cmp_eq_u32_e32 vcc, 0, v4
	s_and_saveexec_b64 s[20:21], vcc
	s_cbranch_execz .LBB9_782
; %bb.781:                              ;   in Loop: Header=BB9_713 Depth=1
	s_bcnt1_i32_b64 s15, s[22:23]
	v_mov_b32_e32 v30, s15
	buffer_wbl2 sc0 sc1
	s_waitcnt vmcnt(0)
	global_atomic_add_x2 v[2:3], v[30:31], off offset:8 sc1
.LBB9_782:                              ;   in Loop: Header=BB9_713 Depth=1
	s_or_b64 exec, exec, s[20:21]
	s_waitcnt vmcnt(0)
	global_load_dwordx2 v[4:5], v[2:3], off offset:16
	s_waitcnt vmcnt(0)
	v_cmp_eq_u64_e32 vcc, 0, v[4:5]
	s_cbranch_vccnz .LBB9_784
; %bb.783:                              ;   in Loop: Header=BB9_713 Depth=1
	global_load_dword v30, v[2:3], off offset:24
	s_waitcnt vmcnt(0)
	v_and_b32_e32 v2, 0xffffff, v30
	s_nop 0
	v_readfirstlane_b32 m0, v2
	buffer_wbl2 sc0 sc1
	global_store_dwordx2 v[4:5], v[30:31], off sc0 sc1
	s_sendmsg sendmsg(MSG_INTERRUPT)
.LBB9_784:                              ;   in Loop: Header=BB9_713 Depth=1
	s_or_b64 exec, exec, s[18:19]
	v_mov_b32_e32 v37, v31
	v_lshl_add_u64 v[2:3], v[26:27], 0, v[36:37]
	s_branch .LBB9_788
.LBB9_785:                              ;   in Loop: Header=BB9_788 Depth=2
	s_or_b64 exec, exec, s[18:19]
	v_readfirstlane_b32 s15, v4
	s_cmp_eq_u32 s15, 0
	s_cbranch_scc1 .LBB9_787
; %bb.786:                              ;   in Loop: Header=BB9_788 Depth=2
	s_sleep 1
	s_cbranch_execnz .LBB9_788
	s_branch .LBB9_790
.LBB9_787:                              ;   in Loop: Header=BB9_713 Depth=1
	s_branch .LBB9_790
.LBB9_788:                              ;   Parent Loop BB9_713 Depth=1
                                        ; =>  This Inner Loop Header: Depth=2
	v_mov_b32_e32 v4, 1
	s_and_saveexec_b64 s[18:19], s[0:1]
	s_cbranch_execz .LBB9_785
; %bb.789:                              ;   in Loop: Header=BB9_788 Depth=2
	global_load_dword v4, v[32:33], off offset:20 sc0 sc1
	s_waitcnt vmcnt(0)
	buffer_inv sc0 sc1
	v_and_b32_e32 v4, 1, v4
	s_branch .LBB9_785
.LBB9_790:                              ;   in Loop: Header=BB9_713 Depth=1
	global_load_dwordx4 v[2:5], v[2:3], off
	s_and_saveexec_b64 s[18:19], s[0:1]
	s_cbranch_execz .LBB9_712
; %bb.791:                              ;   in Loop: Header=BB9_713 Depth=1
	global_load_dwordx2 v[4:5], v31, s[42:43] offset:40
	global_load_dwordx2 v[12:13], v31, s[42:43] offset:24 sc0 sc1
	global_load_dwordx2 v[14:15], v31, s[42:43]
	s_waitcnt vmcnt(2)
	v_lshl_add_u64 v[8:9], v[4:5], 0, 1
	v_lshl_add_u64 v[16:17], v[8:9], 0, s[16:17]
	v_cmp_eq_u64_e32 vcc, 0, v[16:17]
	s_waitcnt vmcnt(1)
	v_mov_b32_e32 v10, v12
	v_cndmask_b32_e32 v9, v17, v9, vcc
	v_cndmask_b32_e32 v8, v16, v8, vcc
	v_and_b32_e32 v5, v9, v5
	v_and_b32_e32 v4, v8, v4
	v_mul_lo_u32 v5, v5, 24
	v_mul_hi_u32 v11, v4, 24
	v_mul_lo_u32 v4, v4, 24
	v_add_u32_e32 v5, v11, v5
	s_waitcnt vmcnt(0)
	v_lshl_add_u64 v[4:5], v[14:15], 0, v[4:5]
	global_store_dwordx2 v[4:5], v[12:13], off
	v_mov_b32_e32 v11, v13
	buffer_wbl2 sc0 sc1
	s_waitcnt vmcnt(0)
	global_atomic_cmpswap_x2 v[10:11], v31, v[8:11], s[42:43] offset:24 sc0 sc1
	s_waitcnt vmcnt(0)
	v_cmp_ne_u64_e32 vcc, v[10:11], v[12:13]
	s_and_b64 exec, exec, vcc
	s_cbranch_execz .LBB9_712
; %bb.792:                              ;   in Loop: Header=BB9_713 Depth=1
	s_mov_b64 s[0:1], 0
.LBB9_793:                              ;   Parent Loop BB9_713 Depth=1
                                        ; =>  This Inner Loop Header: Depth=2
	s_sleep 1
	global_store_dwordx2 v[4:5], v[10:11], off
	buffer_wbl2 sc0 sc1
	s_waitcnt vmcnt(0)
	global_atomic_cmpswap_x2 v[12:13], v31, v[8:11], s[42:43] offset:24 sc0 sc1
	s_waitcnt vmcnt(0)
	v_cmp_eq_u64_e32 vcc, v[12:13], v[10:11]
	s_or_b64 s[0:1], vcc, s[0:1]
	v_mov_b64_e32 v[10:11], v[12:13]
	s_andn2_b64 exec, exec, s[0:1]
	s_cbranch_execnz .LBB9_793
	s_branch .LBB9_712
.LBB9_794:
	s_branch .LBB9_822
.LBB9_795:
                                        ; implicit-def: $vgpr2_vgpr3
	s_cbranch_execz .LBB9_822
; %bb.796:
	v_readfirstlane_b32 s0, v47
	s_waitcnt vmcnt(0)
	v_mov_b64_e32 v[2:3], 0
	v_cmp_eq_u32_e64 s[0:1], s0, v47
	s_and_saveexec_b64 s[4:5], s[0:1]
	s_cbranch_execz .LBB9_802
; %bb.797:
	v_mov_b32_e32 v4, 0
	global_load_dwordx2 v[8:9], v4, s[42:43] offset:24 sc0 sc1
	s_waitcnt vmcnt(0)
	buffer_inv sc0 sc1
	global_load_dwordx2 v[2:3], v4, s[42:43] offset:40
	global_load_dwordx2 v[6:7], v4, s[42:43]
	s_waitcnt vmcnt(1)
	v_and_b32_e32 v2, v2, v8
	v_and_b32_e32 v3, v3, v9
	v_mul_lo_u32 v3, v3, 24
	v_mul_hi_u32 v5, v2, 24
	v_add_u32_e32 v3, v5, v3
	v_mul_lo_u32 v2, v2, 24
	s_waitcnt vmcnt(0)
	v_lshl_add_u64 v[2:3], v[6:7], 0, v[2:3]
	global_load_dwordx2 v[6:7], v[2:3], off sc0 sc1
	s_waitcnt vmcnt(0)
	global_atomic_cmpswap_x2 v[2:3], v4, v[6:9], s[42:43] offset:24 sc0 sc1
	s_waitcnt vmcnt(0)
	buffer_inv sc0 sc1
	v_cmp_ne_u64_e32 vcc, v[2:3], v[8:9]
	s_and_saveexec_b64 s[6:7], vcc
	s_cbranch_execz .LBB9_801
; %bb.798:
	s_mov_b64 s[10:11], 0
.LBB9_799:                              ; =>This Inner Loop Header: Depth=1
	s_sleep 1
	global_load_dwordx2 v[6:7], v4, s[42:43] offset:40
	global_load_dwordx2 v[10:11], v4, s[42:43]
	v_mov_b64_e32 v[8:9], v[2:3]
	s_waitcnt vmcnt(1)
	v_and_b32_e32 v2, v6, v8
	s_waitcnt vmcnt(0)
	v_mad_u64_u32 v[2:3], s[16:17], v2, 24, v[10:11]
	v_and_b32_e32 v5, v7, v9
	v_mov_b32_e32 v6, v3
	v_mad_u64_u32 v[6:7], s[16:17], v5, 24, v[6:7]
	v_mov_b32_e32 v3, v6
	global_load_dwordx2 v[6:7], v[2:3], off sc0 sc1
	s_waitcnt vmcnt(0)
	global_atomic_cmpswap_x2 v[2:3], v4, v[6:9], s[42:43] offset:24 sc0 sc1
	s_waitcnt vmcnt(0)
	buffer_inv sc0 sc1
	v_cmp_eq_u64_e32 vcc, v[2:3], v[8:9]
	s_or_b64 s[10:11], vcc, s[10:11]
	s_andn2_b64 exec, exec, s[10:11]
	s_cbranch_execnz .LBB9_799
; %bb.800:
	s_or_b64 exec, exec, s[10:11]
.LBB9_801:
	s_or_b64 exec, exec, s[6:7]
.LBB9_802:
	s_or_b64 exec, exec, s[4:5]
	v_mov_b32_e32 v37, 0
	global_load_dwordx2 v[8:9], v37, s[42:43] offset:40
	global_load_dwordx4 v[4:7], v37, s[42:43]
	v_readfirstlane_b32 s4, v2
	v_readfirstlane_b32 s5, v3
	s_mov_b64 s[6:7], exec
	s_waitcnt vmcnt(1)
	v_readfirstlane_b32 s10, v8
	v_readfirstlane_b32 s11, v9
	s_and_b64 s[10:11], s[4:5], s[10:11]
	s_mul_i32 s15, s11, 24
	s_mul_hi_u32 s16, s10, 24
	s_add_i32 s17, s16, s15
	s_mul_i32 s16, s10, 24
	s_waitcnt vmcnt(0)
	v_lshl_add_u64 v[8:9], v[4:5], 0, s[16:17]
	s_and_saveexec_b64 s[16:17], s[0:1]
	s_cbranch_execz .LBB9_804
; %bb.803:
	v_mov_b64_e32 v[10:11], s[6:7]
	v_mov_b32_e32 v12, 2
	v_mov_b32_e32 v13, 1
	global_store_dwordx4 v[8:9], v[10:13], off offset:8
.LBB9_804:
	s_or_b64 exec, exec, s[16:17]
	s_lshl_b64 s[6:7], s[10:11], 12
	v_lshl_add_u64 v[6:7], v[6:7], 0, s[6:7]
	s_movk_i32 s6, 0xff1f
	s_mov_b32 s16, 0
	v_and_or_b32 v0, v0, s6, 32
	v_mov_b32_e32 v2, v37
	v_mov_b32_e32 v3, v37
	v_readfirstlane_b32 s6, v6
	v_readfirstlane_b32 s7, v7
	s_mov_b32 s17, s16
	s_mov_b32 s18, s16
	;; [unrolled: 1-line block ×3, first 2 shown]
	s_nop 1
	global_store_dwordx4 v36, v[0:3], s[6:7]
	s_nop 1
	v_mov_b64_e32 v[0:1], s[16:17]
	v_mov_b64_e32 v[2:3], s[18:19]
	global_store_dwordx4 v36, v[0:3], s[6:7] offset:16
	global_store_dwordx4 v36, v[0:3], s[6:7] offset:32
	;; [unrolled: 1-line block ×3, first 2 shown]
	s_and_saveexec_b64 s[6:7], s[0:1]
	s_cbranch_execz .LBB9_812
; %bb.805:
	v_mov_b32_e32 v10, 0
	global_load_dwordx2 v[14:15], v10, s[42:43] offset:32 sc0 sc1
	global_load_dwordx2 v[0:1], v10, s[42:43] offset:40
	v_mov_b32_e32 v12, s4
	v_mov_b32_e32 v13, s5
	s_waitcnt vmcnt(0)
	v_readfirstlane_b32 s10, v0
	v_readfirstlane_b32 s11, v1
	s_and_b64 s[10:11], s[10:11], s[4:5]
	s_mul_i32 s11, s11, 24
	s_mul_hi_u32 s15, s10, 24
	s_mul_i32 s10, s10, 24
	s_add_i32 s11, s15, s11
	v_lshl_add_u64 v[4:5], v[4:5], 0, s[10:11]
	global_store_dwordx2 v[4:5], v[14:15], off
	buffer_wbl2 sc0 sc1
	s_waitcnt vmcnt(0)
	global_atomic_cmpswap_x2 v[2:3], v10, v[12:15], s[42:43] offset:32 sc0 sc1
	s_waitcnt vmcnt(0)
	v_cmp_ne_u64_e32 vcc, v[2:3], v[14:15]
	s_and_saveexec_b64 s[10:11], vcc
	s_cbranch_execz .LBB9_808
; %bb.806:
	s_mov_b64 s[16:17], 0
.LBB9_807:                              ; =>This Inner Loop Header: Depth=1
	s_sleep 1
	global_store_dwordx2 v[4:5], v[2:3], off
	v_mov_b32_e32 v0, s4
	v_mov_b32_e32 v1, s5
	buffer_wbl2 sc0 sc1
	s_waitcnt vmcnt(0)
	global_atomic_cmpswap_x2 v[0:1], v10, v[0:3], s[42:43] offset:32 sc0 sc1
	s_waitcnt vmcnt(0)
	v_cmp_eq_u64_e32 vcc, v[0:1], v[2:3]
	s_or_b64 s[16:17], vcc, s[16:17]
	v_mov_b64_e32 v[2:3], v[0:1]
	s_andn2_b64 exec, exec, s[16:17]
	s_cbranch_execnz .LBB9_807
.LBB9_808:
	s_or_b64 exec, exec, s[10:11]
	v_mov_b32_e32 v3, 0
	global_load_dwordx2 v[0:1], v3, s[42:43] offset:16
	s_mov_b64 s[10:11], exec
	v_mbcnt_lo_u32_b32 v2, s10, 0
	v_mbcnt_hi_u32_b32 v2, s11, v2
	v_cmp_eq_u32_e32 vcc, 0, v2
	s_and_saveexec_b64 s[16:17], vcc
	s_cbranch_execz .LBB9_810
; %bb.809:
	s_bcnt1_i32_b64 s10, s[10:11]
	v_mov_b32_e32 v2, s10
	buffer_wbl2 sc0 sc1
	s_waitcnt vmcnt(0)
	global_atomic_add_x2 v[0:1], v[2:3], off offset:8 sc1
.LBB9_810:
	s_or_b64 exec, exec, s[16:17]
	s_waitcnt vmcnt(0)
	global_load_dwordx2 v[2:3], v[0:1], off offset:16
	s_waitcnt vmcnt(0)
	v_cmp_eq_u64_e32 vcc, 0, v[2:3]
	s_cbranch_vccnz .LBB9_812
; %bb.811:
	global_load_dword v0, v[0:1], off offset:24
	v_mov_b32_e32 v1, 0
	buffer_wbl2 sc0 sc1
	s_waitcnt vmcnt(0)
	global_store_dwordx2 v[2:3], v[0:1], off sc0 sc1
	v_and_b32_e32 v0, 0xffffff, v0
	s_nop 0
	v_readfirstlane_b32 m0, v0
	s_sendmsg sendmsg(MSG_INTERRUPT)
.LBB9_812:
	s_or_b64 exec, exec, s[6:7]
	v_lshl_add_u64 v[0:1], v[6:7], 0, v[36:37]
	s_branch .LBB9_816
.LBB9_813:                              ;   in Loop: Header=BB9_816 Depth=1
	s_or_b64 exec, exec, s[6:7]
	v_readfirstlane_b32 s6, v2
	s_cmp_eq_u32 s6, 0
	s_cbranch_scc1 .LBB9_815
; %bb.814:                              ;   in Loop: Header=BB9_816 Depth=1
	s_sleep 1
	s_cbranch_execnz .LBB9_816
	s_branch .LBB9_818
.LBB9_815:
	s_branch .LBB9_818
.LBB9_816:                              ; =>This Inner Loop Header: Depth=1
	v_mov_b32_e32 v2, 1
	s_and_saveexec_b64 s[6:7], s[0:1]
	s_cbranch_execz .LBB9_813
; %bb.817:                              ;   in Loop: Header=BB9_816 Depth=1
	global_load_dword v2, v[8:9], off offset:20 sc0 sc1
	s_waitcnt vmcnt(0)
	buffer_inv sc0 sc1
	v_and_b32_e32 v2, 1, v2
	s_branch .LBB9_813
.LBB9_818:
	global_load_dwordx2 v[2:3], v[0:1], off
	s_and_saveexec_b64 s[6:7], s[0:1]
	s_cbranch_execz .LBB9_821
; %bb.819:
	v_mov_b32_e32 v8, 0
	global_load_dwordx2 v[0:1], v8, s[42:43] offset:40
	global_load_dwordx2 v[10:11], v8, s[42:43] offset:24 sc0 sc1
	global_load_dwordx2 v[12:13], v8, s[42:43]
	s_mov_b64 s[0:1], 0
	s_waitcnt vmcnt(2)
	v_lshl_add_u64 v[4:5], v[0:1], 0, 1
	v_lshl_add_u64 v[14:15], v[4:5], 0, s[4:5]
	v_cmp_eq_u64_e32 vcc, 0, v[14:15]
	s_waitcnt vmcnt(1)
	v_mov_b32_e32 v6, v10
	v_cndmask_b32_e32 v5, v15, v5, vcc
	v_cndmask_b32_e32 v4, v14, v4, vcc
	v_and_b32_e32 v1, v5, v1
	v_and_b32_e32 v0, v4, v0
	v_mul_lo_u32 v1, v1, 24
	v_mul_hi_u32 v7, v0, 24
	v_mul_lo_u32 v0, v0, 24
	v_add_u32_e32 v1, v7, v1
	s_waitcnt vmcnt(0)
	v_lshl_add_u64 v[0:1], v[12:13], 0, v[0:1]
	global_store_dwordx2 v[0:1], v[10:11], off
	v_mov_b32_e32 v7, v11
	buffer_wbl2 sc0 sc1
	s_waitcnt vmcnt(0)
	global_atomic_cmpswap_x2 v[6:7], v8, v[4:7], s[42:43] offset:24 sc0 sc1
	s_waitcnt vmcnt(0)
	v_cmp_ne_u64_e32 vcc, v[6:7], v[10:11]
	s_and_b64 exec, exec, vcc
	s_cbranch_execz .LBB9_821
.LBB9_820:                              ; =>This Inner Loop Header: Depth=1
	s_sleep 1
	global_store_dwordx2 v[0:1], v[6:7], off
	buffer_wbl2 sc0 sc1
	s_waitcnt vmcnt(0)
	global_atomic_cmpswap_x2 v[10:11], v8, v[4:7], s[42:43] offset:24 sc0 sc1
	s_waitcnt vmcnt(0)
	v_cmp_eq_u64_e32 vcc, v[10:11], v[6:7]
	s_or_b64 s[0:1], vcc, s[0:1]
	v_mov_b64_e32 v[6:7], v[10:11]
	s_andn2_b64 exec, exec, s[0:1]
	s_cbranch_execnz .LBB9_820
.LBB9_821:
	s_or_b64 exec, exec, s[6:7]
.LBB9_822:
	v_readfirstlane_b32 s0, v47
	s_waitcnt vmcnt(0)
	v_mov_b64_e32 v[0:1], 0
	v_cmp_eq_u32_e64 s[0:1], s0, v47
	s_and_saveexec_b64 s[4:5], s[0:1]
	s_cbranch_execz .LBB9_828
; %bb.823:
	v_mov_b32_e32 v4, 0
	global_load_dwordx2 v[8:9], v4, s[42:43] offset:24 sc0 sc1
	s_waitcnt vmcnt(0)
	buffer_inv sc0 sc1
	global_load_dwordx2 v[0:1], v4, s[42:43] offset:40
	global_load_dwordx2 v[6:7], v4, s[42:43]
	s_waitcnt vmcnt(1)
	v_and_b32_e32 v0, v0, v8
	v_and_b32_e32 v1, v1, v9
	v_mul_lo_u32 v1, v1, 24
	v_mul_hi_u32 v5, v0, 24
	v_add_u32_e32 v1, v5, v1
	v_mul_lo_u32 v0, v0, 24
	s_waitcnt vmcnt(0)
	v_lshl_add_u64 v[0:1], v[6:7], 0, v[0:1]
	global_load_dwordx2 v[6:7], v[0:1], off sc0 sc1
	s_waitcnt vmcnt(0)
	global_atomic_cmpswap_x2 v[0:1], v4, v[6:9], s[42:43] offset:24 sc0 sc1
	s_waitcnt vmcnt(0)
	buffer_inv sc0 sc1
	v_cmp_ne_u64_e32 vcc, v[0:1], v[8:9]
	s_and_saveexec_b64 s[6:7], vcc
	s_cbranch_execz .LBB9_827
; %bb.824:
	s_mov_b64 s[10:11], 0
.LBB9_825:                              ; =>This Inner Loop Header: Depth=1
	s_sleep 1
	global_load_dwordx2 v[6:7], v4, s[42:43] offset:40
	global_load_dwordx2 v[10:11], v4, s[42:43]
	v_mov_b64_e32 v[8:9], v[0:1]
	s_waitcnt vmcnt(1)
	v_and_b32_e32 v0, v6, v8
	s_waitcnt vmcnt(0)
	v_mad_u64_u32 v[0:1], s[16:17], v0, 24, v[10:11]
	v_and_b32_e32 v5, v7, v9
	v_mov_b32_e32 v6, v1
	v_mad_u64_u32 v[6:7], s[16:17], v5, 24, v[6:7]
	v_mov_b32_e32 v1, v6
	global_load_dwordx2 v[6:7], v[0:1], off sc0 sc1
	s_waitcnt vmcnt(0)
	global_atomic_cmpswap_x2 v[0:1], v4, v[6:9], s[42:43] offset:24 sc0 sc1
	s_waitcnt vmcnt(0)
	buffer_inv sc0 sc1
	v_cmp_eq_u64_e32 vcc, v[0:1], v[8:9]
	s_or_b64 s[10:11], vcc, s[10:11]
	s_andn2_b64 exec, exec, s[10:11]
	s_cbranch_execnz .LBB9_825
; %bb.826:
	s_or_b64 exec, exec, s[10:11]
.LBB9_827:
	s_or_b64 exec, exec, s[6:7]
.LBB9_828:
	s_or_b64 exec, exec, s[4:5]
	v_mov_b32_e32 v5, 0
	global_load_dwordx2 v[10:11], v5, s[42:43] offset:40
	global_load_dwordx4 v[6:9], v5, s[42:43]
	v_readfirstlane_b32 s4, v0
	v_readfirstlane_b32 s5, v1
	s_mov_b64 s[6:7], exec
	s_waitcnt vmcnt(1)
	v_readfirstlane_b32 s10, v10
	v_readfirstlane_b32 s11, v11
	s_and_b64 s[10:11], s[4:5], s[10:11]
	s_mul_i32 s15, s11, 24
	s_mul_hi_u32 s16, s10, 24
	s_add_i32 s17, s16, s15
	s_mul_i32 s16, s10, 24
	s_waitcnt vmcnt(0)
	v_lshl_add_u64 v[10:11], v[6:7], 0, s[16:17]
	s_and_saveexec_b64 s[16:17], s[0:1]
	s_cbranch_execz .LBB9_830
; %bb.829:
	v_mov_b64_e32 v[12:13], s[6:7]
	v_mov_b32_e32 v14, 2
	v_mov_b32_e32 v15, 1
	global_store_dwordx4 v[10:11], v[12:15], off offset:8
.LBB9_830:
	s_or_b64 exec, exec, s[16:17]
	s_lshl_b64 s[6:7], s[10:11], 12
	v_lshl_add_u64 v[0:1], v[8:9], 0, s[6:7]
	s_movk_i32 s6, 0xff1d
	s_mov_b32 s16, 0
	v_and_or_b32 v2, v2, s6, 34
	v_mov_b32_e32 v4, 58
	v_readfirstlane_b32 s6, v0
	v_readfirstlane_b32 s7, v1
	s_mov_b32 s17, s16
	s_mov_b32 s18, s16
	;; [unrolled: 1-line block ×3, first 2 shown]
	s_nop 1
	global_store_dwordx4 v36, v[2:5], s[6:7]
	v_mov_b64_e32 v[0:1], s[16:17]
	s_nop 0
	v_mov_b64_e32 v[2:3], s[18:19]
	global_store_dwordx4 v36, v[0:3], s[6:7] offset:16
	global_store_dwordx4 v36, v[0:3], s[6:7] offset:32
	;; [unrolled: 1-line block ×3, first 2 shown]
	s_and_saveexec_b64 s[6:7], s[0:1]
	s_cbranch_execz .LBB9_838
; %bb.831:
	v_mov_b32_e32 v8, 0
	global_load_dwordx2 v[14:15], v8, s[42:43] offset:32 sc0 sc1
	global_load_dwordx2 v[0:1], v8, s[42:43] offset:40
	v_mov_b32_e32 v12, s4
	v_mov_b32_e32 v13, s5
	s_waitcnt vmcnt(0)
	v_readfirstlane_b32 s10, v0
	v_readfirstlane_b32 s11, v1
	s_and_b64 s[10:11], s[10:11], s[4:5]
	s_mul_i32 s11, s11, 24
	s_mul_hi_u32 s15, s10, 24
	s_mul_i32 s10, s10, 24
	s_add_i32 s11, s15, s11
	v_lshl_add_u64 v[4:5], v[6:7], 0, s[10:11]
	global_store_dwordx2 v[4:5], v[14:15], off
	buffer_wbl2 sc0 sc1
	s_waitcnt vmcnt(0)
	global_atomic_cmpswap_x2 v[2:3], v8, v[12:15], s[42:43] offset:32 sc0 sc1
	s_waitcnt vmcnt(0)
	v_cmp_ne_u64_e32 vcc, v[2:3], v[14:15]
	s_and_saveexec_b64 s[10:11], vcc
	s_cbranch_execz .LBB9_834
; %bb.832:
	s_mov_b64 s[16:17], 0
.LBB9_833:                              ; =>This Inner Loop Header: Depth=1
	s_sleep 1
	global_store_dwordx2 v[4:5], v[2:3], off
	v_mov_b32_e32 v0, s4
	v_mov_b32_e32 v1, s5
	buffer_wbl2 sc0 sc1
	s_waitcnt vmcnt(0)
	global_atomic_cmpswap_x2 v[0:1], v8, v[0:3], s[42:43] offset:32 sc0 sc1
	s_waitcnt vmcnt(0)
	v_cmp_eq_u64_e32 vcc, v[0:1], v[2:3]
	s_or_b64 s[16:17], vcc, s[16:17]
	v_mov_b64_e32 v[2:3], v[0:1]
	s_andn2_b64 exec, exec, s[16:17]
	s_cbranch_execnz .LBB9_833
.LBB9_834:
	s_or_b64 exec, exec, s[10:11]
	v_mov_b32_e32 v3, 0
	global_load_dwordx2 v[0:1], v3, s[42:43] offset:16
	s_mov_b64 s[10:11], exec
	v_mbcnt_lo_u32_b32 v2, s10, 0
	v_mbcnt_hi_u32_b32 v2, s11, v2
	v_cmp_eq_u32_e32 vcc, 0, v2
	s_and_saveexec_b64 s[16:17], vcc
	s_cbranch_execz .LBB9_836
; %bb.835:
	s_bcnt1_i32_b64 s10, s[10:11]
	v_mov_b32_e32 v2, s10
	buffer_wbl2 sc0 sc1
	s_waitcnt vmcnt(0)
	global_atomic_add_x2 v[0:1], v[2:3], off offset:8 sc1
.LBB9_836:
	s_or_b64 exec, exec, s[16:17]
	s_waitcnt vmcnt(0)
	global_load_dwordx2 v[2:3], v[0:1], off offset:16
	s_waitcnt vmcnt(0)
	v_cmp_eq_u64_e32 vcc, 0, v[2:3]
	s_cbranch_vccnz .LBB9_838
; %bb.837:
	global_load_dword v0, v[0:1], off offset:24
	v_mov_b32_e32 v1, 0
	buffer_wbl2 sc0 sc1
	s_waitcnt vmcnt(0)
	global_store_dwordx2 v[2:3], v[0:1], off sc0 sc1
	v_and_b32_e32 v0, 0xffffff, v0
	s_nop 0
	v_readfirstlane_b32 m0, v0
	s_sendmsg sendmsg(MSG_INTERRUPT)
.LBB9_838:
	s_or_b64 exec, exec, s[6:7]
	s_branch .LBB9_842
.LBB9_839:                              ;   in Loop: Header=BB9_842 Depth=1
	s_or_b64 exec, exec, s[6:7]
	v_readfirstlane_b32 s6, v0
	s_cmp_eq_u32 s6, 0
	s_cbranch_scc1 .LBB9_841
; %bb.840:                              ;   in Loop: Header=BB9_842 Depth=1
	s_sleep 1
	s_cbranch_execnz .LBB9_842
	s_branch .LBB9_844
.LBB9_841:
	s_branch .LBB9_844
.LBB9_842:                              ; =>This Inner Loop Header: Depth=1
	v_mov_b32_e32 v0, 1
	s_and_saveexec_b64 s[6:7], s[0:1]
	s_cbranch_execz .LBB9_839
; %bb.843:                              ;   in Loop: Header=BB9_842 Depth=1
	global_load_dword v0, v[10:11], off offset:20 sc0 sc1
	s_waitcnt vmcnt(0)
	buffer_inv sc0 sc1
	v_and_b32_e32 v0, 1, v0
	s_branch .LBB9_839
.LBB9_844:
	s_and_saveexec_b64 s[6:7], s[0:1]
	s_cbranch_execz .LBB9_847
; %bb.845:
	v_mov_b32_e32 v6, 0
	global_load_dwordx2 v[4:5], v6, s[42:43] offset:40
	global_load_dwordx2 v[8:9], v6, s[42:43] offset:24 sc0 sc1
	global_load_dwordx2 v[10:11], v6, s[42:43]
	s_mov_b64 s[0:1], 0
	s_waitcnt vmcnt(2)
	v_lshl_add_u64 v[0:1], v[4:5], 0, 1
	v_lshl_add_u64 v[12:13], v[0:1], 0, s[4:5]
	v_cmp_eq_u64_e32 vcc, 0, v[12:13]
	s_waitcnt vmcnt(1)
	v_mov_b32_e32 v2, v8
	v_cndmask_b32_e32 v1, v13, v1, vcc
	v_cndmask_b32_e32 v0, v12, v0, vcc
	v_and_b32_e32 v3, v1, v5
	v_and_b32_e32 v4, v0, v4
	v_mul_lo_u32 v3, v3, 24
	v_mul_hi_u32 v5, v4, 24
	v_mul_lo_u32 v4, v4, 24
	v_add_u32_e32 v5, v5, v3
	s_waitcnt vmcnt(0)
	v_lshl_add_u64 v[4:5], v[10:11], 0, v[4:5]
	global_store_dwordx2 v[4:5], v[8:9], off
	v_mov_b32_e32 v3, v9
	buffer_wbl2 sc0 sc1
	s_waitcnt vmcnt(0)
	global_atomic_cmpswap_x2 v[2:3], v6, v[0:3], s[42:43] offset:24 sc0 sc1
	s_waitcnt vmcnt(0)
	v_cmp_ne_u64_e32 vcc, v[2:3], v[8:9]
	s_and_b64 exec, exec, vcc
	s_cbranch_execz .LBB9_847
.LBB9_846:                              ; =>This Inner Loop Header: Depth=1
	s_sleep 1
	global_store_dwordx2 v[4:5], v[2:3], off
	buffer_wbl2 sc0 sc1
	s_waitcnt vmcnt(0)
	global_atomic_cmpswap_x2 v[8:9], v6, v[0:3], s[42:43] offset:24 sc0 sc1
	s_waitcnt vmcnt(0)
	v_cmp_eq_u64_e32 vcc, v[8:9], v[2:3]
	s_or_b64 s[0:1], vcc, s[0:1]
	v_mov_b64_e32 v[2:3], v[8:9]
	s_andn2_b64 exec, exec, s[0:1]
	s_cbranch_execnz .LBB9_846
.LBB9_847:
	s_or_b64 exec, exec, s[6:7]
	v_readfirstlane_b32 s0, v47
	v_mov_b64_e32 v[4:5], 0
	s_nop 0
	v_cmp_eq_u32_e64 s[0:1], s0, v47
	s_and_saveexec_b64 s[4:5], s[0:1]
	s_cbranch_execz .LBB9_853
; %bb.848:
	v_mov_b32_e32 v0, 0
	global_load_dwordx2 v[6:7], v0, s[42:43] offset:24 sc0 sc1
	s_waitcnt vmcnt(0)
	buffer_inv sc0 sc1
	global_load_dwordx2 v[2:3], v0, s[42:43] offset:40
	global_load_dwordx2 v[4:5], v0, s[42:43]
	s_waitcnt vmcnt(1)
	v_and_b32_e32 v1, v2, v6
	v_and_b32_e32 v2, v3, v7
	v_mul_lo_u32 v2, v2, 24
	v_mul_hi_u32 v3, v1, 24
	v_add_u32_e32 v3, v3, v2
	v_mul_lo_u32 v2, v1, 24
	s_waitcnt vmcnt(0)
	v_lshl_add_u64 v[2:3], v[4:5], 0, v[2:3]
	global_load_dwordx2 v[4:5], v[2:3], off sc0 sc1
	s_waitcnt vmcnt(0)
	global_atomic_cmpswap_x2 v[4:5], v0, v[4:7], s[42:43] offset:24 sc0 sc1
	s_waitcnt vmcnt(0)
	buffer_inv sc0 sc1
	v_cmp_ne_u64_e32 vcc, v[4:5], v[6:7]
	s_and_saveexec_b64 s[6:7], vcc
	s_cbranch_execz .LBB9_852
; %bb.849:
	s_mov_b64 s[10:11], 0
.LBB9_850:                              ; =>This Inner Loop Header: Depth=1
	s_sleep 1
	global_load_dwordx2 v[2:3], v0, s[42:43] offset:40
	global_load_dwordx2 v[8:9], v0, s[42:43]
	v_mov_b64_e32 v[6:7], v[4:5]
	s_waitcnt vmcnt(1)
	v_and_b32_e32 v2, v2, v6
	v_and_b32_e32 v1, v3, v7
	s_waitcnt vmcnt(0)
	v_mad_u64_u32 v[2:3], s[16:17], v2, 24, v[8:9]
	v_mov_b32_e32 v4, v3
	v_mad_u64_u32 v[4:5], s[16:17], v1, 24, v[4:5]
	v_mov_b32_e32 v3, v4
	global_load_dwordx2 v[4:5], v[2:3], off sc0 sc1
	s_waitcnt vmcnt(0)
	global_atomic_cmpswap_x2 v[4:5], v0, v[4:7], s[42:43] offset:24 sc0 sc1
	s_waitcnt vmcnt(0)
	buffer_inv sc0 sc1
	v_cmp_eq_u64_e32 vcc, v[4:5], v[6:7]
	s_or_b64 s[10:11], vcc, s[10:11]
	s_andn2_b64 exec, exec, s[10:11]
	s_cbranch_execnz .LBB9_850
; %bb.851:
	s_or_b64 exec, exec, s[10:11]
.LBB9_852:
	s_or_b64 exec, exec, s[6:7]
.LBB9_853:
	s_or_b64 exec, exec, s[4:5]
	v_mov_b32_e32 v37, 0
	global_load_dwordx2 v[6:7], v37, s[42:43] offset:40
	global_load_dwordx4 v[0:3], v37, s[42:43]
	v_readfirstlane_b32 s4, v4
	v_readfirstlane_b32 s5, v5
	s_mov_b64 s[6:7], exec
	s_waitcnt vmcnt(1)
	v_readfirstlane_b32 s10, v6
	v_readfirstlane_b32 s11, v7
	s_and_b64 s[10:11], s[4:5], s[10:11]
	s_mul_i32 s15, s11, 24
	s_mul_hi_u32 s16, s10, 24
	s_add_i32 s17, s16, s15
	s_mul_i32 s16, s10, 24
	s_waitcnt vmcnt(0)
	v_lshl_add_u64 v[4:5], v[0:1], 0, s[16:17]
	s_and_saveexec_b64 s[16:17], s[0:1]
	s_cbranch_execz .LBB9_855
; %bb.854:
	v_mov_b64_e32 v[6:7], s[6:7]
	v_mov_b32_e32 v8, 2
	v_mov_b32_e32 v9, 1
	global_store_dwordx4 v[4:5], v[6:9], off offset:8
.LBB9_855:
	s_or_b64 exec, exec, s[16:17]
	s_lshl_b64 s[6:7], s[10:11], 12
	v_lshl_add_u64 v[6:7], v[2:3], 0, s[6:7]
	s_mov_b32 s16, 0
	v_mov_b32_e32 v8, 33
	v_mov_b32_e32 v9, v37
	;; [unrolled: 1-line block ×4, first 2 shown]
	v_readfirstlane_b32 s6, v6
	v_readfirstlane_b32 s7, v7
	s_mov_b32 s17, s16
	s_mov_b32 s18, s16
	;; [unrolled: 1-line block ×3, first 2 shown]
	s_nop 1
	global_store_dwordx4 v36, v[8:11], s[6:7]
	s_nop 1
	v_mov_b64_e32 v[8:9], s[16:17]
	v_mov_b64_e32 v[10:11], s[18:19]
	global_store_dwordx4 v36, v[8:11], s[6:7] offset:16
	global_store_dwordx4 v36, v[8:11], s[6:7] offset:32
	;; [unrolled: 1-line block ×3, first 2 shown]
	s_and_saveexec_b64 s[6:7], s[0:1]
	s_cbranch_execz .LBB9_863
; %bb.856:
	v_mov_b32_e32 v10, 0
	global_load_dwordx2 v[14:15], v10, s[42:43] offset:32 sc0 sc1
	global_load_dwordx2 v[2:3], v10, s[42:43] offset:40
	v_mov_b32_e32 v12, s4
	v_mov_b32_e32 v13, s5
	s_waitcnt vmcnt(0)
	v_readfirstlane_b32 s10, v2
	v_readfirstlane_b32 s11, v3
	s_and_b64 s[10:11], s[10:11], s[4:5]
	s_mul_i32 s11, s11, 24
	s_mul_hi_u32 s15, s10, 24
	s_mul_i32 s10, s10, 24
	s_add_i32 s11, s15, s11
	v_lshl_add_u64 v[8:9], v[0:1], 0, s[10:11]
	global_store_dwordx2 v[8:9], v[14:15], off
	buffer_wbl2 sc0 sc1
	s_waitcnt vmcnt(0)
	global_atomic_cmpswap_x2 v[2:3], v10, v[12:15], s[42:43] offset:32 sc0 sc1
	s_waitcnt vmcnt(0)
	v_cmp_ne_u64_e32 vcc, v[2:3], v[14:15]
	s_and_saveexec_b64 s[10:11], vcc
	s_cbranch_execz .LBB9_859
; %bb.857:
	s_mov_b64 s[16:17], 0
.LBB9_858:                              ; =>This Inner Loop Header: Depth=1
	s_sleep 1
	global_store_dwordx2 v[8:9], v[2:3], off
	v_mov_b32_e32 v0, s4
	v_mov_b32_e32 v1, s5
	buffer_wbl2 sc0 sc1
	s_waitcnt vmcnt(0)
	global_atomic_cmpswap_x2 v[0:1], v10, v[0:3], s[42:43] offset:32 sc0 sc1
	s_waitcnt vmcnt(0)
	v_cmp_eq_u64_e32 vcc, v[0:1], v[2:3]
	s_or_b64 s[16:17], vcc, s[16:17]
	v_mov_b64_e32 v[2:3], v[0:1]
	s_andn2_b64 exec, exec, s[16:17]
	s_cbranch_execnz .LBB9_858
.LBB9_859:
	s_or_b64 exec, exec, s[10:11]
	v_mov_b32_e32 v3, 0
	global_load_dwordx2 v[0:1], v3, s[42:43] offset:16
	s_mov_b64 s[10:11], exec
	v_mbcnt_lo_u32_b32 v2, s10, 0
	v_mbcnt_hi_u32_b32 v2, s11, v2
	v_cmp_eq_u32_e32 vcc, 0, v2
	s_and_saveexec_b64 s[16:17], vcc
	s_cbranch_execz .LBB9_861
; %bb.860:
	s_bcnt1_i32_b64 s10, s[10:11]
	v_mov_b32_e32 v2, s10
	buffer_wbl2 sc0 sc1
	s_waitcnt vmcnt(0)
	global_atomic_add_x2 v[0:1], v[2:3], off offset:8 sc1
.LBB9_861:
	s_or_b64 exec, exec, s[16:17]
	s_waitcnt vmcnt(0)
	global_load_dwordx2 v[2:3], v[0:1], off offset:16
	s_waitcnt vmcnt(0)
	v_cmp_eq_u64_e32 vcc, 0, v[2:3]
	s_cbranch_vccnz .LBB9_863
; %bb.862:
	global_load_dword v0, v[0:1], off offset:24
	v_mov_b32_e32 v1, 0
	buffer_wbl2 sc0 sc1
	s_waitcnt vmcnt(0)
	global_store_dwordx2 v[2:3], v[0:1], off sc0 sc1
	v_and_b32_e32 v0, 0xffffff, v0
	s_nop 0
	v_readfirstlane_b32 m0, v0
	s_sendmsg sendmsg(MSG_INTERRUPT)
.LBB9_863:
	s_or_b64 exec, exec, s[6:7]
	v_lshl_add_u64 v[0:1], v[6:7], 0, v[36:37]
	s_branch .LBB9_867
.LBB9_864:                              ;   in Loop: Header=BB9_867 Depth=1
	s_or_b64 exec, exec, s[6:7]
	v_readfirstlane_b32 s6, v2
	s_cmp_eq_u32 s6, 0
	s_cbranch_scc1 .LBB9_866
; %bb.865:                              ;   in Loop: Header=BB9_867 Depth=1
	s_sleep 1
	s_cbranch_execnz .LBB9_867
	s_branch .LBB9_869
.LBB9_866:
	s_branch .LBB9_869
.LBB9_867:                              ; =>This Inner Loop Header: Depth=1
	v_mov_b32_e32 v2, 1
	s_and_saveexec_b64 s[6:7], s[0:1]
	s_cbranch_execz .LBB9_864
; %bb.868:                              ;   in Loop: Header=BB9_867 Depth=1
	global_load_dword v2, v[4:5], off offset:20 sc0 sc1
	s_waitcnt vmcnt(0)
	buffer_inv sc0 sc1
	v_and_b32_e32 v2, 1, v2
	s_branch .LBB9_864
.LBB9_869:
	global_load_dwordx2 v[0:1], v[0:1], off
	s_and_saveexec_b64 s[6:7], s[0:1]
	s_cbranch_execz .LBB9_872
; %bb.870:
	v_mov_b32_e32 v8, 0
	global_load_dwordx2 v[6:7], v8, s[42:43] offset:40
	global_load_dwordx2 v[10:11], v8, s[42:43] offset:24 sc0 sc1
	global_load_dwordx2 v[12:13], v8, s[42:43]
	s_mov_b64 s[0:1], 0
	s_waitcnt vmcnt(2)
	v_lshl_add_u64 v[2:3], v[6:7], 0, 1
	v_lshl_add_u64 v[14:15], v[2:3], 0, s[4:5]
	v_cmp_eq_u64_e32 vcc, 0, v[14:15]
	s_waitcnt vmcnt(1)
	v_mov_b32_e32 v4, v10
	v_cndmask_b32_e32 v3, v15, v3, vcc
	v_cndmask_b32_e32 v2, v14, v2, vcc
	v_and_b32_e32 v5, v3, v7
	v_and_b32_e32 v6, v2, v6
	v_mul_lo_u32 v5, v5, 24
	v_mul_hi_u32 v7, v6, 24
	v_mul_lo_u32 v6, v6, 24
	v_add_u32_e32 v7, v7, v5
	s_waitcnt vmcnt(0)
	v_lshl_add_u64 v[6:7], v[12:13], 0, v[6:7]
	global_store_dwordx2 v[6:7], v[10:11], off
	v_mov_b32_e32 v5, v11
	buffer_wbl2 sc0 sc1
	s_waitcnt vmcnt(0)
	global_atomic_cmpswap_x2 v[4:5], v8, v[2:5], s[42:43] offset:24 sc0 sc1
	s_waitcnt vmcnt(0)
	v_cmp_ne_u64_e32 vcc, v[4:5], v[10:11]
	s_and_b64 exec, exec, vcc
	s_cbranch_execz .LBB9_872
.LBB9_871:                              ; =>This Inner Loop Header: Depth=1
	s_sleep 1
	global_store_dwordx2 v[6:7], v[4:5], off
	buffer_wbl2 sc0 sc1
	s_waitcnt vmcnt(0)
	global_atomic_cmpswap_x2 v[10:11], v8, v[2:5], s[42:43] offset:24 sc0 sc1
	s_waitcnt vmcnt(0)
	v_cmp_eq_u64_e32 vcc, v[10:11], v[4:5]
	s_or_b64 s[0:1], vcc, s[0:1]
	v_mov_b64_e32 v[4:5], v[10:11]
	s_andn2_b64 exec, exec, s[0:1]
	s_cbranch_execnz .LBB9_871
.LBB9_872:
	s_or_b64 exec, exec, s[6:7]
	s_getpc_b64 s[4:5]
	s_add_u32 s4, s4, .str.7@rel32@lo+4
	s_addc_u32 s5, s5, .str.7@rel32@hi+12
	s_cmp_lg_u64 s[4:5], 0
	s_cbranch_scc0 .LBB9_957
; %bb.873:
	s_waitcnt vmcnt(0)
	v_and_b32_e32 v28, 2, v0
	v_mov_b32_e32 v31, 0
	v_and_b32_e32 v2, -3, v0
	v_mov_b32_e32 v3, v1
	s_mov_b64 s[6:7], 4
	v_mov_b32_e32 v6, 2
	v_mov_b32_e32 v7, 1
	s_branch .LBB9_875
.LBB9_874:                              ;   in Loop: Header=BB9_875 Depth=1
	s_or_b64 exec, exec, s[18:19]
	s_sub_u32 s6, s6, s10
	s_subb_u32 s7, s7, s11
	s_add_u32 s4, s4, s10
	s_addc_u32 s5, s5, s11
	s_cmp_lg_u64 s[6:7], 0
	s_cbranch_scc0 .LBB9_956
.LBB9_875:                              ; =>This Loop Header: Depth=1
                                        ;     Child Loop BB9_878 Depth 2
                                        ;     Child Loop BB9_885 Depth 2
	;; [unrolled: 1-line block ×11, first 2 shown]
	v_cmp_lt_u64_e64 s[0:1], s[6:7], 56
	s_and_b64 s[0:1], s[0:1], exec
	v_cmp_gt_u64_e64 s[0:1], s[6:7], 7
	s_cselect_b32 s11, s7, 0
	s_cselect_b32 s10, s6, 56
	s_and_b64 vcc, exec, s[0:1]
	s_cbranch_vccnz .LBB9_880
; %bb.876:                              ;   in Loop: Header=BB9_875 Depth=1
	s_mov_b64 s[0:1], 0
	s_cmp_eq_u64 s[6:7], 0
	v_mov_b64_e32 v[10:11], 0
	s_cbranch_scc1 .LBB9_879
; %bb.877:                              ;   in Loop: Header=BB9_875 Depth=1
	s_lshl_b64 s[16:17], s[10:11], 3
	s_mov_b64 s[18:19], 0
	v_mov_b64_e32 v[10:11], 0
	s_mov_b64 s[20:21], s[4:5]
.LBB9_878:                              ;   Parent Loop BB9_875 Depth=1
                                        ; =>  This Inner Loop Header: Depth=2
	global_load_ubyte v4, v31, s[20:21]
	s_waitcnt vmcnt(0)
	v_and_b32_e32 v30, 0xffff, v4
	v_lshlrev_b64 v[4:5], s18, v[30:31]
	s_add_u32 s18, s18, 8
	s_addc_u32 s19, s19, 0
	s_add_u32 s20, s20, 1
	s_addc_u32 s21, s21, 0
	v_or_b32_e32 v10, v4, v10
	s_cmp_lg_u32 s16, s18
	v_or_b32_e32 v11, v5, v11
	s_cbranch_scc1 .LBB9_878
.LBB9_879:                              ;   in Loop: Header=BB9_875 Depth=1
	s_mov_b32 s15, 0
	s_andn2_b64 vcc, exec, s[0:1]
	s_mov_b64 s[0:1], s[4:5]
	s_cbranch_vccz .LBB9_881
	s_branch .LBB9_882
.LBB9_880:                              ;   in Loop: Header=BB9_875 Depth=1
                                        ; implicit-def: $vgpr10_vgpr11
                                        ; implicit-def: $sgpr15
	s_mov_b64 s[0:1], s[4:5]
.LBB9_881:                              ;   in Loop: Header=BB9_875 Depth=1
	global_load_dwordx2 v[10:11], v31, s[4:5]
	s_add_i32 s15, s10, -8
	s_add_u32 s0, s4, 8
	s_addc_u32 s1, s5, 0
.LBB9_882:                              ;   in Loop: Header=BB9_875 Depth=1
	s_cmp_gt_u32 s15, 7
	s_cbranch_scc1 .LBB9_886
; %bb.883:                              ;   in Loop: Header=BB9_875 Depth=1
	s_cmp_eq_u32 s15, 0
	s_cbranch_scc1 .LBB9_887
; %bb.884:                              ;   in Loop: Header=BB9_875 Depth=1
	s_mov_b64 s[16:17], 0
	v_mov_b64_e32 v[12:13], 0
	s_mov_b64 s[18:19], 0
.LBB9_885:                              ;   Parent Loop BB9_875 Depth=1
                                        ; =>  This Inner Loop Header: Depth=2
	s_add_u32 s20, s0, s18
	s_addc_u32 s21, s1, s19
	global_load_ubyte v4, v31, s[20:21]
	s_add_u32 s18, s18, 1
	s_addc_u32 s19, s19, 0
	s_waitcnt vmcnt(0)
	v_and_b32_e32 v30, 0xffff, v4
	v_lshlrev_b64 v[4:5], s16, v[30:31]
	s_add_u32 s16, s16, 8
	s_addc_u32 s17, s17, 0
	v_or_b32_e32 v12, v4, v12
	s_cmp_lg_u32 s15, s18
	v_or_b32_e32 v13, v5, v13
	s_cbranch_scc1 .LBB9_885
	s_branch .LBB9_888
.LBB9_886:                              ;   in Loop: Header=BB9_875 Depth=1
                                        ; implicit-def: $vgpr12_vgpr13
                                        ; implicit-def: $sgpr20
	s_branch .LBB9_889
.LBB9_887:                              ;   in Loop: Header=BB9_875 Depth=1
	v_mov_b64_e32 v[12:13], 0
.LBB9_888:                              ;   in Loop: Header=BB9_875 Depth=1
	s_mov_b32 s20, 0
	s_cbranch_execnz .LBB9_890
.LBB9_889:                              ;   in Loop: Header=BB9_875 Depth=1
	global_load_dwordx2 v[12:13], v31, s[0:1]
	s_add_i32 s20, s15, -8
	s_add_u32 s0, s0, 8
	s_addc_u32 s1, s1, 0
.LBB9_890:                              ;   in Loop: Header=BB9_875 Depth=1
	s_cmp_gt_u32 s20, 7
	s_cbranch_scc1 .LBB9_894
; %bb.891:                              ;   in Loop: Header=BB9_875 Depth=1
	s_cmp_eq_u32 s20, 0
	s_cbranch_scc1 .LBB9_895
; %bb.892:                              ;   in Loop: Header=BB9_875 Depth=1
	s_mov_b64 s[16:17], 0
	v_mov_b64_e32 v[14:15], 0
	s_mov_b64 s[18:19], 0
.LBB9_893:                              ;   Parent Loop BB9_875 Depth=1
                                        ; =>  This Inner Loop Header: Depth=2
	s_add_u32 s22, s0, s18
	s_addc_u32 s23, s1, s19
	global_load_ubyte v4, v31, s[22:23]
	s_add_u32 s18, s18, 1
	s_addc_u32 s19, s19, 0
	s_waitcnt vmcnt(0)
	v_and_b32_e32 v30, 0xffff, v4
	v_lshlrev_b64 v[4:5], s16, v[30:31]
	s_add_u32 s16, s16, 8
	s_addc_u32 s17, s17, 0
	v_or_b32_e32 v14, v4, v14
	s_cmp_lg_u32 s20, s18
	v_or_b32_e32 v15, v5, v15
	s_cbranch_scc1 .LBB9_893
	s_branch .LBB9_896
.LBB9_894:                              ;   in Loop: Header=BB9_875 Depth=1
                                        ; implicit-def: $sgpr15
	s_branch .LBB9_897
.LBB9_895:                              ;   in Loop: Header=BB9_875 Depth=1
	v_mov_b64_e32 v[14:15], 0
.LBB9_896:                              ;   in Loop: Header=BB9_875 Depth=1
	s_mov_b32 s15, 0
	s_cbranch_execnz .LBB9_898
.LBB9_897:                              ;   in Loop: Header=BB9_875 Depth=1
	global_load_dwordx2 v[14:15], v31, s[0:1]
	s_add_i32 s15, s20, -8
	s_add_u32 s0, s0, 8
	s_addc_u32 s1, s1, 0
.LBB9_898:                              ;   in Loop: Header=BB9_875 Depth=1
	s_cmp_gt_u32 s15, 7
	s_cbranch_scc1 .LBB9_902
; %bb.899:                              ;   in Loop: Header=BB9_875 Depth=1
	s_cmp_eq_u32 s15, 0
	s_cbranch_scc1 .LBB9_903
; %bb.900:                              ;   in Loop: Header=BB9_875 Depth=1
	s_mov_b64 s[16:17], 0
	v_mov_b64_e32 v[16:17], 0
	s_mov_b64 s[18:19], 0
.LBB9_901:                              ;   Parent Loop BB9_875 Depth=1
                                        ; =>  This Inner Loop Header: Depth=2
	s_add_u32 s20, s0, s18
	s_addc_u32 s21, s1, s19
	global_load_ubyte v4, v31, s[20:21]
	s_add_u32 s18, s18, 1
	s_addc_u32 s19, s19, 0
	s_waitcnt vmcnt(0)
	v_and_b32_e32 v30, 0xffff, v4
	v_lshlrev_b64 v[4:5], s16, v[30:31]
	s_add_u32 s16, s16, 8
	s_addc_u32 s17, s17, 0
	v_or_b32_e32 v16, v4, v16
	s_cmp_lg_u32 s15, s18
	v_or_b32_e32 v17, v5, v17
	s_cbranch_scc1 .LBB9_901
	s_branch .LBB9_904
.LBB9_902:                              ;   in Loop: Header=BB9_875 Depth=1
                                        ; implicit-def: $vgpr16_vgpr17
                                        ; implicit-def: $sgpr20
	s_branch .LBB9_905
.LBB9_903:                              ;   in Loop: Header=BB9_875 Depth=1
	v_mov_b64_e32 v[16:17], 0
.LBB9_904:                              ;   in Loop: Header=BB9_875 Depth=1
	s_mov_b32 s20, 0
	s_cbranch_execnz .LBB9_906
.LBB9_905:                              ;   in Loop: Header=BB9_875 Depth=1
	global_load_dwordx2 v[16:17], v31, s[0:1]
	s_add_i32 s20, s15, -8
	s_add_u32 s0, s0, 8
	s_addc_u32 s1, s1, 0
.LBB9_906:                              ;   in Loop: Header=BB9_875 Depth=1
	s_cmp_gt_u32 s20, 7
	s_cbranch_scc1 .LBB9_910
; %bb.907:                              ;   in Loop: Header=BB9_875 Depth=1
	s_cmp_eq_u32 s20, 0
	s_cbranch_scc1 .LBB9_911
; %bb.908:                              ;   in Loop: Header=BB9_875 Depth=1
	s_mov_b64 s[16:17], 0
	v_mov_b64_e32 v[18:19], 0
	s_mov_b64 s[18:19], 0
.LBB9_909:                              ;   Parent Loop BB9_875 Depth=1
                                        ; =>  This Inner Loop Header: Depth=2
	s_add_u32 s22, s0, s18
	s_addc_u32 s23, s1, s19
	global_load_ubyte v4, v31, s[22:23]
	s_add_u32 s18, s18, 1
	s_addc_u32 s19, s19, 0
	s_waitcnt vmcnt(0)
	v_and_b32_e32 v30, 0xffff, v4
	v_lshlrev_b64 v[4:5], s16, v[30:31]
	s_add_u32 s16, s16, 8
	s_addc_u32 s17, s17, 0
	v_or_b32_e32 v18, v4, v18
	s_cmp_lg_u32 s20, s18
	v_or_b32_e32 v19, v5, v19
	s_cbranch_scc1 .LBB9_909
	s_branch .LBB9_912
.LBB9_910:                              ;   in Loop: Header=BB9_875 Depth=1
                                        ; implicit-def: $sgpr15
	s_branch .LBB9_913
.LBB9_911:                              ;   in Loop: Header=BB9_875 Depth=1
	v_mov_b64_e32 v[18:19], 0
.LBB9_912:                              ;   in Loop: Header=BB9_875 Depth=1
	s_mov_b32 s15, 0
	s_cbranch_execnz .LBB9_914
.LBB9_913:                              ;   in Loop: Header=BB9_875 Depth=1
	global_load_dwordx2 v[18:19], v31, s[0:1]
	s_add_i32 s15, s20, -8
	s_add_u32 s0, s0, 8
	s_addc_u32 s1, s1, 0
.LBB9_914:                              ;   in Loop: Header=BB9_875 Depth=1
	s_cmp_gt_u32 s15, 7
	s_cbranch_scc1 .LBB9_918
; %bb.915:                              ;   in Loop: Header=BB9_875 Depth=1
	s_cmp_eq_u32 s15, 0
	s_cbranch_scc1 .LBB9_919
; %bb.916:                              ;   in Loop: Header=BB9_875 Depth=1
	s_mov_b64 s[16:17], 0
	v_mov_b64_e32 v[20:21], 0
	s_mov_b64 s[18:19], 0
.LBB9_917:                              ;   Parent Loop BB9_875 Depth=1
                                        ; =>  This Inner Loop Header: Depth=2
	s_add_u32 s20, s0, s18
	s_addc_u32 s21, s1, s19
	global_load_ubyte v4, v31, s[20:21]
	s_add_u32 s18, s18, 1
	s_addc_u32 s19, s19, 0
	s_waitcnt vmcnt(0)
	v_and_b32_e32 v30, 0xffff, v4
	v_lshlrev_b64 v[4:5], s16, v[30:31]
	s_add_u32 s16, s16, 8
	s_addc_u32 s17, s17, 0
	v_or_b32_e32 v20, v4, v20
	s_cmp_lg_u32 s15, s18
	v_or_b32_e32 v21, v5, v21
	s_cbranch_scc1 .LBB9_917
	s_branch .LBB9_920
.LBB9_918:                              ;   in Loop: Header=BB9_875 Depth=1
                                        ; implicit-def: $vgpr20_vgpr21
                                        ; implicit-def: $sgpr20
	s_branch .LBB9_921
.LBB9_919:                              ;   in Loop: Header=BB9_875 Depth=1
	v_mov_b64_e32 v[20:21], 0
.LBB9_920:                              ;   in Loop: Header=BB9_875 Depth=1
	s_mov_b32 s20, 0
	s_cbranch_execnz .LBB9_922
.LBB9_921:                              ;   in Loop: Header=BB9_875 Depth=1
	global_load_dwordx2 v[20:21], v31, s[0:1]
	s_add_i32 s20, s15, -8
	s_add_u32 s0, s0, 8
	s_addc_u32 s1, s1, 0
.LBB9_922:                              ;   in Loop: Header=BB9_875 Depth=1
	s_cmp_gt_u32 s20, 7
	s_cbranch_scc1 .LBB9_926
; %bb.923:                              ;   in Loop: Header=BB9_875 Depth=1
	s_cmp_eq_u32 s20, 0
	s_cbranch_scc1 .LBB9_927
; %bb.924:                              ;   in Loop: Header=BB9_875 Depth=1
	s_mov_b64 s[16:17], 0
	v_mov_b64_e32 v[22:23], 0
	s_mov_b64 s[18:19], s[0:1]
.LBB9_925:                              ;   Parent Loop BB9_875 Depth=1
                                        ; =>  This Inner Loop Header: Depth=2
	global_load_ubyte v4, v31, s[18:19]
	s_add_i32 s20, s20, -1
	s_waitcnt vmcnt(0)
	v_and_b32_e32 v30, 0xffff, v4
	v_lshlrev_b64 v[4:5], s16, v[30:31]
	s_add_u32 s16, s16, 8
	s_addc_u32 s17, s17, 0
	s_add_u32 s18, s18, 1
	s_addc_u32 s19, s19, 0
	v_or_b32_e32 v22, v4, v22
	s_cmp_lg_u32 s20, 0
	v_or_b32_e32 v23, v5, v23
	s_cbranch_scc1 .LBB9_925
	s_branch .LBB9_928
.LBB9_926:                              ;   in Loop: Header=BB9_875 Depth=1
	s_branch .LBB9_929
.LBB9_927:                              ;   in Loop: Header=BB9_875 Depth=1
	v_mov_b64_e32 v[22:23], 0
.LBB9_928:                              ;   in Loop: Header=BB9_875 Depth=1
	s_cbranch_execnz .LBB9_930
.LBB9_929:                              ;   in Loop: Header=BB9_875 Depth=1
	global_load_dwordx2 v[22:23], v31, s[0:1]
.LBB9_930:                              ;   in Loop: Header=BB9_875 Depth=1
	v_readfirstlane_b32 s0, v47
	s_waitcnt vmcnt(0)
	v_mov_b64_e32 v[4:5], 0
	v_cmp_eq_u32_e64 s[0:1], s0, v47
	s_and_saveexec_b64 s[16:17], s[0:1]
	s_cbranch_execz .LBB9_936
; %bb.931:                              ;   in Loop: Header=BB9_875 Depth=1
	global_load_dwordx2 v[26:27], v31, s[42:43] offset:24 sc0 sc1
	s_waitcnt vmcnt(0)
	buffer_inv sc0 sc1
	global_load_dwordx2 v[4:5], v31, s[42:43] offset:40
	global_load_dwordx2 v[8:9], v31, s[42:43]
	s_waitcnt vmcnt(1)
	v_and_b32_e32 v4, v4, v26
	v_and_b32_e32 v5, v5, v27
	v_mul_lo_u32 v5, v5, 24
	v_mul_hi_u32 v24, v4, 24
	v_add_u32_e32 v5, v24, v5
	v_mul_lo_u32 v4, v4, 24
	s_waitcnt vmcnt(0)
	v_lshl_add_u64 v[4:5], v[8:9], 0, v[4:5]
	global_load_dwordx2 v[24:25], v[4:5], off sc0 sc1
	s_waitcnt vmcnt(0)
	global_atomic_cmpswap_x2 v[4:5], v31, v[24:27], s[42:43] offset:24 sc0 sc1
	s_waitcnt vmcnt(0)
	buffer_inv sc0 sc1
	v_cmp_ne_u64_e32 vcc, v[4:5], v[26:27]
	s_and_saveexec_b64 s[18:19], vcc
	s_cbranch_execz .LBB9_935
; %bb.932:                              ;   in Loop: Header=BB9_875 Depth=1
	s_mov_b64 s[20:21], 0
.LBB9_933:                              ;   Parent Loop BB9_875 Depth=1
                                        ; =>  This Inner Loop Header: Depth=2
	s_sleep 1
	global_load_dwordx2 v[8:9], v31, s[42:43] offset:40
	global_load_dwordx2 v[24:25], v31, s[42:43]
	v_mov_b64_e32 v[26:27], v[4:5]
	s_waitcnt vmcnt(1)
	v_and_b32_e32 v4, v8, v26
	s_waitcnt vmcnt(0)
	v_mad_u64_u32 v[4:5], s[22:23], v4, 24, v[24:25]
	v_and_b32_e32 v9, v9, v27
	v_mov_b32_e32 v8, v5
	v_mad_u64_u32 v[8:9], s[22:23], v9, 24, v[8:9]
	v_mov_b32_e32 v5, v8
	global_load_dwordx2 v[24:25], v[4:5], off sc0 sc1
	s_waitcnt vmcnt(0)
	global_atomic_cmpswap_x2 v[4:5], v31, v[24:27], s[42:43] offset:24 sc0 sc1
	s_waitcnt vmcnt(0)
	buffer_inv sc0 sc1
	v_cmp_eq_u64_e32 vcc, v[4:5], v[26:27]
	s_or_b64 s[20:21], vcc, s[20:21]
	s_andn2_b64 exec, exec, s[20:21]
	s_cbranch_execnz .LBB9_933
; %bb.934:                              ;   in Loop: Header=BB9_875 Depth=1
	s_or_b64 exec, exec, s[20:21]
.LBB9_935:                              ;   in Loop: Header=BB9_875 Depth=1
	s_or_b64 exec, exec, s[18:19]
.LBB9_936:                              ;   in Loop: Header=BB9_875 Depth=1
	s_or_b64 exec, exec, s[16:17]
	global_load_dwordx2 v[8:9], v31, s[42:43] offset:40
	global_load_dwordx4 v[24:27], v31, s[42:43]
	v_readfirstlane_b32 s16, v4
	v_readfirstlane_b32 s17, v5
	s_mov_b64 s[18:19], exec
	s_waitcnt vmcnt(1)
	v_readfirstlane_b32 s20, v8
	v_readfirstlane_b32 s21, v9
	s_and_b64 s[20:21], s[16:17], s[20:21]
	s_mul_i32 s15, s21, 24
	s_mul_hi_u32 s22, s20, 24
	s_add_i32 s23, s22, s15
	s_mul_i32 s22, s20, 24
	s_waitcnt vmcnt(0)
	v_lshl_add_u64 v[32:33], v[24:25], 0, s[22:23]
	s_and_saveexec_b64 s[22:23], s[0:1]
	s_cbranch_execz .LBB9_938
; %bb.937:                              ;   in Loop: Header=BB9_875 Depth=1
	v_mov_b64_e32 v[4:5], s[18:19]
	global_store_dwordx4 v[32:33], v[4:7], off offset:8
.LBB9_938:                              ;   in Loop: Header=BB9_875 Depth=1
	s_or_b64 exec, exec, s[22:23]
	s_nop 0
	v_or_b32_e32 v5, v2, v28
	v_cmp_gt_u64_e64 vcc, s[6:7], 56
	s_lshl_b32 s15, s10, 2
	s_lshl_b64 s[18:19], s[20:21], 12
	v_cndmask_b32_e32 v2, v5, v2, vcc
	s_add_i32 s15, s15, 28
	v_lshl_add_u64 v[26:27], v[26:27], 0, s[18:19]
	v_or_b32_e32 v4, 0, v3
	s_and_b32 s15, s15, 0x1e0
	v_and_b32_e32 v2, 0xffffff1f, v2
	v_cndmask_b32_e32 v9, v4, v3, vcc
	v_or_b32_e32 v8, s15, v2
	v_readfirstlane_b32 s18, v26
	v_readfirstlane_b32 s19, v27
	s_nop 4
	global_store_dwordx4 v36, v[8:11], s[18:19]
	global_store_dwordx4 v36, v[12:15], s[18:19] offset:16
	global_store_dwordx4 v36, v[16:19], s[18:19] offset:32
	;; [unrolled: 1-line block ×3, first 2 shown]
	s_and_saveexec_b64 s[18:19], s[0:1]
	s_cbranch_execz .LBB9_946
; %bb.939:                              ;   in Loop: Header=BB9_875 Depth=1
	global_load_dwordx2 v[12:13], v31, s[42:43] offset:32 sc0 sc1
	global_load_dwordx2 v[2:3], v31, s[42:43] offset:40
	v_mov_b32_e32 v10, s16
	v_mov_b32_e32 v11, s17
	s_waitcnt vmcnt(0)
	v_readfirstlane_b32 s20, v2
	v_readfirstlane_b32 s21, v3
	s_and_b64 s[20:21], s[20:21], s[16:17]
	s_mul_i32 s15, s21, 24
	s_mul_hi_u32 s21, s20, 24
	s_mul_i32 s20, s20, 24
	s_add_i32 s21, s21, s15
	v_lshl_add_u64 v[8:9], v[24:25], 0, s[20:21]
	global_store_dwordx2 v[8:9], v[12:13], off
	buffer_wbl2 sc0 sc1
	s_waitcnt vmcnt(0)
	global_atomic_cmpswap_x2 v[4:5], v31, v[10:13], s[42:43] offset:32 sc0 sc1
	s_waitcnt vmcnt(0)
	v_cmp_ne_u64_e32 vcc, v[4:5], v[12:13]
	s_and_saveexec_b64 s[20:21], vcc
	s_cbranch_execz .LBB9_942
; %bb.940:                              ;   in Loop: Header=BB9_875 Depth=1
	s_mov_b64 s[22:23], 0
.LBB9_941:                              ;   Parent Loop BB9_875 Depth=1
                                        ; =>  This Inner Loop Header: Depth=2
	s_sleep 1
	global_store_dwordx2 v[8:9], v[4:5], off
	v_mov_b32_e32 v2, s16
	v_mov_b32_e32 v3, s17
	buffer_wbl2 sc0 sc1
	s_waitcnt vmcnt(0)
	global_atomic_cmpswap_x2 v[2:3], v31, v[2:5], s[42:43] offset:32 sc0 sc1
	s_waitcnt vmcnt(0)
	v_cmp_eq_u64_e32 vcc, v[2:3], v[4:5]
	s_or_b64 s[22:23], vcc, s[22:23]
	v_mov_b64_e32 v[4:5], v[2:3]
	s_andn2_b64 exec, exec, s[22:23]
	s_cbranch_execnz .LBB9_941
.LBB9_942:                              ;   in Loop: Header=BB9_875 Depth=1
	s_or_b64 exec, exec, s[20:21]
	global_load_dwordx2 v[2:3], v31, s[42:43] offset:16
	s_mov_b64 s[22:23], exec
	v_mbcnt_lo_u32_b32 v4, s22, 0
	v_mbcnt_hi_u32_b32 v4, s23, v4
	v_cmp_eq_u32_e32 vcc, 0, v4
	s_and_saveexec_b64 s[20:21], vcc
	s_cbranch_execz .LBB9_944
; %bb.943:                              ;   in Loop: Header=BB9_875 Depth=1
	s_bcnt1_i32_b64 s15, s[22:23]
	v_mov_b32_e32 v30, s15
	buffer_wbl2 sc0 sc1
	s_waitcnt vmcnt(0)
	global_atomic_add_x2 v[2:3], v[30:31], off offset:8 sc1
.LBB9_944:                              ;   in Loop: Header=BB9_875 Depth=1
	s_or_b64 exec, exec, s[20:21]
	s_waitcnt vmcnt(0)
	global_load_dwordx2 v[4:5], v[2:3], off offset:16
	s_waitcnt vmcnt(0)
	v_cmp_eq_u64_e32 vcc, 0, v[4:5]
	s_cbranch_vccnz .LBB9_946
; %bb.945:                              ;   in Loop: Header=BB9_875 Depth=1
	global_load_dword v30, v[2:3], off offset:24
	s_waitcnt vmcnt(0)
	v_and_b32_e32 v2, 0xffffff, v30
	s_nop 0
	v_readfirstlane_b32 m0, v2
	buffer_wbl2 sc0 sc1
	global_store_dwordx2 v[4:5], v[30:31], off sc0 sc1
	s_sendmsg sendmsg(MSG_INTERRUPT)
.LBB9_946:                              ;   in Loop: Header=BB9_875 Depth=1
	s_or_b64 exec, exec, s[18:19]
	v_mov_b32_e32 v37, v31
	v_lshl_add_u64 v[2:3], v[26:27], 0, v[36:37]
	s_branch .LBB9_950
.LBB9_947:                              ;   in Loop: Header=BB9_950 Depth=2
	s_or_b64 exec, exec, s[18:19]
	v_readfirstlane_b32 s15, v4
	s_cmp_eq_u32 s15, 0
	s_cbranch_scc1 .LBB9_949
; %bb.948:                              ;   in Loop: Header=BB9_950 Depth=2
	s_sleep 1
	s_cbranch_execnz .LBB9_950
	s_branch .LBB9_952
.LBB9_949:                              ;   in Loop: Header=BB9_875 Depth=1
	s_branch .LBB9_952
.LBB9_950:                              ;   Parent Loop BB9_875 Depth=1
                                        ; =>  This Inner Loop Header: Depth=2
	v_mov_b32_e32 v4, 1
	s_and_saveexec_b64 s[18:19], s[0:1]
	s_cbranch_execz .LBB9_947
; %bb.951:                              ;   in Loop: Header=BB9_950 Depth=2
	global_load_dword v4, v[32:33], off offset:20 sc0 sc1
	s_waitcnt vmcnt(0)
	buffer_inv sc0 sc1
	v_and_b32_e32 v4, 1, v4
	s_branch .LBB9_947
.LBB9_952:                              ;   in Loop: Header=BB9_875 Depth=1
	global_load_dwordx4 v[2:5], v[2:3], off
	s_and_saveexec_b64 s[18:19], s[0:1]
	s_cbranch_execz .LBB9_874
; %bb.953:                              ;   in Loop: Header=BB9_875 Depth=1
	global_load_dwordx2 v[4:5], v31, s[42:43] offset:40
	global_load_dwordx2 v[12:13], v31, s[42:43] offset:24 sc0 sc1
	global_load_dwordx2 v[14:15], v31, s[42:43]
	s_waitcnt vmcnt(2)
	v_lshl_add_u64 v[8:9], v[4:5], 0, 1
	v_lshl_add_u64 v[16:17], v[8:9], 0, s[16:17]
	v_cmp_eq_u64_e32 vcc, 0, v[16:17]
	s_waitcnt vmcnt(1)
	v_mov_b32_e32 v10, v12
	v_cndmask_b32_e32 v9, v17, v9, vcc
	v_cndmask_b32_e32 v8, v16, v8, vcc
	v_and_b32_e32 v5, v9, v5
	v_and_b32_e32 v4, v8, v4
	v_mul_lo_u32 v5, v5, 24
	v_mul_hi_u32 v11, v4, 24
	v_mul_lo_u32 v4, v4, 24
	v_add_u32_e32 v5, v11, v5
	s_waitcnt vmcnt(0)
	v_lshl_add_u64 v[4:5], v[14:15], 0, v[4:5]
	global_store_dwordx2 v[4:5], v[12:13], off
	v_mov_b32_e32 v11, v13
	buffer_wbl2 sc0 sc1
	s_waitcnt vmcnt(0)
	global_atomic_cmpswap_x2 v[10:11], v31, v[8:11], s[42:43] offset:24 sc0 sc1
	s_waitcnt vmcnt(0)
	v_cmp_ne_u64_e32 vcc, v[10:11], v[12:13]
	s_and_b64 exec, exec, vcc
	s_cbranch_execz .LBB9_874
; %bb.954:                              ;   in Loop: Header=BB9_875 Depth=1
	s_mov_b64 s[0:1], 0
.LBB9_955:                              ;   Parent Loop BB9_875 Depth=1
                                        ; =>  This Inner Loop Header: Depth=2
	s_sleep 1
	global_store_dwordx2 v[4:5], v[10:11], off
	buffer_wbl2 sc0 sc1
	s_waitcnt vmcnt(0)
	global_atomic_cmpswap_x2 v[12:13], v31, v[8:11], s[42:43] offset:24 sc0 sc1
	s_waitcnt vmcnt(0)
	v_cmp_eq_u64_e32 vcc, v[12:13], v[10:11]
	s_or_b64 s[0:1], vcc, s[0:1]
	v_mov_b64_e32 v[10:11], v[12:13]
	s_andn2_b64 exec, exec, s[0:1]
	s_cbranch_execnz .LBB9_955
	s_branch .LBB9_874
.LBB9_956:
	s_branch .LBB9_984
.LBB9_957:
                                        ; implicit-def: $vgpr2_vgpr3
	s_cbranch_execz .LBB9_984
; %bb.958:
	v_readfirstlane_b32 s0, v47
	s_waitcnt vmcnt(0)
	v_mov_b64_e32 v[2:3], 0
	v_cmp_eq_u32_e64 s[0:1], s0, v47
	s_and_saveexec_b64 s[4:5], s[0:1]
	s_cbranch_execz .LBB9_964
; %bb.959:
	v_mov_b32_e32 v4, 0
	global_load_dwordx2 v[8:9], v4, s[42:43] offset:24 sc0 sc1
	s_waitcnt vmcnt(0)
	buffer_inv sc0 sc1
	global_load_dwordx2 v[2:3], v4, s[42:43] offset:40
	global_load_dwordx2 v[6:7], v4, s[42:43]
	s_waitcnt vmcnt(1)
	v_and_b32_e32 v2, v2, v8
	v_and_b32_e32 v3, v3, v9
	v_mul_lo_u32 v3, v3, 24
	v_mul_hi_u32 v5, v2, 24
	v_add_u32_e32 v3, v5, v3
	v_mul_lo_u32 v2, v2, 24
	s_waitcnt vmcnt(0)
	v_lshl_add_u64 v[2:3], v[6:7], 0, v[2:3]
	global_load_dwordx2 v[6:7], v[2:3], off sc0 sc1
	s_waitcnt vmcnt(0)
	global_atomic_cmpswap_x2 v[2:3], v4, v[6:9], s[42:43] offset:24 sc0 sc1
	s_waitcnt vmcnt(0)
	buffer_inv sc0 sc1
	v_cmp_ne_u64_e32 vcc, v[2:3], v[8:9]
	s_and_saveexec_b64 s[6:7], vcc
	s_cbranch_execz .LBB9_963
; %bb.960:
	s_mov_b64 s[10:11], 0
.LBB9_961:                              ; =>This Inner Loop Header: Depth=1
	s_sleep 1
	global_load_dwordx2 v[6:7], v4, s[42:43] offset:40
	global_load_dwordx2 v[10:11], v4, s[42:43]
	v_mov_b64_e32 v[8:9], v[2:3]
	s_waitcnt vmcnt(1)
	v_and_b32_e32 v2, v6, v8
	s_waitcnt vmcnt(0)
	v_mad_u64_u32 v[2:3], s[16:17], v2, 24, v[10:11]
	v_and_b32_e32 v5, v7, v9
	v_mov_b32_e32 v6, v3
	v_mad_u64_u32 v[6:7], s[16:17], v5, 24, v[6:7]
	v_mov_b32_e32 v3, v6
	global_load_dwordx2 v[6:7], v[2:3], off sc0 sc1
	s_waitcnt vmcnt(0)
	global_atomic_cmpswap_x2 v[2:3], v4, v[6:9], s[42:43] offset:24 sc0 sc1
	s_waitcnt vmcnt(0)
	buffer_inv sc0 sc1
	v_cmp_eq_u64_e32 vcc, v[2:3], v[8:9]
	s_or_b64 s[10:11], vcc, s[10:11]
	s_andn2_b64 exec, exec, s[10:11]
	s_cbranch_execnz .LBB9_961
; %bb.962:
	s_or_b64 exec, exec, s[10:11]
.LBB9_963:
	s_or_b64 exec, exec, s[6:7]
.LBB9_964:
	s_or_b64 exec, exec, s[4:5]
	v_mov_b32_e32 v37, 0
	global_load_dwordx2 v[8:9], v37, s[42:43] offset:40
	global_load_dwordx4 v[4:7], v37, s[42:43]
	v_readfirstlane_b32 s4, v2
	v_readfirstlane_b32 s5, v3
	s_mov_b64 s[6:7], exec
	s_waitcnt vmcnt(1)
	v_readfirstlane_b32 s10, v8
	v_readfirstlane_b32 s11, v9
	s_and_b64 s[10:11], s[4:5], s[10:11]
	s_mul_i32 s15, s11, 24
	s_mul_hi_u32 s16, s10, 24
	s_add_i32 s17, s16, s15
	s_mul_i32 s16, s10, 24
	s_waitcnt vmcnt(0)
	v_lshl_add_u64 v[8:9], v[4:5], 0, s[16:17]
	s_and_saveexec_b64 s[16:17], s[0:1]
	s_cbranch_execz .LBB9_966
; %bb.965:
	v_mov_b64_e32 v[10:11], s[6:7]
	v_mov_b32_e32 v12, 2
	v_mov_b32_e32 v13, 1
	global_store_dwordx4 v[8:9], v[10:13], off offset:8
.LBB9_966:
	s_or_b64 exec, exec, s[16:17]
	s_lshl_b64 s[6:7], s[10:11], 12
	v_lshl_add_u64 v[6:7], v[6:7], 0, s[6:7]
	s_movk_i32 s6, 0xff1f
	s_mov_b32 s16, 0
	v_and_or_b32 v0, v0, s6, 32
	v_mov_b32_e32 v2, v37
	v_mov_b32_e32 v3, v37
	v_readfirstlane_b32 s6, v6
	v_readfirstlane_b32 s7, v7
	s_mov_b32 s17, s16
	s_mov_b32 s18, s16
	;; [unrolled: 1-line block ×3, first 2 shown]
	s_nop 1
	global_store_dwordx4 v36, v[0:3], s[6:7]
	s_nop 1
	v_mov_b64_e32 v[0:1], s[16:17]
	v_mov_b64_e32 v[2:3], s[18:19]
	global_store_dwordx4 v36, v[0:3], s[6:7] offset:16
	global_store_dwordx4 v36, v[0:3], s[6:7] offset:32
	;; [unrolled: 1-line block ×3, first 2 shown]
	s_and_saveexec_b64 s[6:7], s[0:1]
	s_cbranch_execz .LBB9_974
; %bb.967:
	v_mov_b32_e32 v10, 0
	global_load_dwordx2 v[14:15], v10, s[42:43] offset:32 sc0 sc1
	global_load_dwordx2 v[0:1], v10, s[42:43] offset:40
	v_mov_b32_e32 v12, s4
	v_mov_b32_e32 v13, s5
	s_waitcnt vmcnt(0)
	v_readfirstlane_b32 s10, v0
	v_readfirstlane_b32 s11, v1
	s_and_b64 s[10:11], s[10:11], s[4:5]
	s_mul_i32 s11, s11, 24
	s_mul_hi_u32 s15, s10, 24
	s_mul_i32 s10, s10, 24
	s_add_i32 s11, s15, s11
	v_lshl_add_u64 v[4:5], v[4:5], 0, s[10:11]
	global_store_dwordx2 v[4:5], v[14:15], off
	buffer_wbl2 sc0 sc1
	s_waitcnt vmcnt(0)
	global_atomic_cmpswap_x2 v[2:3], v10, v[12:15], s[42:43] offset:32 sc0 sc1
	s_waitcnt vmcnt(0)
	v_cmp_ne_u64_e32 vcc, v[2:3], v[14:15]
	s_and_saveexec_b64 s[10:11], vcc
	s_cbranch_execz .LBB9_970
; %bb.968:
	s_mov_b64 s[16:17], 0
.LBB9_969:                              ; =>This Inner Loop Header: Depth=1
	s_sleep 1
	global_store_dwordx2 v[4:5], v[2:3], off
	v_mov_b32_e32 v0, s4
	v_mov_b32_e32 v1, s5
	buffer_wbl2 sc0 sc1
	s_waitcnt vmcnt(0)
	global_atomic_cmpswap_x2 v[0:1], v10, v[0:3], s[42:43] offset:32 sc0 sc1
	s_waitcnt vmcnt(0)
	v_cmp_eq_u64_e32 vcc, v[0:1], v[2:3]
	s_or_b64 s[16:17], vcc, s[16:17]
	v_mov_b64_e32 v[2:3], v[0:1]
	s_andn2_b64 exec, exec, s[16:17]
	s_cbranch_execnz .LBB9_969
.LBB9_970:
	s_or_b64 exec, exec, s[10:11]
	v_mov_b32_e32 v3, 0
	global_load_dwordx2 v[0:1], v3, s[42:43] offset:16
	s_mov_b64 s[10:11], exec
	v_mbcnt_lo_u32_b32 v2, s10, 0
	v_mbcnt_hi_u32_b32 v2, s11, v2
	v_cmp_eq_u32_e32 vcc, 0, v2
	s_and_saveexec_b64 s[16:17], vcc
	s_cbranch_execz .LBB9_972
; %bb.971:
	s_bcnt1_i32_b64 s10, s[10:11]
	v_mov_b32_e32 v2, s10
	buffer_wbl2 sc0 sc1
	s_waitcnt vmcnt(0)
	global_atomic_add_x2 v[0:1], v[2:3], off offset:8 sc1
.LBB9_972:
	s_or_b64 exec, exec, s[16:17]
	s_waitcnt vmcnt(0)
	global_load_dwordx2 v[2:3], v[0:1], off offset:16
	s_waitcnt vmcnt(0)
	v_cmp_eq_u64_e32 vcc, 0, v[2:3]
	s_cbranch_vccnz .LBB9_974
; %bb.973:
	global_load_dword v0, v[0:1], off offset:24
	v_mov_b32_e32 v1, 0
	buffer_wbl2 sc0 sc1
	s_waitcnt vmcnt(0)
	global_store_dwordx2 v[2:3], v[0:1], off sc0 sc1
	v_and_b32_e32 v0, 0xffffff, v0
	s_nop 0
	v_readfirstlane_b32 m0, v0
	s_sendmsg sendmsg(MSG_INTERRUPT)
.LBB9_974:
	s_or_b64 exec, exec, s[6:7]
	v_lshl_add_u64 v[0:1], v[6:7], 0, v[36:37]
	s_branch .LBB9_978
.LBB9_975:                              ;   in Loop: Header=BB9_978 Depth=1
	s_or_b64 exec, exec, s[6:7]
	v_readfirstlane_b32 s6, v2
	s_cmp_eq_u32 s6, 0
	s_cbranch_scc1 .LBB9_977
; %bb.976:                              ;   in Loop: Header=BB9_978 Depth=1
	s_sleep 1
	s_cbranch_execnz .LBB9_978
	s_branch .LBB9_980
.LBB9_977:
	s_branch .LBB9_980
.LBB9_978:                              ; =>This Inner Loop Header: Depth=1
	v_mov_b32_e32 v2, 1
	s_and_saveexec_b64 s[6:7], s[0:1]
	s_cbranch_execz .LBB9_975
; %bb.979:                              ;   in Loop: Header=BB9_978 Depth=1
	global_load_dword v2, v[8:9], off offset:20 sc0 sc1
	s_waitcnt vmcnt(0)
	buffer_inv sc0 sc1
	v_and_b32_e32 v2, 1, v2
	s_branch .LBB9_975
.LBB9_980:
	global_load_dwordx2 v[2:3], v[0:1], off
	s_and_saveexec_b64 s[6:7], s[0:1]
	s_cbranch_execz .LBB9_983
; %bb.981:
	v_mov_b32_e32 v8, 0
	global_load_dwordx2 v[0:1], v8, s[42:43] offset:40
	global_load_dwordx2 v[10:11], v8, s[42:43] offset:24 sc0 sc1
	global_load_dwordx2 v[12:13], v8, s[42:43]
	s_mov_b64 s[0:1], 0
	s_waitcnt vmcnt(2)
	v_lshl_add_u64 v[4:5], v[0:1], 0, 1
	v_lshl_add_u64 v[14:15], v[4:5], 0, s[4:5]
	v_cmp_eq_u64_e32 vcc, 0, v[14:15]
	s_waitcnt vmcnt(1)
	v_mov_b32_e32 v6, v10
	v_cndmask_b32_e32 v5, v15, v5, vcc
	v_cndmask_b32_e32 v4, v14, v4, vcc
	v_and_b32_e32 v1, v5, v1
	v_and_b32_e32 v0, v4, v0
	v_mul_lo_u32 v1, v1, 24
	v_mul_hi_u32 v7, v0, 24
	v_mul_lo_u32 v0, v0, 24
	v_add_u32_e32 v1, v7, v1
	s_waitcnt vmcnt(0)
	v_lshl_add_u64 v[0:1], v[12:13], 0, v[0:1]
	global_store_dwordx2 v[0:1], v[10:11], off
	v_mov_b32_e32 v7, v11
	buffer_wbl2 sc0 sc1
	s_waitcnt vmcnt(0)
	global_atomic_cmpswap_x2 v[6:7], v8, v[4:7], s[42:43] offset:24 sc0 sc1
	s_waitcnt vmcnt(0)
	v_cmp_ne_u64_e32 vcc, v[6:7], v[10:11]
	s_and_b64 exec, exec, vcc
	s_cbranch_execz .LBB9_983
.LBB9_982:                              ; =>This Inner Loop Header: Depth=1
	s_sleep 1
	global_store_dwordx2 v[0:1], v[6:7], off
	buffer_wbl2 sc0 sc1
	s_waitcnt vmcnt(0)
	global_atomic_cmpswap_x2 v[10:11], v8, v[4:7], s[42:43] offset:24 sc0 sc1
	s_waitcnt vmcnt(0)
	v_cmp_eq_u64_e32 vcc, v[10:11], v[6:7]
	s_or_b64 s[0:1], vcc, s[0:1]
	v_mov_b64_e32 v[6:7], v[10:11]
	s_andn2_b64 exec, exec, s[0:1]
	s_cbranch_execnz .LBB9_982
.LBB9_983:
	s_or_b64 exec, exec, s[6:7]
.LBB9_984:
	v_readfirstlane_b32 s0, v47
	s_waitcnt vmcnt(0)
	v_mov_b64_e32 v[0:1], 0
	v_cmp_eq_u32_e64 s[0:1], s0, v47
	s_and_saveexec_b64 s[4:5], s[0:1]
	s_cbranch_execz .LBB9_990
; %bb.985:
	v_mov_b32_e32 v4, 0
	global_load_dwordx2 v[8:9], v4, s[42:43] offset:24 sc0 sc1
	s_waitcnt vmcnt(0)
	buffer_inv sc0 sc1
	global_load_dwordx2 v[0:1], v4, s[42:43] offset:40
	global_load_dwordx2 v[6:7], v4, s[42:43]
	s_waitcnt vmcnt(1)
	v_and_b32_e32 v0, v0, v8
	v_and_b32_e32 v1, v1, v9
	v_mul_lo_u32 v1, v1, 24
	v_mul_hi_u32 v5, v0, 24
	v_add_u32_e32 v1, v5, v1
	v_mul_lo_u32 v0, v0, 24
	s_waitcnt vmcnt(0)
	v_lshl_add_u64 v[0:1], v[6:7], 0, v[0:1]
	global_load_dwordx2 v[6:7], v[0:1], off sc0 sc1
	s_waitcnt vmcnt(0)
	global_atomic_cmpswap_x2 v[0:1], v4, v[6:9], s[42:43] offset:24 sc0 sc1
	s_waitcnt vmcnt(0)
	buffer_inv sc0 sc1
	v_cmp_ne_u64_e32 vcc, v[0:1], v[8:9]
	s_and_saveexec_b64 s[6:7], vcc
	s_cbranch_execz .LBB9_989
; %bb.986:
	s_mov_b64 s[10:11], 0
.LBB9_987:                              ; =>This Inner Loop Header: Depth=1
	s_sleep 1
	global_load_dwordx2 v[6:7], v4, s[42:43] offset:40
	global_load_dwordx2 v[10:11], v4, s[42:43]
	v_mov_b64_e32 v[8:9], v[0:1]
	s_waitcnt vmcnt(1)
	v_and_b32_e32 v0, v6, v8
	s_waitcnt vmcnt(0)
	v_mad_u64_u32 v[0:1], s[16:17], v0, 24, v[10:11]
	v_and_b32_e32 v5, v7, v9
	v_mov_b32_e32 v6, v1
	v_mad_u64_u32 v[6:7], s[16:17], v5, 24, v[6:7]
	v_mov_b32_e32 v1, v6
	global_load_dwordx2 v[6:7], v[0:1], off sc0 sc1
	s_waitcnt vmcnt(0)
	global_atomic_cmpswap_x2 v[0:1], v4, v[6:9], s[42:43] offset:24 sc0 sc1
	s_waitcnt vmcnt(0)
	buffer_inv sc0 sc1
	v_cmp_eq_u64_e32 vcc, v[0:1], v[8:9]
	s_or_b64 s[10:11], vcc, s[10:11]
	s_andn2_b64 exec, exec, s[10:11]
	s_cbranch_execnz .LBB9_987
; %bb.988:
	s_or_b64 exec, exec, s[10:11]
.LBB9_989:
	s_or_b64 exec, exec, s[6:7]
.LBB9_990:
	s_or_b64 exec, exec, s[4:5]
	v_mov_b32_e32 v5, 0
	global_load_dwordx2 v[10:11], v5, s[42:43] offset:40
	global_load_dwordx4 v[6:9], v5, s[42:43]
	v_readfirstlane_b32 s4, v0
	v_readfirstlane_b32 s5, v1
	s_mov_b64 s[6:7], exec
	s_waitcnt vmcnt(1)
	v_readfirstlane_b32 s10, v10
	v_readfirstlane_b32 s11, v11
	s_and_b64 s[10:11], s[4:5], s[10:11]
	s_mul_i32 s15, s11, 24
	s_mul_hi_u32 s16, s10, 24
	s_add_i32 s17, s16, s15
	s_mul_i32 s16, s10, 24
	s_waitcnt vmcnt(0)
	v_lshl_add_u64 v[10:11], v[6:7], 0, s[16:17]
	s_and_saveexec_b64 s[16:17], s[0:1]
	s_cbranch_execz .LBB9_992
; %bb.991:
	v_mov_b64_e32 v[12:13], s[6:7]
	v_mov_b32_e32 v14, 2
	v_mov_b32_e32 v15, 1
	global_store_dwordx4 v[10:11], v[12:15], off offset:8
.LBB9_992:
	s_or_b64 exec, exec, s[16:17]
	s_lshl_b64 s[6:7], s[10:11], 12
	v_lshl_add_u64 v[0:1], v[8:9], 0, s[6:7]
	s_movk_i32 s6, 0xff1d
	s_mov_b32 s16, 0
	v_and_or_b32 v2, v2, s6, 34
	v_mov_b32_e32 v4, 0x432
	v_readfirstlane_b32 s6, v0
	v_readfirstlane_b32 s7, v1
	s_mov_b32 s17, s16
	s_mov_b32 s18, s16
	;; [unrolled: 1-line block ×3, first 2 shown]
	s_nop 1
	global_store_dwordx4 v36, v[2:5], s[6:7]
	v_mov_b64_e32 v[0:1], s[16:17]
	s_nop 0
	v_mov_b64_e32 v[2:3], s[18:19]
	global_store_dwordx4 v36, v[0:3], s[6:7] offset:16
	global_store_dwordx4 v36, v[0:3], s[6:7] offset:32
	global_store_dwordx4 v36, v[0:3], s[6:7] offset:48
	s_and_saveexec_b64 s[6:7], s[0:1]
	s_cbranch_execz .LBB9_1000
; %bb.993:
	v_mov_b32_e32 v8, 0
	global_load_dwordx2 v[14:15], v8, s[42:43] offset:32 sc0 sc1
	global_load_dwordx2 v[0:1], v8, s[42:43] offset:40
	v_mov_b32_e32 v12, s4
	v_mov_b32_e32 v13, s5
	s_waitcnt vmcnt(0)
	v_readfirstlane_b32 s10, v0
	v_readfirstlane_b32 s11, v1
	s_and_b64 s[10:11], s[10:11], s[4:5]
	s_mul_i32 s11, s11, 24
	s_mul_hi_u32 s15, s10, 24
	s_mul_i32 s10, s10, 24
	s_add_i32 s11, s15, s11
	v_lshl_add_u64 v[4:5], v[6:7], 0, s[10:11]
	global_store_dwordx2 v[4:5], v[14:15], off
	buffer_wbl2 sc0 sc1
	s_waitcnt vmcnt(0)
	global_atomic_cmpswap_x2 v[2:3], v8, v[12:15], s[42:43] offset:32 sc0 sc1
	s_waitcnt vmcnt(0)
	v_cmp_ne_u64_e32 vcc, v[2:3], v[14:15]
	s_and_saveexec_b64 s[10:11], vcc
	s_cbranch_execz .LBB9_996
; %bb.994:
	s_mov_b64 s[16:17], 0
.LBB9_995:                              ; =>This Inner Loop Header: Depth=1
	s_sleep 1
	global_store_dwordx2 v[4:5], v[2:3], off
	v_mov_b32_e32 v0, s4
	v_mov_b32_e32 v1, s5
	buffer_wbl2 sc0 sc1
	s_waitcnt vmcnt(0)
	global_atomic_cmpswap_x2 v[0:1], v8, v[0:3], s[42:43] offset:32 sc0 sc1
	s_waitcnt vmcnt(0)
	v_cmp_eq_u64_e32 vcc, v[0:1], v[2:3]
	s_or_b64 s[16:17], vcc, s[16:17]
	v_mov_b64_e32 v[2:3], v[0:1]
	s_andn2_b64 exec, exec, s[16:17]
	s_cbranch_execnz .LBB9_995
.LBB9_996:
	s_or_b64 exec, exec, s[10:11]
	v_mov_b32_e32 v3, 0
	global_load_dwordx2 v[0:1], v3, s[42:43] offset:16
	s_mov_b64 s[10:11], exec
	v_mbcnt_lo_u32_b32 v2, s10, 0
	v_mbcnt_hi_u32_b32 v2, s11, v2
	v_cmp_eq_u32_e32 vcc, 0, v2
	s_and_saveexec_b64 s[16:17], vcc
	s_cbranch_execz .LBB9_998
; %bb.997:
	s_bcnt1_i32_b64 s10, s[10:11]
	v_mov_b32_e32 v2, s10
	buffer_wbl2 sc0 sc1
	s_waitcnt vmcnt(0)
	global_atomic_add_x2 v[0:1], v[2:3], off offset:8 sc1
.LBB9_998:
	s_or_b64 exec, exec, s[16:17]
	s_waitcnt vmcnt(0)
	global_load_dwordx2 v[2:3], v[0:1], off offset:16
	s_waitcnt vmcnt(0)
	v_cmp_eq_u64_e32 vcc, 0, v[2:3]
	s_cbranch_vccnz .LBB9_1000
; %bb.999:
	global_load_dword v0, v[0:1], off offset:24
	v_mov_b32_e32 v1, 0
	buffer_wbl2 sc0 sc1
	s_waitcnt vmcnt(0)
	global_store_dwordx2 v[2:3], v[0:1], off sc0 sc1
	v_and_b32_e32 v0, 0xffffff, v0
	s_nop 0
	v_readfirstlane_b32 m0, v0
	s_sendmsg sendmsg(MSG_INTERRUPT)
.LBB9_1000:
	s_or_b64 exec, exec, s[6:7]
	s_branch .LBB9_1004
.LBB9_1001:                             ;   in Loop: Header=BB9_1004 Depth=1
	s_or_b64 exec, exec, s[6:7]
	v_readfirstlane_b32 s6, v0
	s_cmp_eq_u32 s6, 0
	s_cbranch_scc1 .LBB9_1003
; %bb.1002:                             ;   in Loop: Header=BB9_1004 Depth=1
	s_sleep 1
	s_cbranch_execnz .LBB9_1004
	s_branch .LBB9_1006
.LBB9_1003:
	s_branch .LBB9_1006
.LBB9_1004:                             ; =>This Inner Loop Header: Depth=1
	v_mov_b32_e32 v0, 1
	s_and_saveexec_b64 s[6:7], s[0:1]
	s_cbranch_execz .LBB9_1001
; %bb.1005:                             ;   in Loop: Header=BB9_1004 Depth=1
	global_load_dword v0, v[10:11], off offset:20 sc0 sc1
	s_waitcnt vmcnt(0)
	buffer_inv sc0 sc1
	v_and_b32_e32 v0, 1, v0
	s_branch .LBB9_1001
.LBB9_1006:
	s_and_saveexec_b64 s[6:7], s[0:1]
	s_cbranch_execz .LBB9_1009
; %bb.1007:
	v_mov_b32_e32 v6, 0
	global_load_dwordx2 v[4:5], v6, s[42:43] offset:40
	global_load_dwordx2 v[8:9], v6, s[42:43] offset:24 sc0 sc1
	global_load_dwordx2 v[10:11], v6, s[42:43]
	s_mov_b64 s[0:1], 0
	s_waitcnt vmcnt(2)
	v_lshl_add_u64 v[0:1], v[4:5], 0, 1
	v_lshl_add_u64 v[12:13], v[0:1], 0, s[4:5]
	v_cmp_eq_u64_e32 vcc, 0, v[12:13]
	s_waitcnt vmcnt(1)
	v_mov_b32_e32 v2, v8
	v_cndmask_b32_e32 v1, v13, v1, vcc
	v_cndmask_b32_e32 v0, v12, v0, vcc
	v_and_b32_e32 v3, v1, v5
	v_and_b32_e32 v4, v0, v4
	v_mul_lo_u32 v3, v3, 24
	v_mul_hi_u32 v5, v4, 24
	v_mul_lo_u32 v4, v4, 24
	v_add_u32_e32 v5, v5, v3
	s_waitcnt vmcnt(0)
	v_lshl_add_u64 v[4:5], v[10:11], 0, v[4:5]
	global_store_dwordx2 v[4:5], v[8:9], off
	v_mov_b32_e32 v3, v9
	buffer_wbl2 sc0 sc1
	s_waitcnt vmcnt(0)
	global_atomic_cmpswap_x2 v[2:3], v6, v[0:3], s[42:43] offset:24 sc0 sc1
	s_waitcnt vmcnt(0)
	v_cmp_ne_u64_e32 vcc, v[2:3], v[8:9]
	s_and_b64 exec, exec, vcc
	s_cbranch_execz .LBB9_1009
.LBB9_1008:                             ; =>This Inner Loop Header: Depth=1
	s_sleep 1
	global_store_dwordx2 v[4:5], v[2:3], off
	buffer_wbl2 sc0 sc1
	s_waitcnt vmcnt(0)
	global_atomic_cmpswap_x2 v[8:9], v6, v[0:3], s[42:43] offset:24 sc0 sc1
	s_waitcnt vmcnt(0)
	v_cmp_eq_u64_e32 vcc, v[8:9], v[2:3]
	s_or_b64 s[0:1], vcc, s[0:1]
	v_mov_b64_e32 v[2:3], v[8:9]
	s_andn2_b64 exec, exec, s[0:1]
	s_cbranch_execnz .LBB9_1008
.LBB9_1009:
	s_or_b64 exec, exec, s[6:7]
	v_readfirstlane_b32 s0, v47
	v_mov_b64_e32 v[4:5], 0
	s_nop 0
	v_cmp_eq_u32_e64 s[0:1], s0, v47
	s_and_saveexec_b64 s[4:5], s[0:1]
	s_cbranch_execz .LBB9_1015
; %bb.1010:
	v_mov_b32_e32 v0, 0
	global_load_dwordx2 v[6:7], v0, s[42:43] offset:24 sc0 sc1
	s_waitcnt vmcnt(0)
	buffer_inv sc0 sc1
	global_load_dwordx2 v[2:3], v0, s[42:43] offset:40
	global_load_dwordx2 v[4:5], v0, s[42:43]
	s_waitcnt vmcnt(1)
	v_and_b32_e32 v1, v2, v6
	v_and_b32_e32 v2, v3, v7
	v_mul_lo_u32 v2, v2, 24
	v_mul_hi_u32 v3, v1, 24
	v_add_u32_e32 v3, v3, v2
	v_mul_lo_u32 v2, v1, 24
	s_waitcnt vmcnt(0)
	v_lshl_add_u64 v[2:3], v[4:5], 0, v[2:3]
	global_load_dwordx2 v[4:5], v[2:3], off sc0 sc1
	s_waitcnt vmcnt(0)
	global_atomic_cmpswap_x2 v[4:5], v0, v[4:7], s[42:43] offset:24 sc0 sc1
	s_waitcnt vmcnt(0)
	buffer_inv sc0 sc1
	v_cmp_ne_u64_e32 vcc, v[4:5], v[6:7]
	s_and_saveexec_b64 s[6:7], vcc
	s_cbranch_execz .LBB9_1014
; %bb.1011:
	s_mov_b64 s[10:11], 0
.LBB9_1012:                             ; =>This Inner Loop Header: Depth=1
	s_sleep 1
	global_load_dwordx2 v[2:3], v0, s[42:43] offset:40
	global_load_dwordx2 v[8:9], v0, s[42:43]
	v_mov_b64_e32 v[6:7], v[4:5]
	s_waitcnt vmcnt(1)
	v_and_b32_e32 v2, v2, v6
	v_and_b32_e32 v1, v3, v7
	s_waitcnt vmcnt(0)
	v_mad_u64_u32 v[2:3], s[16:17], v2, 24, v[8:9]
	v_mov_b32_e32 v4, v3
	v_mad_u64_u32 v[4:5], s[16:17], v1, 24, v[4:5]
	v_mov_b32_e32 v3, v4
	global_load_dwordx2 v[4:5], v[2:3], off sc0 sc1
	s_waitcnt vmcnt(0)
	global_atomic_cmpswap_x2 v[4:5], v0, v[4:7], s[42:43] offset:24 sc0 sc1
	s_waitcnt vmcnt(0)
	buffer_inv sc0 sc1
	v_cmp_eq_u64_e32 vcc, v[4:5], v[6:7]
	s_or_b64 s[10:11], vcc, s[10:11]
	s_andn2_b64 exec, exec, s[10:11]
	s_cbranch_execnz .LBB9_1012
; %bb.1013:
	s_or_b64 exec, exec, s[10:11]
.LBB9_1014:
	s_or_b64 exec, exec, s[6:7]
.LBB9_1015:
	s_or_b64 exec, exec, s[4:5]
	v_mov_b32_e32 v37, 0
	global_load_dwordx2 v[6:7], v37, s[42:43] offset:40
	global_load_dwordx4 v[0:3], v37, s[42:43]
	v_readfirstlane_b32 s4, v4
	v_readfirstlane_b32 s5, v5
	s_mov_b64 s[6:7], exec
	s_waitcnt vmcnt(1)
	v_readfirstlane_b32 s10, v6
	v_readfirstlane_b32 s11, v7
	s_and_b64 s[10:11], s[4:5], s[10:11]
	s_mul_i32 s15, s11, 24
	s_mul_hi_u32 s16, s10, 24
	s_add_i32 s17, s16, s15
	s_mul_i32 s16, s10, 24
	s_waitcnt vmcnt(0)
	v_lshl_add_u64 v[4:5], v[0:1], 0, s[16:17]
	s_and_saveexec_b64 s[16:17], s[0:1]
	s_cbranch_execz .LBB9_1017
; %bb.1016:
	v_mov_b64_e32 v[6:7], s[6:7]
	v_mov_b32_e32 v8, 2
	v_mov_b32_e32 v9, 1
	global_store_dwordx4 v[4:5], v[6:9], off offset:8
.LBB9_1017:
	s_or_b64 exec, exec, s[16:17]
	s_lshl_b64 s[6:7], s[10:11], 12
	v_lshl_add_u64 v[6:7], v[2:3], 0, s[6:7]
	s_mov_b32 s16, 0
	v_mov_b32_e32 v8, 33
	v_mov_b32_e32 v9, v37
	;; [unrolled: 1-line block ×4, first 2 shown]
	v_readfirstlane_b32 s6, v6
	v_readfirstlane_b32 s7, v7
	s_mov_b32 s17, s16
	s_mov_b32 s18, s16
	;; [unrolled: 1-line block ×3, first 2 shown]
	s_nop 1
	global_store_dwordx4 v36, v[8:11], s[6:7]
	s_nop 1
	v_mov_b64_e32 v[8:9], s[16:17]
	v_mov_b64_e32 v[10:11], s[18:19]
	global_store_dwordx4 v36, v[8:11], s[6:7] offset:16
	global_store_dwordx4 v36, v[8:11], s[6:7] offset:32
	;; [unrolled: 1-line block ×3, first 2 shown]
	s_and_saveexec_b64 s[6:7], s[0:1]
	s_cbranch_execz .LBB9_1025
; %bb.1018:
	v_mov_b32_e32 v10, 0
	global_load_dwordx2 v[14:15], v10, s[42:43] offset:32 sc0 sc1
	global_load_dwordx2 v[2:3], v10, s[42:43] offset:40
	v_mov_b32_e32 v12, s4
	v_mov_b32_e32 v13, s5
	s_waitcnt vmcnt(0)
	v_readfirstlane_b32 s10, v2
	v_readfirstlane_b32 s11, v3
	s_and_b64 s[10:11], s[10:11], s[4:5]
	s_mul_i32 s11, s11, 24
	s_mul_hi_u32 s15, s10, 24
	s_mul_i32 s10, s10, 24
	s_add_i32 s11, s15, s11
	v_lshl_add_u64 v[8:9], v[0:1], 0, s[10:11]
	global_store_dwordx2 v[8:9], v[14:15], off
	buffer_wbl2 sc0 sc1
	s_waitcnt vmcnt(0)
	global_atomic_cmpswap_x2 v[2:3], v10, v[12:15], s[42:43] offset:32 sc0 sc1
	s_waitcnt vmcnt(0)
	v_cmp_ne_u64_e32 vcc, v[2:3], v[14:15]
	s_and_saveexec_b64 s[10:11], vcc
	s_cbranch_execz .LBB9_1021
; %bb.1019:
	s_mov_b64 s[16:17], 0
.LBB9_1020:                             ; =>This Inner Loop Header: Depth=1
	s_sleep 1
	global_store_dwordx2 v[8:9], v[2:3], off
	v_mov_b32_e32 v0, s4
	v_mov_b32_e32 v1, s5
	buffer_wbl2 sc0 sc1
	s_waitcnt vmcnt(0)
	global_atomic_cmpswap_x2 v[0:1], v10, v[0:3], s[42:43] offset:32 sc0 sc1
	s_waitcnt vmcnt(0)
	v_cmp_eq_u64_e32 vcc, v[0:1], v[2:3]
	s_or_b64 s[16:17], vcc, s[16:17]
	v_mov_b64_e32 v[2:3], v[0:1]
	s_andn2_b64 exec, exec, s[16:17]
	s_cbranch_execnz .LBB9_1020
.LBB9_1021:
	s_or_b64 exec, exec, s[10:11]
	v_mov_b32_e32 v3, 0
	global_load_dwordx2 v[0:1], v3, s[42:43] offset:16
	s_mov_b64 s[10:11], exec
	v_mbcnt_lo_u32_b32 v2, s10, 0
	v_mbcnt_hi_u32_b32 v2, s11, v2
	v_cmp_eq_u32_e32 vcc, 0, v2
	s_and_saveexec_b64 s[16:17], vcc
	s_cbranch_execz .LBB9_1023
; %bb.1022:
	s_bcnt1_i32_b64 s10, s[10:11]
	v_mov_b32_e32 v2, s10
	buffer_wbl2 sc0 sc1
	s_waitcnt vmcnt(0)
	global_atomic_add_x2 v[0:1], v[2:3], off offset:8 sc1
.LBB9_1023:
	s_or_b64 exec, exec, s[16:17]
	s_waitcnt vmcnt(0)
	global_load_dwordx2 v[2:3], v[0:1], off offset:16
	s_waitcnt vmcnt(0)
	v_cmp_eq_u64_e32 vcc, 0, v[2:3]
	s_cbranch_vccnz .LBB9_1025
; %bb.1024:
	global_load_dword v0, v[0:1], off offset:24
	v_mov_b32_e32 v1, 0
	buffer_wbl2 sc0 sc1
	s_waitcnt vmcnt(0)
	global_store_dwordx2 v[2:3], v[0:1], off sc0 sc1
	v_and_b32_e32 v0, 0xffffff, v0
	s_nop 0
	v_readfirstlane_b32 m0, v0
	s_sendmsg sendmsg(MSG_INTERRUPT)
.LBB9_1025:
	s_or_b64 exec, exec, s[6:7]
	v_lshl_add_u64 v[0:1], v[6:7], 0, v[36:37]
	s_branch .LBB9_1029
.LBB9_1026:                             ;   in Loop: Header=BB9_1029 Depth=1
	s_or_b64 exec, exec, s[6:7]
	v_readfirstlane_b32 s6, v2
	s_cmp_eq_u32 s6, 0
	s_cbranch_scc1 .LBB9_1028
; %bb.1027:                             ;   in Loop: Header=BB9_1029 Depth=1
	s_sleep 1
	s_cbranch_execnz .LBB9_1029
	s_branch .LBB9_1031
.LBB9_1028:
	s_branch .LBB9_1031
.LBB9_1029:                             ; =>This Inner Loop Header: Depth=1
	v_mov_b32_e32 v2, 1
	s_and_saveexec_b64 s[6:7], s[0:1]
	s_cbranch_execz .LBB9_1026
; %bb.1030:                             ;   in Loop: Header=BB9_1029 Depth=1
	global_load_dword v2, v[4:5], off offset:20 sc0 sc1
	s_waitcnt vmcnt(0)
	buffer_inv sc0 sc1
	v_and_b32_e32 v2, 1, v2
	s_branch .LBB9_1026
.LBB9_1031:
	global_load_dwordx2 v[0:1], v[0:1], off
	s_and_saveexec_b64 s[6:7], s[0:1]
	s_cbranch_execz .LBB9_1034
; %bb.1032:
	v_mov_b32_e32 v8, 0
	global_load_dwordx2 v[6:7], v8, s[42:43] offset:40
	global_load_dwordx2 v[10:11], v8, s[42:43] offset:24 sc0 sc1
	global_load_dwordx2 v[12:13], v8, s[42:43]
	s_mov_b64 s[0:1], 0
	s_waitcnt vmcnt(2)
	v_lshl_add_u64 v[2:3], v[6:7], 0, 1
	v_lshl_add_u64 v[14:15], v[2:3], 0, s[4:5]
	v_cmp_eq_u64_e32 vcc, 0, v[14:15]
	s_waitcnt vmcnt(1)
	v_mov_b32_e32 v4, v10
	v_cndmask_b32_e32 v3, v15, v3, vcc
	v_cndmask_b32_e32 v2, v14, v2, vcc
	v_and_b32_e32 v5, v3, v7
	v_and_b32_e32 v6, v2, v6
	v_mul_lo_u32 v5, v5, 24
	v_mul_hi_u32 v7, v6, 24
	v_mul_lo_u32 v6, v6, 24
	v_add_u32_e32 v7, v7, v5
	s_waitcnt vmcnt(0)
	v_lshl_add_u64 v[6:7], v[12:13], 0, v[6:7]
	global_store_dwordx2 v[6:7], v[10:11], off
	v_mov_b32_e32 v5, v11
	buffer_wbl2 sc0 sc1
	s_waitcnt vmcnt(0)
	global_atomic_cmpswap_x2 v[4:5], v8, v[2:5], s[42:43] offset:24 sc0 sc1
	s_waitcnt vmcnt(0)
	v_cmp_ne_u64_e32 vcc, v[4:5], v[10:11]
	s_and_b64 exec, exec, vcc
	s_cbranch_execz .LBB9_1034
.LBB9_1033:                             ; =>This Inner Loop Header: Depth=1
	s_sleep 1
	global_store_dwordx2 v[6:7], v[4:5], off
	buffer_wbl2 sc0 sc1
	s_waitcnt vmcnt(0)
	global_atomic_cmpswap_x2 v[10:11], v8, v[2:5], s[42:43] offset:24 sc0 sc1
	s_waitcnt vmcnt(0)
	v_cmp_eq_u64_e32 vcc, v[10:11], v[4:5]
	s_or_b64 s[0:1], vcc, s[0:1]
	v_mov_b64_e32 v[4:5], v[10:11]
	s_andn2_b64 exec, exec, s[0:1]
	s_cbranch_execnz .LBB9_1033
.LBB9_1034:
	s_or_b64 exec, exec, s[6:7]
	s_and_b64 vcc, exec, s[44:45]
	s_cbranch_vccz .LBB9_1119
; %bb.1035:
	s_waitcnt vmcnt(0)
	v_and_b32_e32 v28, 2, v0
	v_mov_b32_e32 v31, 0
	v_and_b32_e32 v2, -3, v0
	v_mov_b32_e32 v3, v1
	s_mov_b64 s[6:7], 3
	v_mov_b32_e32 v6, 2
	v_mov_b32_e32 v7, 1
	s_getpc_b64 s[4:5]
	s_add_u32 s4, s4, .str.6@rel32@lo+4
	s_addc_u32 s5, s5, .str.6@rel32@hi+12
	s_branch .LBB9_1037
.LBB9_1036:                             ;   in Loop: Header=BB9_1037 Depth=1
	s_or_b64 exec, exec, s[18:19]
	s_sub_u32 s6, s6, s10
	s_subb_u32 s7, s7, s11
	s_add_u32 s4, s4, s10
	s_addc_u32 s5, s5, s11
	s_cmp_lg_u64 s[6:7], 0
	s_cbranch_scc0 .LBB9_1118
.LBB9_1037:                             ; =>This Loop Header: Depth=1
                                        ;     Child Loop BB9_1040 Depth 2
                                        ;     Child Loop BB9_1047 Depth 2
	;; [unrolled: 1-line block ×11, first 2 shown]
	v_cmp_lt_u64_e64 s[0:1], s[6:7], 56
	s_and_b64 s[0:1], s[0:1], exec
	v_cmp_gt_u64_e64 s[0:1], s[6:7], 7
	s_cselect_b32 s11, s7, 0
	s_cselect_b32 s10, s6, 56
	s_and_b64 vcc, exec, s[0:1]
	s_cbranch_vccnz .LBB9_1042
; %bb.1038:                             ;   in Loop: Header=BB9_1037 Depth=1
	s_mov_b64 s[0:1], 0
	s_cmp_eq_u64 s[6:7], 0
	v_mov_b64_e32 v[10:11], 0
	s_cbranch_scc1 .LBB9_1041
; %bb.1039:                             ;   in Loop: Header=BB9_1037 Depth=1
	s_lshl_b64 s[16:17], s[10:11], 3
	s_mov_b64 s[18:19], 0
	v_mov_b64_e32 v[10:11], 0
	s_mov_b64 s[20:21], s[4:5]
.LBB9_1040:                             ;   Parent Loop BB9_1037 Depth=1
                                        ; =>  This Inner Loop Header: Depth=2
	global_load_ubyte v4, v31, s[20:21]
	s_waitcnt vmcnt(0)
	v_and_b32_e32 v30, 0xffff, v4
	v_lshlrev_b64 v[4:5], s18, v[30:31]
	s_add_u32 s18, s18, 8
	s_addc_u32 s19, s19, 0
	s_add_u32 s20, s20, 1
	s_addc_u32 s21, s21, 0
	v_or_b32_e32 v10, v4, v10
	s_cmp_lg_u32 s16, s18
	v_or_b32_e32 v11, v5, v11
	s_cbranch_scc1 .LBB9_1040
.LBB9_1041:                             ;   in Loop: Header=BB9_1037 Depth=1
	s_mov_b32 s15, 0
	s_andn2_b64 vcc, exec, s[0:1]
	s_mov_b64 s[0:1], s[4:5]
	s_cbranch_vccz .LBB9_1043
	s_branch .LBB9_1044
.LBB9_1042:                             ;   in Loop: Header=BB9_1037 Depth=1
                                        ; implicit-def: $vgpr10_vgpr11
                                        ; implicit-def: $sgpr15
	s_mov_b64 s[0:1], s[4:5]
.LBB9_1043:                             ;   in Loop: Header=BB9_1037 Depth=1
	global_load_dwordx2 v[10:11], v31, s[4:5]
	s_add_i32 s15, s10, -8
	s_add_u32 s0, s4, 8
	s_addc_u32 s1, s5, 0
.LBB9_1044:                             ;   in Loop: Header=BB9_1037 Depth=1
	s_cmp_gt_u32 s15, 7
	s_cbranch_scc1 .LBB9_1048
; %bb.1045:                             ;   in Loop: Header=BB9_1037 Depth=1
	s_cmp_eq_u32 s15, 0
	s_cbranch_scc1 .LBB9_1049
; %bb.1046:                             ;   in Loop: Header=BB9_1037 Depth=1
	s_mov_b64 s[16:17], 0
	v_mov_b64_e32 v[12:13], 0
	s_mov_b64 s[18:19], 0
.LBB9_1047:                             ;   Parent Loop BB9_1037 Depth=1
                                        ; =>  This Inner Loop Header: Depth=2
	s_add_u32 s20, s0, s18
	s_addc_u32 s21, s1, s19
	global_load_ubyte v4, v31, s[20:21]
	s_add_u32 s18, s18, 1
	s_addc_u32 s19, s19, 0
	s_waitcnt vmcnt(0)
	v_and_b32_e32 v30, 0xffff, v4
	v_lshlrev_b64 v[4:5], s16, v[30:31]
	s_add_u32 s16, s16, 8
	s_addc_u32 s17, s17, 0
	v_or_b32_e32 v12, v4, v12
	s_cmp_lg_u32 s15, s18
	v_or_b32_e32 v13, v5, v13
	s_cbranch_scc1 .LBB9_1047
	s_branch .LBB9_1050
.LBB9_1048:                             ;   in Loop: Header=BB9_1037 Depth=1
                                        ; implicit-def: $vgpr12_vgpr13
                                        ; implicit-def: $sgpr20
	s_branch .LBB9_1051
.LBB9_1049:                             ;   in Loop: Header=BB9_1037 Depth=1
	v_mov_b64_e32 v[12:13], 0
.LBB9_1050:                             ;   in Loop: Header=BB9_1037 Depth=1
	s_mov_b32 s20, 0
	s_cbranch_execnz .LBB9_1052
.LBB9_1051:                             ;   in Loop: Header=BB9_1037 Depth=1
	global_load_dwordx2 v[12:13], v31, s[0:1]
	s_add_i32 s20, s15, -8
	s_add_u32 s0, s0, 8
	s_addc_u32 s1, s1, 0
.LBB9_1052:                             ;   in Loop: Header=BB9_1037 Depth=1
	s_cmp_gt_u32 s20, 7
	s_cbranch_scc1 .LBB9_1056
; %bb.1053:                             ;   in Loop: Header=BB9_1037 Depth=1
	s_cmp_eq_u32 s20, 0
	s_cbranch_scc1 .LBB9_1057
; %bb.1054:                             ;   in Loop: Header=BB9_1037 Depth=1
	s_mov_b64 s[16:17], 0
	v_mov_b64_e32 v[14:15], 0
	s_mov_b64 s[18:19], 0
.LBB9_1055:                             ;   Parent Loop BB9_1037 Depth=1
                                        ; =>  This Inner Loop Header: Depth=2
	s_add_u32 s22, s0, s18
	s_addc_u32 s23, s1, s19
	global_load_ubyte v4, v31, s[22:23]
	s_add_u32 s18, s18, 1
	s_addc_u32 s19, s19, 0
	s_waitcnt vmcnt(0)
	v_and_b32_e32 v30, 0xffff, v4
	v_lshlrev_b64 v[4:5], s16, v[30:31]
	s_add_u32 s16, s16, 8
	s_addc_u32 s17, s17, 0
	v_or_b32_e32 v14, v4, v14
	s_cmp_lg_u32 s20, s18
	v_or_b32_e32 v15, v5, v15
	s_cbranch_scc1 .LBB9_1055
	s_branch .LBB9_1058
.LBB9_1056:                             ;   in Loop: Header=BB9_1037 Depth=1
                                        ; implicit-def: $sgpr15
	s_branch .LBB9_1059
.LBB9_1057:                             ;   in Loop: Header=BB9_1037 Depth=1
	v_mov_b64_e32 v[14:15], 0
.LBB9_1058:                             ;   in Loop: Header=BB9_1037 Depth=1
	s_mov_b32 s15, 0
	s_cbranch_execnz .LBB9_1060
.LBB9_1059:                             ;   in Loop: Header=BB9_1037 Depth=1
	global_load_dwordx2 v[14:15], v31, s[0:1]
	s_add_i32 s15, s20, -8
	s_add_u32 s0, s0, 8
	s_addc_u32 s1, s1, 0
.LBB9_1060:                             ;   in Loop: Header=BB9_1037 Depth=1
	s_cmp_gt_u32 s15, 7
	s_cbranch_scc1 .LBB9_1064
; %bb.1061:                             ;   in Loop: Header=BB9_1037 Depth=1
	s_cmp_eq_u32 s15, 0
	s_cbranch_scc1 .LBB9_1065
; %bb.1062:                             ;   in Loop: Header=BB9_1037 Depth=1
	s_mov_b64 s[16:17], 0
	v_mov_b64_e32 v[16:17], 0
	s_mov_b64 s[18:19], 0
.LBB9_1063:                             ;   Parent Loop BB9_1037 Depth=1
                                        ; =>  This Inner Loop Header: Depth=2
	s_add_u32 s20, s0, s18
	s_addc_u32 s21, s1, s19
	global_load_ubyte v4, v31, s[20:21]
	s_add_u32 s18, s18, 1
	s_addc_u32 s19, s19, 0
	s_waitcnt vmcnt(0)
	v_and_b32_e32 v30, 0xffff, v4
	v_lshlrev_b64 v[4:5], s16, v[30:31]
	s_add_u32 s16, s16, 8
	s_addc_u32 s17, s17, 0
	v_or_b32_e32 v16, v4, v16
	s_cmp_lg_u32 s15, s18
	v_or_b32_e32 v17, v5, v17
	s_cbranch_scc1 .LBB9_1063
	s_branch .LBB9_1066
.LBB9_1064:                             ;   in Loop: Header=BB9_1037 Depth=1
                                        ; implicit-def: $vgpr16_vgpr17
                                        ; implicit-def: $sgpr20
	s_branch .LBB9_1067
.LBB9_1065:                             ;   in Loop: Header=BB9_1037 Depth=1
	v_mov_b64_e32 v[16:17], 0
.LBB9_1066:                             ;   in Loop: Header=BB9_1037 Depth=1
	s_mov_b32 s20, 0
	s_cbranch_execnz .LBB9_1068
.LBB9_1067:                             ;   in Loop: Header=BB9_1037 Depth=1
	global_load_dwordx2 v[16:17], v31, s[0:1]
	s_add_i32 s20, s15, -8
	s_add_u32 s0, s0, 8
	s_addc_u32 s1, s1, 0
.LBB9_1068:                             ;   in Loop: Header=BB9_1037 Depth=1
	s_cmp_gt_u32 s20, 7
	s_cbranch_scc1 .LBB9_1072
; %bb.1069:                             ;   in Loop: Header=BB9_1037 Depth=1
	s_cmp_eq_u32 s20, 0
	s_cbranch_scc1 .LBB9_1073
; %bb.1070:                             ;   in Loop: Header=BB9_1037 Depth=1
	s_mov_b64 s[16:17], 0
	v_mov_b64_e32 v[18:19], 0
	s_mov_b64 s[18:19], 0
.LBB9_1071:                             ;   Parent Loop BB9_1037 Depth=1
                                        ; =>  This Inner Loop Header: Depth=2
	s_add_u32 s22, s0, s18
	s_addc_u32 s23, s1, s19
	global_load_ubyte v4, v31, s[22:23]
	s_add_u32 s18, s18, 1
	s_addc_u32 s19, s19, 0
	s_waitcnt vmcnt(0)
	v_and_b32_e32 v30, 0xffff, v4
	v_lshlrev_b64 v[4:5], s16, v[30:31]
	s_add_u32 s16, s16, 8
	s_addc_u32 s17, s17, 0
	v_or_b32_e32 v18, v4, v18
	s_cmp_lg_u32 s20, s18
	v_or_b32_e32 v19, v5, v19
	s_cbranch_scc1 .LBB9_1071
	s_branch .LBB9_1074
.LBB9_1072:                             ;   in Loop: Header=BB9_1037 Depth=1
                                        ; implicit-def: $sgpr15
	s_branch .LBB9_1075
.LBB9_1073:                             ;   in Loop: Header=BB9_1037 Depth=1
	v_mov_b64_e32 v[18:19], 0
.LBB9_1074:                             ;   in Loop: Header=BB9_1037 Depth=1
	s_mov_b32 s15, 0
	s_cbranch_execnz .LBB9_1076
.LBB9_1075:                             ;   in Loop: Header=BB9_1037 Depth=1
	global_load_dwordx2 v[18:19], v31, s[0:1]
	s_add_i32 s15, s20, -8
	s_add_u32 s0, s0, 8
	s_addc_u32 s1, s1, 0
.LBB9_1076:                             ;   in Loop: Header=BB9_1037 Depth=1
	s_cmp_gt_u32 s15, 7
	s_cbranch_scc1 .LBB9_1080
; %bb.1077:                             ;   in Loop: Header=BB9_1037 Depth=1
	s_cmp_eq_u32 s15, 0
	s_cbranch_scc1 .LBB9_1081
; %bb.1078:                             ;   in Loop: Header=BB9_1037 Depth=1
	s_mov_b64 s[16:17], 0
	v_mov_b64_e32 v[20:21], 0
	s_mov_b64 s[18:19], 0
.LBB9_1079:                             ;   Parent Loop BB9_1037 Depth=1
                                        ; =>  This Inner Loop Header: Depth=2
	s_add_u32 s20, s0, s18
	s_addc_u32 s21, s1, s19
	global_load_ubyte v4, v31, s[20:21]
	s_add_u32 s18, s18, 1
	s_addc_u32 s19, s19, 0
	s_waitcnt vmcnt(0)
	v_and_b32_e32 v30, 0xffff, v4
	v_lshlrev_b64 v[4:5], s16, v[30:31]
	s_add_u32 s16, s16, 8
	s_addc_u32 s17, s17, 0
	v_or_b32_e32 v20, v4, v20
	s_cmp_lg_u32 s15, s18
	v_or_b32_e32 v21, v5, v21
	s_cbranch_scc1 .LBB9_1079
	s_branch .LBB9_1082
.LBB9_1080:                             ;   in Loop: Header=BB9_1037 Depth=1
                                        ; implicit-def: $vgpr20_vgpr21
                                        ; implicit-def: $sgpr20
	s_branch .LBB9_1083
.LBB9_1081:                             ;   in Loop: Header=BB9_1037 Depth=1
	v_mov_b64_e32 v[20:21], 0
.LBB9_1082:                             ;   in Loop: Header=BB9_1037 Depth=1
	s_mov_b32 s20, 0
	s_cbranch_execnz .LBB9_1084
.LBB9_1083:                             ;   in Loop: Header=BB9_1037 Depth=1
	global_load_dwordx2 v[20:21], v31, s[0:1]
	s_add_i32 s20, s15, -8
	s_add_u32 s0, s0, 8
	s_addc_u32 s1, s1, 0
.LBB9_1084:                             ;   in Loop: Header=BB9_1037 Depth=1
	s_cmp_gt_u32 s20, 7
	s_cbranch_scc1 .LBB9_1088
; %bb.1085:                             ;   in Loop: Header=BB9_1037 Depth=1
	s_cmp_eq_u32 s20, 0
	s_cbranch_scc1 .LBB9_1089
; %bb.1086:                             ;   in Loop: Header=BB9_1037 Depth=1
	s_mov_b64 s[16:17], 0
	v_mov_b64_e32 v[22:23], 0
	s_mov_b64 s[18:19], s[0:1]
.LBB9_1087:                             ;   Parent Loop BB9_1037 Depth=1
                                        ; =>  This Inner Loop Header: Depth=2
	global_load_ubyte v4, v31, s[18:19]
	s_add_i32 s20, s20, -1
	s_waitcnt vmcnt(0)
	v_and_b32_e32 v30, 0xffff, v4
	v_lshlrev_b64 v[4:5], s16, v[30:31]
	s_add_u32 s16, s16, 8
	s_addc_u32 s17, s17, 0
	s_add_u32 s18, s18, 1
	s_addc_u32 s19, s19, 0
	v_or_b32_e32 v22, v4, v22
	s_cmp_lg_u32 s20, 0
	v_or_b32_e32 v23, v5, v23
	s_cbranch_scc1 .LBB9_1087
	s_branch .LBB9_1090
.LBB9_1088:                             ;   in Loop: Header=BB9_1037 Depth=1
	s_branch .LBB9_1091
.LBB9_1089:                             ;   in Loop: Header=BB9_1037 Depth=1
	v_mov_b64_e32 v[22:23], 0
.LBB9_1090:                             ;   in Loop: Header=BB9_1037 Depth=1
	s_cbranch_execnz .LBB9_1092
.LBB9_1091:                             ;   in Loop: Header=BB9_1037 Depth=1
	global_load_dwordx2 v[22:23], v31, s[0:1]
.LBB9_1092:                             ;   in Loop: Header=BB9_1037 Depth=1
	v_readfirstlane_b32 s0, v47
	s_waitcnt vmcnt(0)
	v_mov_b64_e32 v[4:5], 0
	v_cmp_eq_u32_e64 s[0:1], s0, v47
	s_and_saveexec_b64 s[16:17], s[0:1]
	s_cbranch_execz .LBB9_1098
; %bb.1093:                             ;   in Loop: Header=BB9_1037 Depth=1
	global_load_dwordx2 v[26:27], v31, s[42:43] offset:24 sc0 sc1
	s_waitcnt vmcnt(0)
	buffer_inv sc0 sc1
	global_load_dwordx2 v[4:5], v31, s[42:43] offset:40
	global_load_dwordx2 v[8:9], v31, s[42:43]
	s_waitcnt vmcnt(1)
	v_and_b32_e32 v4, v4, v26
	v_and_b32_e32 v5, v5, v27
	v_mul_lo_u32 v5, v5, 24
	v_mul_hi_u32 v24, v4, 24
	v_add_u32_e32 v5, v24, v5
	v_mul_lo_u32 v4, v4, 24
	s_waitcnt vmcnt(0)
	v_lshl_add_u64 v[4:5], v[8:9], 0, v[4:5]
	global_load_dwordx2 v[24:25], v[4:5], off sc0 sc1
	s_waitcnt vmcnt(0)
	global_atomic_cmpswap_x2 v[4:5], v31, v[24:27], s[42:43] offset:24 sc0 sc1
	s_waitcnt vmcnt(0)
	buffer_inv sc0 sc1
	v_cmp_ne_u64_e32 vcc, v[4:5], v[26:27]
	s_and_saveexec_b64 s[18:19], vcc
	s_cbranch_execz .LBB9_1097
; %bb.1094:                             ;   in Loop: Header=BB9_1037 Depth=1
	s_mov_b64 s[20:21], 0
.LBB9_1095:                             ;   Parent Loop BB9_1037 Depth=1
                                        ; =>  This Inner Loop Header: Depth=2
	s_sleep 1
	global_load_dwordx2 v[8:9], v31, s[42:43] offset:40
	global_load_dwordx2 v[24:25], v31, s[42:43]
	v_mov_b64_e32 v[26:27], v[4:5]
	s_waitcnt vmcnt(1)
	v_and_b32_e32 v4, v8, v26
	s_waitcnt vmcnt(0)
	v_mad_u64_u32 v[4:5], s[22:23], v4, 24, v[24:25]
	v_and_b32_e32 v9, v9, v27
	v_mov_b32_e32 v8, v5
	v_mad_u64_u32 v[8:9], s[22:23], v9, 24, v[8:9]
	v_mov_b32_e32 v5, v8
	global_load_dwordx2 v[24:25], v[4:5], off sc0 sc1
	s_waitcnt vmcnt(0)
	global_atomic_cmpswap_x2 v[4:5], v31, v[24:27], s[42:43] offset:24 sc0 sc1
	s_waitcnt vmcnt(0)
	buffer_inv sc0 sc1
	v_cmp_eq_u64_e32 vcc, v[4:5], v[26:27]
	s_or_b64 s[20:21], vcc, s[20:21]
	s_andn2_b64 exec, exec, s[20:21]
	s_cbranch_execnz .LBB9_1095
; %bb.1096:                             ;   in Loop: Header=BB9_1037 Depth=1
	s_or_b64 exec, exec, s[20:21]
.LBB9_1097:                             ;   in Loop: Header=BB9_1037 Depth=1
	s_or_b64 exec, exec, s[18:19]
.LBB9_1098:                             ;   in Loop: Header=BB9_1037 Depth=1
	s_or_b64 exec, exec, s[16:17]
	global_load_dwordx2 v[8:9], v31, s[42:43] offset:40
	global_load_dwordx4 v[24:27], v31, s[42:43]
	v_readfirstlane_b32 s16, v4
	v_readfirstlane_b32 s17, v5
	s_mov_b64 s[18:19], exec
	s_waitcnt vmcnt(1)
	v_readfirstlane_b32 s20, v8
	v_readfirstlane_b32 s21, v9
	s_and_b64 s[20:21], s[16:17], s[20:21]
	s_mul_i32 s15, s21, 24
	s_mul_hi_u32 s22, s20, 24
	s_add_i32 s23, s22, s15
	s_mul_i32 s22, s20, 24
	s_waitcnt vmcnt(0)
	v_lshl_add_u64 v[32:33], v[24:25], 0, s[22:23]
	s_and_saveexec_b64 s[22:23], s[0:1]
	s_cbranch_execz .LBB9_1100
; %bb.1099:                             ;   in Loop: Header=BB9_1037 Depth=1
	v_mov_b64_e32 v[4:5], s[18:19]
	global_store_dwordx4 v[32:33], v[4:7], off offset:8
.LBB9_1100:                             ;   in Loop: Header=BB9_1037 Depth=1
	s_or_b64 exec, exec, s[22:23]
	s_nop 0
	v_or_b32_e32 v5, v2, v28
	v_cmp_gt_u64_e64 vcc, s[6:7], 56
	s_lshl_b32 s15, s10, 2
	s_lshl_b64 s[18:19], s[20:21], 12
	v_cndmask_b32_e32 v2, v5, v2, vcc
	s_add_i32 s15, s15, 28
	v_lshl_add_u64 v[26:27], v[26:27], 0, s[18:19]
	v_or_b32_e32 v4, 0, v3
	s_and_b32 s15, s15, 0x1e0
	v_and_b32_e32 v2, 0xffffff1f, v2
	v_cndmask_b32_e32 v9, v4, v3, vcc
	v_or_b32_e32 v8, s15, v2
	v_readfirstlane_b32 s18, v26
	v_readfirstlane_b32 s19, v27
	s_nop 4
	global_store_dwordx4 v36, v[8:11], s[18:19]
	global_store_dwordx4 v36, v[12:15], s[18:19] offset:16
	global_store_dwordx4 v36, v[16:19], s[18:19] offset:32
	;; [unrolled: 1-line block ×3, first 2 shown]
	s_and_saveexec_b64 s[18:19], s[0:1]
	s_cbranch_execz .LBB9_1108
; %bb.1101:                             ;   in Loop: Header=BB9_1037 Depth=1
	global_load_dwordx2 v[12:13], v31, s[42:43] offset:32 sc0 sc1
	global_load_dwordx2 v[2:3], v31, s[42:43] offset:40
	v_mov_b32_e32 v10, s16
	v_mov_b32_e32 v11, s17
	s_waitcnt vmcnt(0)
	v_readfirstlane_b32 s20, v2
	v_readfirstlane_b32 s21, v3
	s_and_b64 s[20:21], s[20:21], s[16:17]
	s_mul_i32 s15, s21, 24
	s_mul_hi_u32 s21, s20, 24
	s_mul_i32 s20, s20, 24
	s_add_i32 s21, s21, s15
	v_lshl_add_u64 v[8:9], v[24:25], 0, s[20:21]
	global_store_dwordx2 v[8:9], v[12:13], off
	buffer_wbl2 sc0 sc1
	s_waitcnt vmcnt(0)
	global_atomic_cmpswap_x2 v[4:5], v31, v[10:13], s[42:43] offset:32 sc0 sc1
	s_waitcnt vmcnt(0)
	v_cmp_ne_u64_e32 vcc, v[4:5], v[12:13]
	s_and_saveexec_b64 s[20:21], vcc
	s_cbranch_execz .LBB9_1104
; %bb.1102:                             ;   in Loop: Header=BB9_1037 Depth=1
	s_mov_b64 s[22:23], 0
.LBB9_1103:                             ;   Parent Loop BB9_1037 Depth=1
                                        ; =>  This Inner Loop Header: Depth=2
	s_sleep 1
	global_store_dwordx2 v[8:9], v[4:5], off
	v_mov_b32_e32 v2, s16
	v_mov_b32_e32 v3, s17
	buffer_wbl2 sc0 sc1
	s_waitcnt vmcnt(0)
	global_atomic_cmpswap_x2 v[2:3], v31, v[2:5], s[42:43] offset:32 sc0 sc1
	s_waitcnt vmcnt(0)
	v_cmp_eq_u64_e32 vcc, v[2:3], v[4:5]
	s_or_b64 s[22:23], vcc, s[22:23]
	v_mov_b64_e32 v[4:5], v[2:3]
	s_andn2_b64 exec, exec, s[22:23]
	s_cbranch_execnz .LBB9_1103
.LBB9_1104:                             ;   in Loop: Header=BB9_1037 Depth=1
	s_or_b64 exec, exec, s[20:21]
	global_load_dwordx2 v[2:3], v31, s[42:43] offset:16
	s_mov_b64 s[22:23], exec
	v_mbcnt_lo_u32_b32 v4, s22, 0
	v_mbcnt_hi_u32_b32 v4, s23, v4
	v_cmp_eq_u32_e32 vcc, 0, v4
	s_and_saveexec_b64 s[20:21], vcc
	s_cbranch_execz .LBB9_1106
; %bb.1105:                             ;   in Loop: Header=BB9_1037 Depth=1
	s_bcnt1_i32_b64 s15, s[22:23]
	v_mov_b32_e32 v30, s15
	buffer_wbl2 sc0 sc1
	s_waitcnt vmcnt(0)
	global_atomic_add_x2 v[2:3], v[30:31], off offset:8 sc1
.LBB9_1106:                             ;   in Loop: Header=BB9_1037 Depth=1
	s_or_b64 exec, exec, s[20:21]
	s_waitcnt vmcnt(0)
	global_load_dwordx2 v[4:5], v[2:3], off offset:16
	s_waitcnt vmcnt(0)
	v_cmp_eq_u64_e32 vcc, 0, v[4:5]
	s_cbranch_vccnz .LBB9_1108
; %bb.1107:                             ;   in Loop: Header=BB9_1037 Depth=1
	global_load_dword v30, v[2:3], off offset:24
	s_waitcnt vmcnt(0)
	v_and_b32_e32 v2, 0xffffff, v30
	s_nop 0
	v_readfirstlane_b32 m0, v2
	buffer_wbl2 sc0 sc1
	global_store_dwordx2 v[4:5], v[30:31], off sc0 sc1
	s_sendmsg sendmsg(MSG_INTERRUPT)
.LBB9_1108:                             ;   in Loop: Header=BB9_1037 Depth=1
	s_or_b64 exec, exec, s[18:19]
	v_mov_b32_e32 v37, v31
	v_lshl_add_u64 v[2:3], v[26:27], 0, v[36:37]
	s_branch .LBB9_1112
.LBB9_1109:                             ;   in Loop: Header=BB9_1112 Depth=2
	s_or_b64 exec, exec, s[18:19]
	v_readfirstlane_b32 s15, v4
	s_cmp_eq_u32 s15, 0
	s_cbranch_scc1 .LBB9_1111
; %bb.1110:                             ;   in Loop: Header=BB9_1112 Depth=2
	s_sleep 1
	s_cbranch_execnz .LBB9_1112
	s_branch .LBB9_1114
.LBB9_1111:                             ;   in Loop: Header=BB9_1037 Depth=1
	s_branch .LBB9_1114
.LBB9_1112:                             ;   Parent Loop BB9_1037 Depth=1
                                        ; =>  This Inner Loop Header: Depth=2
	v_mov_b32_e32 v4, 1
	s_and_saveexec_b64 s[18:19], s[0:1]
	s_cbranch_execz .LBB9_1109
; %bb.1113:                             ;   in Loop: Header=BB9_1112 Depth=2
	global_load_dword v4, v[32:33], off offset:20 sc0 sc1
	s_waitcnt vmcnt(0)
	buffer_inv sc0 sc1
	v_and_b32_e32 v4, 1, v4
	s_branch .LBB9_1109
.LBB9_1114:                             ;   in Loop: Header=BB9_1037 Depth=1
	global_load_dwordx4 v[2:5], v[2:3], off
	s_and_saveexec_b64 s[18:19], s[0:1]
	s_cbranch_execz .LBB9_1036
; %bb.1115:                             ;   in Loop: Header=BB9_1037 Depth=1
	global_load_dwordx2 v[4:5], v31, s[42:43] offset:40
	global_load_dwordx2 v[12:13], v31, s[42:43] offset:24 sc0 sc1
	global_load_dwordx2 v[14:15], v31, s[42:43]
	s_waitcnt vmcnt(2)
	v_lshl_add_u64 v[8:9], v[4:5], 0, 1
	v_lshl_add_u64 v[16:17], v[8:9], 0, s[16:17]
	v_cmp_eq_u64_e32 vcc, 0, v[16:17]
	s_waitcnt vmcnt(1)
	v_mov_b32_e32 v10, v12
	v_cndmask_b32_e32 v9, v17, v9, vcc
	v_cndmask_b32_e32 v8, v16, v8, vcc
	v_and_b32_e32 v5, v9, v5
	v_and_b32_e32 v4, v8, v4
	v_mul_lo_u32 v5, v5, 24
	v_mul_hi_u32 v11, v4, 24
	v_mul_lo_u32 v4, v4, 24
	v_add_u32_e32 v5, v11, v5
	s_waitcnt vmcnt(0)
	v_lshl_add_u64 v[4:5], v[14:15], 0, v[4:5]
	global_store_dwordx2 v[4:5], v[12:13], off
	v_mov_b32_e32 v11, v13
	buffer_wbl2 sc0 sc1
	s_waitcnt vmcnt(0)
	global_atomic_cmpswap_x2 v[10:11], v31, v[8:11], s[42:43] offset:24 sc0 sc1
	s_waitcnt vmcnt(0)
	v_cmp_ne_u64_e32 vcc, v[10:11], v[12:13]
	s_and_b64 exec, exec, vcc
	s_cbranch_execz .LBB9_1036
; %bb.1116:                             ;   in Loop: Header=BB9_1037 Depth=1
	s_mov_b64 s[0:1], 0
.LBB9_1117:                             ;   Parent Loop BB9_1037 Depth=1
                                        ; =>  This Inner Loop Header: Depth=2
	s_sleep 1
	global_store_dwordx2 v[4:5], v[10:11], off
	buffer_wbl2 sc0 sc1
	s_waitcnt vmcnt(0)
	global_atomic_cmpswap_x2 v[12:13], v31, v[8:11], s[42:43] offset:24 sc0 sc1
	s_waitcnt vmcnt(0)
	v_cmp_eq_u64_e32 vcc, v[12:13], v[10:11]
	s_or_b64 s[0:1], vcc, s[0:1]
	v_mov_b64_e32 v[10:11], v[12:13]
	s_andn2_b64 exec, exec, s[0:1]
	s_cbranch_execnz .LBB9_1117
	s_branch .LBB9_1036
.LBB9_1118:
	s_branch .LBB9_1146
.LBB9_1119:
                                        ; implicit-def: $vgpr2_vgpr3
	s_cbranch_execz .LBB9_1146
; %bb.1120:
	v_readfirstlane_b32 s0, v47
	s_waitcnt vmcnt(0)
	v_mov_b64_e32 v[2:3], 0
	v_cmp_eq_u32_e64 s[0:1], s0, v47
	s_and_saveexec_b64 s[4:5], s[0:1]
	s_cbranch_execz .LBB9_1126
; %bb.1121:
	v_mov_b32_e32 v4, 0
	global_load_dwordx2 v[8:9], v4, s[42:43] offset:24 sc0 sc1
	s_waitcnt vmcnt(0)
	buffer_inv sc0 sc1
	global_load_dwordx2 v[2:3], v4, s[42:43] offset:40
	global_load_dwordx2 v[6:7], v4, s[42:43]
	s_waitcnt vmcnt(1)
	v_and_b32_e32 v2, v2, v8
	v_and_b32_e32 v3, v3, v9
	v_mul_lo_u32 v3, v3, 24
	v_mul_hi_u32 v5, v2, 24
	v_add_u32_e32 v3, v5, v3
	v_mul_lo_u32 v2, v2, 24
	s_waitcnt vmcnt(0)
	v_lshl_add_u64 v[2:3], v[6:7], 0, v[2:3]
	global_load_dwordx2 v[6:7], v[2:3], off sc0 sc1
	s_waitcnt vmcnt(0)
	global_atomic_cmpswap_x2 v[2:3], v4, v[6:9], s[42:43] offset:24 sc0 sc1
	s_waitcnt vmcnt(0)
	buffer_inv sc0 sc1
	v_cmp_ne_u64_e32 vcc, v[2:3], v[8:9]
	s_and_saveexec_b64 s[6:7], vcc
	s_cbranch_execz .LBB9_1125
; %bb.1122:
	s_mov_b64 s[10:11], 0
.LBB9_1123:                             ; =>This Inner Loop Header: Depth=1
	s_sleep 1
	global_load_dwordx2 v[6:7], v4, s[42:43] offset:40
	global_load_dwordx2 v[10:11], v4, s[42:43]
	v_mov_b64_e32 v[8:9], v[2:3]
	s_waitcnt vmcnt(1)
	v_and_b32_e32 v2, v6, v8
	s_waitcnt vmcnt(0)
	v_mad_u64_u32 v[2:3], s[16:17], v2, 24, v[10:11]
	v_and_b32_e32 v5, v7, v9
	v_mov_b32_e32 v6, v3
	v_mad_u64_u32 v[6:7], s[16:17], v5, 24, v[6:7]
	v_mov_b32_e32 v3, v6
	global_load_dwordx2 v[6:7], v[2:3], off sc0 sc1
	s_waitcnt vmcnt(0)
	global_atomic_cmpswap_x2 v[2:3], v4, v[6:9], s[42:43] offset:24 sc0 sc1
	s_waitcnt vmcnt(0)
	buffer_inv sc0 sc1
	v_cmp_eq_u64_e32 vcc, v[2:3], v[8:9]
	s_or_b64 s[10:11], vcc, s[10:11]
	s_andn2_b64 exec, exec, s[10:11]
	s_cbranch_execnz .LBB9_1123
; %bb.1124:
	s_or_b64 exec, exec, s[10:11]
.LBB9_1125:
	s_or_b64 exec, exec, s[6:7]
.LBB9_1126:
	s_or_b64 exec, exec, s[4:5]
	v_mov_b32_e32 v37, 0
	global_load_dwordx2 v[8:9], v37, s[42:43] offset:40
	global_load_dwordx4 v[4:7], v37, s[42:43]
	v_readfirstlane_b32 s4, v2
	v_readfirstlane_b32 s5, v3
	s_mov_b64 s[6:7], exec
	s_waitcnt vmcnt(1)
	v_readfirstlane_b32 s10, v8
	v_readfirstlane_b32 s11, v9
	s_and_b64 s[10:11], s[4:5], s[10:11]
	s_mul_i32 s15, s11, 24
	s_mul_hi_u32 s16, s10, 24
	s_add_i32 s17, s16, s15
	s_mul_i32 s16, s10, 24
	s_waitcnt vmcnt(0)
	v_lshl_add_u64 v[8:9], v[4:5], 0, s[16:17]
	s_and_saveexec_b64 s[16:17], s[0:1]
	s_cbranch_execz .LBB9_1128
; %bb.1127:
	v_mov_b64_e32 v[10:11], s[6:7]
	v_mov_b32_e32 v12, 2
	v_mov_b32_e32 v13, 1
	global_store_dwordx4 v[8:9], v[10:13], off offset:8
.LBB9_1128:
	s_or_b64 exec, exec, s[16:17]
	s_lshl_b64 s[6:7], s[10:11], 12
	v_lshl_add_u64 v[6:7], v[6:7], 0, s[6:7]
	s_movk_i32 s6, 0xff1f
	s_mov_b32 s16, 0
	v_and_or_b32 v0, v0, s6, 32
	v_mov_b32_e32 v2, v37
	v_mov_b32_e32 v3, v37
	v_readfirstlane_b32 s6, v6
	v_readfirstlane_b32 s7, v7
	s_mov_b32 s17, s16
	s_mov_b32 s18, s16
	;; [unrolled: 1-line block ×3, first 2 shown]
	s_nop 1
	global_store_dwordx4 v36, v[0:3], s[6:7]
	s_nop 1
	v_mov_b64_e32 v[0:1], s[16:17]
	v_mov_b64_e32 v[2:3], s[18:19]
	global_store_dwordx4 v36, v[0:3], s[6:7] offset:16
	global_store_dwordx4 v36, v[0:3], s[6:7] offset:32
	;; [unrolled: 1-line block ×3, first 2 shown]
	s_and_saveexec_b64 s[6:7], s[0:1]
	s_cbranch_execz .LBB9_1136
; %bb.1129:
	v_mov_b32_e32 v10, 0
	global_load_dwordx2 v[14:15], v10, s[42:43] offset:32 sc0 sc1
	global_load_dwordx2 v[0:1], v10, s[42:43] offset:40
	v_mov_b32_e32 v12, s4
	v_mov_b32_e32 v13, s5
	s_waitcnt vmcnt(0)
	v_readfirstlane_b32 s10, v0
	v_readfirstlane_b32 s11, v1
	s_and_b64 s[10:11], s[10:11], s[4:5]
	s_mul_i32 s11, s11, 24
	s_mul_hi_u32 s15, s10, 24
	s_mul_i32 s10, s10, 24
	s_add_i32 s11, s15, s11
	v_lshl_add_u64 v[4:5], v[4:5], 0, s[10:11]
	global_store_dwordx2 v[4:5], v[14:15], off
	buffer_wbl2 sc0 sc1
	s_waitcnt vmcnt(0)
	global_atomic_cmpswap_x2 v[2:3], v10, v[12:15], s[42:43] offset:32 sc0 sc1
	s_waitcnt vmcnt(0)
	v_cmp_ne_u64_e32 vcc, v[2:3], v[14:15]
	s_and_saveexec_b64 s[10:11], vcc
	s_cbranch_execz .LBB9_1132
; %bb.1130:
	s_mov_b64 s[16:17], 0
.LBB9_1131:                             ; =>This Inner Loop Header: Depth=1
	s_sleep 1
	global_store_dwordx2 v[4:5], v[2:3], off
	v_mov_b32_e32 v0, s4
	v_mov_b32_e32 v1, s5
	buffer_wbl2 sc0 sc1
	s_waitcnt vmcnt(0)
	global_atomic_cmpswap_x2 v[0:1], v10, v[0:3], s[42:43] offset:32 sc0 sc1
	s_waitcnt vmcnt(0)
	v_cmp_eq_u64_e32 vcc, v[0:1], v[2:3]
	s_or_b64 s[16:17], vcc, s[16:17]
	v_mov_b64_e32 v[2:3], v[0:1]
	s_andn2_b64 exec, exec, s[16:17]
	s_cbranch_execnz .LBB9_1131
.LBB9_1132:
	s_or_b64 exec, exec, s[10:11]
	v_mov_b32_e32 v3, 0
	global_load_dwordx2 v[0:1], v3, s[42:43] offset:16
	s_mov_b64 s[10:11], exec
	v_mbcnt_lo_u32_b32 v2, s10, 0
	v_mbcnt_hi_u32_b32 v2, s11, v2
	v_cmp_eq_u32_e32 vcc, 0, v2
	s_and_saveexec_b64 s[16:17], vcc
	s_cbranch_execz .LBB9_1134
; %bb.1133:
	s_bcnt1_i32_b64 s10, s[10:11]
	v_mov_b32_e32 v2, s10
	buffer_wbl2 sc0 sc1
	s_waitcnt vmcnt(0)
	global_atomic_add_x2 v[0:1], v[2:3], off offset:8 sc1
.LBB9_1134:
	s_or_b64 exec, exec, s[16:17]
	s_waitcnt vmcnt(0)
	global_load_dwordx2 v[2:3], v[0:1], off offset:16
	s_waitcnt vmcnt(0)
	v_cmp_eq_u64_e32 vcc, 0, v[2:3]
	s_cbranch_vccnz .LBB9_1136
; %bb.1135:
	global_load_dword v0, v[0:1], off offset:24
	v_mov_b32_e32 v1, 0
	buffer_wbl2 sc0 sc1
	s_waitcnt vmcnt(0)
	global_store_dwordx2 v[2:3], v[0:1], off sc0 sc1
	v_and_b32_e32 v0, 0xffffff, v0
	s_nop 0
	v_readfirstlane_b32 m0, v0
	s_sendmsg sendmsg(MSG_INTERRUPT)
.LBB9_1136:
	s_or_b64 exec, exec, s[6:7]
	v_lshl_add_u64 v[0:1], v[6:7], 0, v[36:37]
	s_branch .LBB9_1140
.LBB9_1137:                             ;   in Loop: Header=BB9_1140 Depth=1
	s_or_b64 exec, exec, s[6:7]
	v_readfirstlane_b32 s6, v2
	s_cmp_eq_u32 s6, 0
	s_cbranch_scc1 .LBB9_1139
; %bb.1138:                             ;   in Loop: Header=BB9_1140 Depth=1
	s_sleep 1
	s_cbranch_execnz .LBB9_1140
	s_branch .LBB9_1142
.LBB9_1139:
	s_branch .LBB9_1142
.LBB9_1140:                             ; =>This Inner Loop Header: Depth=1
	v_mov_b32_e32 v2, 1
	s_and_saveexec_b64 s[6:7], s[0:1]
	s_cbranch_execz .LBB9_1137
; %bb.1141:                             ;   in Loop: Header=BB9_1140 Depth=1
	global_load_dword v2, v[8:9], off offset:20 sc0 sc1
	s_waitcnt vmcnt(0)
	buffer_inv sc0 sc1
	v_and_b32_e32 v2, 1, v2
	s_branch .LBB9_1137
.LBB9_1142:
	global_load_dwordx2 v[2:3], v[0:1], off
	s_and_saveexec_b64 s[6:7], s[0:1]
	s_cbranch_execz .LBB9_1145
; %bb.1143:
	v_mov_b32_e32 v8, 0
	global_load_dwordx2 v[0:1], v8, s[42:43] offset:40
	global_load_dwordx2 v[10:11], v8, s[42:43] offset:24 sc0 sc1
	global_load_dwordx2 v[12:13], v8, s[42:43]
	s_mov_b64 s[0:1], 0
	s_waitcnt vmcnt(2)
	v_lshl_add_u64 v[4:5], v[0:1], 0, 1
	v_lshl_add_u64 v[14:15], v[4:5], 0, s[4:5]
	v_cmp_eq_u64_e32 vcc, 0, v[14:15]
	s_waitcnt vmcnt(1)
	v_mov_b32_e32 v6, v10
	v_cndmask_b32_e32 v5, v15, v5, vcc
	v_cndmask_b32_e32 v4, v14, v4, vcc
	v_and_b32_e32 v1, v5, v1
	v_and_b32_e32 v0, v4, v0
	v_mul_lo_u32 v1, v1, 24
	v_mul_hi_u32 v7, v0, 24
	v_mul_lo_u32 v0, v0, 24
	v_add_u32_e32 v1, v7, v1
	s_waitcnt vmcnt(0)
	v_lshl_add_u64 v[0:1], v[12:13], 0, v[0:1]
	global_store_dwordx2 v[0:1], v[10:11], off
	v_mov_b32_e32 v7, v11
	buffer_wbl2 sc0 sc1
	s_waitcnt vmcnt(0)
	global_atomic_cmpswap_x2 v[6:7], v8, v[4:7], s[42:43] offset:24 sc0 sc1
	s_waitcnt vmcnt(0)
	v_cmp_ne_u64_e32 vcc, v[6:7], v[10:11]
	s_and_b64 exec, exec, vcc
	s_cbranch_execz .LBB9_1145
.LBB9_1144:                             ; =>This Inner Loop Header: Depth=1
	s_sleep 1
	global_store_dwordx2 v[0:1], v[6:7], off
	buffer_wbl2 sc0 sc1
	s_waitcnt vmcnt(0)
	global_atomic_cmpswap_x2 v[10:11], v8, v[4:7], s[42:43] offset:24 sc0 sc1
	s_waitcnt vmcnt(0)
	v_cmp_eq_u64_e32 vcc, v[10:11], v[6:7]
	s_or_b64 s[0:1], vcc, s[0:1]
	v_mov_b64_e32 v[6:7], v[10:11]
	s_andn2_b64 exec, exec, s[0:1]
	s_cbranch_execnz .LBB9_1144
.LBB9_1145:
	s_or_b64 exec, exec, s[6:7]
.LBB9_1146:
	v_readfirstlane_b32 s0, v47
	s_waitcnt vmcnt(0)
	v_mov_b64_e32 v[0:1], 0
	v_cmp_eq_u32_e64 s[0:1], s0, v47
	s_and_saveexec_b64 s[4:5], s[0:1]
	s_cbranch_execz .LBB9_1152
; %bb.1147:
	v_mov_b32_e32 v4, 0
	global_load_dwordx2 v[8:9], v4, s[42:43] offset:24 sc0 sc1
	s_waitcnt vmcnt(0)
	buffer_inv sc0 sc1
	global_load_dwordx2 v[0:1], v4, s[42:43] offset:40
	global_load_dwordx2 v[6:7], v4, s[42:43]
	s_waitcnt vmcnt(1)
	v_and_b32_e32 v0, v0, v8
	v_and_b32_e32 v1, v1, v9
	v_mul_lo_u32 v1, v1, 24
	v_mul_hi_u32 v5, v0, 24
	v_add_u32_e32 v1, v5, v1
	v_mul_lo_u32 v0, v0, 24
	s_waitcnt vmcnt(0)
	v_lshl_add_u64 v[0:1], v[6:7], 0, v[0:1]
	global_load_dwordx2 v[6:7], v[0:1], off sc0 sc1
	s_waitcnt vmcnt(0)
	global_atomic_cmpswap_x2 v[0:1], v4, v[6:9], s[42:43] offset:24 sc0 sc1
	s_waitcnt vmcnt(0)
	buffer_inv sc0 sc1
	v_cmp_ne_u64_e32 vcc, v[0:1], v[8:9]
	s_and_saveexec_b64 s[6:7], vcc
	s_cbranch_execz .LBB9_1151
; %bb.1148:
	s_mov_b64 s[10:11], 0
.LBB9_1149:                             ; =>This Inner Loop Header: Depth=1
	s_sleep 1
	global_load_dwordx2 v[6:7], v4, s[42:43] offset:40
	global_load_dwordx2 v[10:11], v4, s[42:43]
	v_mov_b64_e32 v[8:9], v[0:1]
	s_waitcnt vmcnt(1)
	v_and_b32_e32 v0, v6, v8
	s_waitcnt vmcnt(0)
	v_mad_u64_u32 v[0:1], s[16:17], v0, 24, v[10:11]
	v_and_b32_e32 v5, v7, v9
	v_mov_b32_e32 v6, v1
	v_mad_u64_u32 v[6:7], s[16:17], v5, 24, v[6:7]
	v_mov_b32_e32 v1, v6
	global_load_dwordx2 v[6:7], v[0:1], off sc0 sc1
	s_waitcnt vmcnt(0)
	global_atomic_cmpswap_x2 v[0:1], v4, v[6:9], s[42:43] offset:24 sc0 sc1
	s_waitcnt vmcnt(0)
	buffer_inv sc0 sc1
	v_cmp_eq_u64_e32 vcc, v[0:1], v[8:9]
	s_or_b64 s[10:11], vcc, s[10:11]
	s_andn2_b64 exec, exec, s[10:11]
	s_cbranch_execnz .LBB9_1149
; %bb.1150:
	s_or_b64 exec, exec, s[10:11]
.LBB9_1151:
	s_or_b64 exec, exec, s[6:7]
.LBB9_1152:
	s_or_b64 exec, exec, s[4:5]
	v_mov_b32_e32 v5, 0
	global_load_dwordx2 v[10:11], v5, s[42:43] offset:40
	global_load_dwordx4 v[6:9], v5, s[42:43]
	v_readfirstlane_b32 s4, v0
	v_readfirstlane_b32 s5, v1
	s_mov_b64 s[6:7], exec
	s_waitcnt vmcnt(1)
	v_readfirstlane_b32 s10, v10
	v_readfirstlane_b32 s11, v11
	s_and_b64 s[10:11], s[4:5], s[10:11]
	s_mul_i32 s15, s11, 24
	s_mul_hi_u32 s16, s10, 24
	s_add_i32 s17, s16, s15
	s_mul_i32 s16, s10, 24
	s_waitcnt vmcnt(0)
	v_lshl_add_u64 v[10:11], v[6:7], 0, s[16:17]
	s_and_saveexec_b64 s[16:17], s[0:1]
	s_cbranch_execz .LBB9_1154
; %bb.1153:
	v_mov_b64_e32 v[12:13], s[6:7]
	v_mov_b32_e32 v14, 2
	v_mov_b32_e32 v15, 1
	global_store_dwordx4 v[10:11], v[12:15], off offset:8
.LBB9_1154:
	s_or_b64 exec, exec, s[16:17]
	s_lshl_b64 s[6:7], s[10:11], 12
	v_lshl_add_u64 v[0:1], v[8:9], 0, s[6:7]
	s_movk_i32 s6, 0xff1d
	s_mov_b32 s16, 0
	v_and_or_b32 v2, v2, s6, 34
	v_mov_b32_e32 v4, 58
	v_readfirstlane_b32 s6, v0
	v_readfirstlane_b32 s7, v1
	s_mov_b32 s17, s16
	s_mov_b32 s18, s16
	;; [unrolled: 1-line block ×3, first 2 shown]
	s_nop 1
	global_store_dwordx4 v36, v[2:5], s[6:7]
	v_mov_b64_e32 v[0:1], s[16:17]
	s_nop 0
	v_mov_b64_e32 v[2:3], s[18:19]
	global_store_dwordx4 v36, v[0:3], s[6:7] offset:16
	global_store_dwordx4 v36, v[0:3], s[6:7] offset:32
	;; [unrolled: 1-line block ×3, first 2 shown]
	s_and_saveexec_b64 s[6:7], s[0:1]
	s_cbranch_execz .LBB9_1162
; %bb.1155:
	v_mov_b32_e32 v8, 0
	global_load_dwordx2 v[14:15], v8, s[42:43] offset:32 sc0 sc1
	global_load_dwordx2 v[0:1], v8, s[42:43] offset:40
	v_mov_b32_e32 v12, s4
	v_mov_b32_e32 v13, s5
	s_waitcnt vmcnt(0)
	v_readfirstlane_b32 s10, v0
	v_readfirstlane_b32 s11, v1
	s_and_b64 s[10:11], s[10:11], s[4:5]
	s_mul_i32 s11, s11, 24
	s_mul_hi_u32 s15, s10, 24
	s_mul_i32 s10, s10, 24
	s_add_i32 s11, s15, s11
	v_lshl_add_u64 v[4:5], v[6:7], 0, s[10:11]
	global_store_dwordx2 v[4:5], v[14:15], off
	buffer_wbl2 sc0 sc1
	s_waitcnt vmcnt(0)
	global_atomic_cmpswap_x2 v[2:3], v8, v[12:15], s[42:43] offset:32 sc0 sc1
	s_waitcnt vmcnt(0)
	v_cmp_ne_u64_e32 vcc, v[2:3], v[14:15]
	s_and_saveexec_b64 s[10:11], vcc
	s_cbranch_execz .LBB9_1158
; %bb.1156:
	s_mov_b64 s[16:17], 0
.LBB9_1157:                             ; =>This Inner Loop Header: Depth=1
	s_sleep 1
	global_store_dwordx2 v[4:5], v[2:3], off
	v_mov_b32_e32 v0, s4
	v_mov_b32_e32 v1, s5
	buffer_wbl2 sc0 sc1
	s_waitcnt vmcnt(0)
	global_atomic_cmpswap_x2 v[0:1], v8, v[0:3], s[42:43] offset:32 sc0 sc1
	s_waitcnt vmcnt(0)
	v_cmp_eq_u64_e32 vcc, v[0:1], v[2:3]
	s_or_b64 s[16:17], vcc, s[16:17]
	v_mov_b64_e32 v[2:3], v[0:1]
	s_andn2_b64 exec, exec, s[16:17]
	s_cbranch_execnz .LBB9_1157
.LBB9_1158:
	s_or_b64 exec, exec, s[10:11]
	v_mov_b32_e32 v3, 0
	global_load_dwordx2 v[0:1], v3, s[42:43] offset:16
	s_mov_b64 s[10:11], exec
	v_mbcnt_lo_u32_b32 v2, s10, 0
	v_mbcnt_hi_u32_b32 v2, s11, v2
	v_cmp_eq_u32_e32 vcc, 0, v2
	s_and_saveexec_b64 s[16:17], vcc
	s_cbranch_execz .LBB9_1160
; %bb.1159:
	s_bcnt1_i32_b64 s10, s[10:11]
	v_mov_b32_e32 v2, s10
	buffer_wbl2 sc0 sc1
	s_waitcnt vmcnt(0)
	global_atomic_add_x2 v[0:1], v[2:3], off offset:8 sc1
.LBB9_1160:
	s_or_b64 exec, exec, s[16:17]
	s_waitcnt vmcnt(0)
	global_load_dwordx2 v[2:3], v[0:1], off offset:16
	s_waitcnt vmcnt(0)
	v_cmp_eq_u64_e32 vcc, 0, v[2:3]
	s_cbranch_vccnz .LBB9_1162
; %bb.1161:
	global_load_dword v0, v[0:1], off offset:24
	v_mov_b32_e32 v1, 0
	buffer_wbl2 sc0 sc1
	s_waitcnt vmcnt(0)
	global_store_dwordx2 v[2:3], v[0:1], off sc0 sc1
	v_and_b32_e32 v0, 0xffffff, v0
	s_nop 0
	v_readfirstlane_b32 m0, v0
	s_sendmsg sendmsg(MSG_INTERRUPT)
.LBB9_1162:
	s_or_b64 exec, exec, s[6:7]
	s_branch .LBB9_1166
.LBB9_1163:                             ;   in Loop: Header=BB9_1166 Depth=1
	s_or_b64 exec, exec, s[6:7]
	v_readfirstlane_b32 s6, v0
	s_cmp_eq_u32 s6, 0
	s_cbranch_scc1 .LBB9_1165
; %bb.1164:                             ;   in Loop: Header=BB9_1166 Depth=1
	s_sleep 1
	s_cbranch_execnz .LBB9_1166
	s_branch .LBB9_1168
.LBB9_1165:
	s_branch .LBB9_1168
.LBB9_1166:                             ; =>This Inner Loop Header: Depth=1
	v_mov_b32_e32 v0, 1
	s_and_saveexec_b64 s[6:7], s[0:1]
	s_cbranch_execz .LBB9_1163
; %bb.1167:                             ;   in Loop: Header=BB9_1166 Depth=1
	global_load_dword v0, v[10:11], off offset:20 sc0 sc1
	s_waitcnt vmcnt(0)
	buffer_inv sc0 sc1
	v_and_b32_e32 v0, 1, v0
	s_branch .LBB9_1163
.LBB9_1168:
	s_and_saveexec_b64 s[6:7], s[0:1]
	s_cbranch_execz .LBB9_1171
; %bb.1169:
	v_mov_b32_e32 v6, 0
	global_load_dwordx2 v[4:5], v6, s[42:43] offset:40
	global_load_dwordx2 v[8:9], v6, s[42:43] offset:24 sc0 sc1
	global_load_dwordx2 v[10:11], v6, s[42:43]
	s_mov_b64 s[0:1], 0
	s_waitcnt vmcnt(2)
	v_lshl_add_u64 v[0:1], v[4:5], 0, 1
	v_lshl_add_u64 v[12:13], v[0:1], 0, s[4:5]
	v_cmp_eq_u64_e32 vcc, 0, v[12:13]
	s_waitcnt vmcnt(1)
	v_mov_b32_e32 v2, v8
	v_cndmask_b32_e32 v1, v13, v1, vcc
	v_cndmask_b32_e32 v0, v12, v0, vcc
	v_and_b32_e32 v3, v1, v5
	v_and_b32_e32 v4, v0, v4
	v_mul_lo_u32 v3, v3, 24
	v_mul_hi_u32 v5, v4, 24
	v_mul_lo_u32 v4, v4, 24
	v_add_u32_e32 v5, v5, v3
	s_waitcnt vmcnt(0)
	v_lshl_add_u64 v[4:5], v[10:11], 0, v[4:5]
	global_store_dwordx2 v[4:5], v[8:9], off
	v_mov_b32_e32 v3, v9
	buffer_wbl2 sc0 sc1
	s_waitcnt vmcnt(0)
	global_atomic_cmpswap_x2 v[2:3], v6, v[0:3], s[42:43] offset:24 sc0 sc1
	s_waitcnt vmcnt(0)
	v_cmp_ne_u64_e32 vcc, v[2:3], v[8:9]
	s_and_b64 exec, exec, vcc
	s_cbranch_execz .LBB9_1171
.LBB9_1170:                             ; =>This Inner Loop Header: Depth=1
	s_sleep 1
	global_store_dwordx2 v[4:5], v[2:3], off
	buffer_wbl2 sc0 sc1
	s_waitcnt vmcnt(0)
	global_atomic_cmpswap_x2 v[8:9], v6, v[0:3], s[42:43] offset:24 sc0 sc1
	s_waitcnt vmcnt(0)
	v_cmp_eq_u64_e32 vcc, v[8:9], v[2:3]
	s_or_b64 s[0:1], vcc, s[0:1]
	v_mov_b64_e32 v[2:3], v[8:9]
	s_andn2_b64 exec, exec, s[0:1]
	s_cbranch_execnz .LBB9_1170
.LBB9_1171:
	s_or_b64 exec, exec, s[6:7]
	v_readfirstlane_b32 s0, v47
	v_mov_b64_e32 v[4:5], 0
	s_nop 0
	v_cmp_eq_u32_e64 s[0:1], s0, v47
	s_and_saveexec_b64 s[4:5], s[0:1]
	s_cbranch_execz .LBB9_1177
; %bb.1172:
	v_mov_b32_e32 v0, 0
	global_load_dwordx2 v[6:7], v0, s[42:43] offset:24 sc0 sc1
	s_waitcnt vmcnt(0)
	buffer_inv sc0 sc1
	global_load_dwordx2 v[2:3], v0, s[42:43] offset:40
	global_load_dwordx2 v[4:5], v0, s[42:43]
	s_waitcnt vmcnt(1)
	v_and_b32_e32 v1, v2, v6
	v_and_b32_e32 v2, v3, v7
	v_mul_lo_u32 v2, v2, 24
	v_mul_hi_u32 v3, v1, 24
	v_add_u32_e32 v3, v3, v2
	v_mul_lo_u32 v2, v1, 24
	s_waitcnt vmcnt(0)
	v_lshl_add_u64 v[2:3], v[4:5], 0, v[2:3]
	global_load_dwordx2 v[4:5], v[2:3], off sc0 sc1
	s_waitcnt vmcnt(0)
	global_atomic_cmpswap_x2 v[4:5], v0, v[4:7], s[42:43] offset:24 sc0 sc1
	s_waitcnt vmcnt(0)
	buffer_inv sc0 sc1
	v_cmp_ne_u64_e32 vcc, v[4:5], v[6:7]
	s_and_saveexec_b64 s[6:7], vcc
	s_cbranch_execz .LBB9_1176
; %bb.1173:
	s_mov_b64 s[10:11], 0
.LBB9_1174:                             ; =>This Inner Loop Header: Depth=1
	s_sleep 1
	global_load_dwordx2 v[2:3], v0, s[42:43] offset:40
	global_load_dwordx2 v[8:9], v0, s[42:43]
	v_mov_b64_e32 v[6:7], v[4:5]
	s_waitcnt vmcnt(1)
	v_and_b32_e32 v2, v2, v6
	v_and_b32_e32 v1, v3, v7
	s_waitcnt vmcnt(0)
	v_mad_u64_u32 v[2:3], s[16:17], v2, 24, v[8:9]
	v_mov_b32_e32 v4, v3
	v_mad_u64_u32 v[4:5], s[16:17], v1, 24, v[4:5]
	v_mov_b32_e32 v3, v4
	global_load_dwordx2 v[4:5], v[2:3], off sc0 sc1
	s_waitcnt vmcnt(0)
	global_atomic_cmpswap_x2 v[4:5], v0, v[4:7], s[42:43] offset:24 sc0 sc1
	s_waitcnt vmcnt(0)
	buffer_inv sc0 sc1
	v_cmp_eq_u64_e32 vcc, v[4:5], v[6:7]
	s_or_b64 s[10:11], vcc, s[10:11]
	s_andn2_b64 exec, exec, s[10:11]
	s_cbranch_execnz .LBB9_1174
; %bb.1175:
	s_or_b64 exec, exec, s[10:11]
.LBB9_1176:
	s_or_b64 exec, exec, s[6:7]
.LBB9_1177:
	s_or_b64 exec, exec, s[4:5]
	v_mov_b32_e32 v37, 0
	global_load_dwordx2 v[6:7], v37, s[42:43] offset:40
	global_load_dwordx4 v[0:3], v37, s[42:43]
	v_readfirstlane_b32 s4, v4
	v_readfirstlane_b32 s5, v5
	s_mov_b64 s[6:7], exec
	s_waitcnt vmcnt(1)
	v_readfirstlane_b32 s10, v6
	v_readfirstlane_b32 s11, v7
	s_and_b64 s[10:11], s[4:5], s[10:11]
	s_mul_i32 s15, s11, 24
	s_mul_hi_u32 s16, s10, 24
	s_add_i32 s17, s16, s15
	s_mul_i32 s16, s10, 24
	s_waitcnt vmcnt(0)
	v_lshl_add_u64 v[4:5], v[0:1], 0, s[16:17]
	s_and_saveexec_b64 s[16:17], s[0:1]
	s_cbranch_execz .LBB9_1179
; %bb.1178:
	v_mov_b64_e32 v[6:7], s[6:7]
	v_mov_b32_e32 v8, 2
	v_mov_b32_e32 v9, 1
	global_store_dwordx4 v[4:5], v[6:9], off offset:8
.LBB9_1179:
	s_or_b64 exec, exec, s[16:17]
	s_lshl_b64 s[6:7], s[10:11], 12
	v_lshl_add_u64 v[6:7], v[2:3], 0, s[6:7]
	s_mov_b32 s16, 0
	v_mov_b32_e32 v8, 33
	v_mov_b32_e32 v9, v37
	;; [unrolled: 1-line block ×4, first 2 shown]
	v_readfirstlane_b32 s6, v6
	v_readfirstlane_b32 s7, v7
	s_mov_b32 s17, s16
	s_mov_b32 s18, s16
	;; [unrolled: 1-line block ×3, first 2 shown]
	s_nop 1
	global_store_dwordx4 v36, v[8:11], s[6:7]
	s_nop 1
	v_mov_b64_e32 v[8:9], s[16:17]
	v_mov_b64_e32 v[10:11], s[18:19]
	global_store_dwordx4 v36, v[8:11], s[6:7] offset:16
	global_store_dwordx4 v36, v[8:11], s[6:7] offset:32
	;; [unrolled: 1-line block ×3, first 2 shown]
	s_and_saveexec_b64 s[6:7], s[0:1]
	s_cbranch_execz .LBB9_1187
; %bb.1180:
	v_mov_b32_e32 v10, 0
	global_load_dwordx2 v[14:15], v10, s[42:43] offset:32 sc0 sc1
	global_load_dwordx2 v[2:3], v10, s[42:43] offset:40
	v_mov_b32_e32 v12, s4
	v_mov_b32_e32 v13, s5
	s_waitcnt vmcnt(0)
	v_readfirstlane_b32 s10, v2
	v_readfirstlane_b32 s11, v3
	s_and_b64 s[10:11], s[10:11], s[4:5]
	s_mul_i32 s11, s11, 24
	s_mul_hi_u32 s15, s10, 24
	s_mul_i32 s10, s10, 24
	s_add_i32 s11, s15, s11
	v_lshl_add_u64 v[8:9], v[0:1], 0, s[10:11]
	global_store_dwordx2 v[8:9], v[14:15], off
	buffer_wbl2 sc0 sc1
	s_waitcnt vmcnt(0)
	global_atomic_cmpswap_x2 v[2:3], v10, v[12:15], s[42:43] offset:32 sc0 sc1
	s_waitcnt vmcnt(0)
	v_cmp_ne_u64_e32 vcc, v[2:3], v[14:15]
	s_and_saveexec_b64 s[10:11], vcc
	s_cbranch_execz .LBB9_1183
; %bb.1181:
	s_mov_b64 s[16:17], 0
.LBB9_1182:                             ; =>This Inner Loop Header: Depth=1
	s_sleep 1
	global_store_dwordx2 v[8:9], v[2:3], off
	v_mov_b32_e32 v0, s4
	v_mov_b32_e32 v1, s5
	buffer_wbl2 sc0 sc1
	s_waitcnt vmcnt(0)
	global_atomic_cmpswap_x2 v[0:1], v10, v[0:3], s[42:43] offset:32 sc0 sc1
	s_waitcnt vmcnt(0)
	v_cmp_eq_u64_e32 vcc, v[0:1], v[2:3]
	s_or_b64 s[16:17], vcc, s[16:17]
	v_mov_b64_e32 v[2:3], v[0:1]
	s_andn2_b64 exec, exec, s[16:17]
	s_cbranch_execnz .LBB9_1182
.LBB9_1183:
	s_or_b64 exec, exec, s[10:11]
	v_mov_b32_e32 v3, 0
	global_load_dwordx2 v[0:1], v3, s[42:43] offset:16
	s_mov_b64 s[10:11], exec
	v_mbcnt_lo_u32_b32 v2, s10, 0
	v_mbcnt_hi_u32_b32 v2, s11, v2
	v_cmp_eq_u32_e32 vcc, 0, v2
	s_and_saveexec_b64 s[16:17], vcc
	s_cbranch_execz .LBB9_1185
; %bb.1184:
	s_bcnt1_i32_b64 s10, s[10:11]
	v_mov_b32_e32 v2, s10
	buffer_wbl2 sc0 sc1
	s_waitcnt vmcnt(0)
	global_atomic_add_x2 v[0:1], v[2:3], off offset:8 sc1
.LBB9_1185:
	s_or_b64 exec, exec, s[16:17]
	s_waitcnt vmcnt(0)
	global_load_dwordx2 v[2:3], v[0:1], off offset:16
	s_waitcnt vmcnt(0)
	v_cmp_eq_u64_e32 vcc, 0, v[2:3]
	s_cbranch_vccnz .LBB9_1187
; %bb.1186:
	global_load_dword v0, v[0:1], off offset:24
	v_mov_b32_e32 v1, 0
	buffer_wbl2 sc0 sc1
	s_waitcnt vmcnt(0)
	global_store_dwordx2 v[2:3], v[0:1], off sc0 sc1
	v_and_b32_e32 v0, 0xffffff, v0
	s_nop 0
	v_readfirstlane_b32 m0, v0
	s_sendmsg sendmsg(MSG_INTERRUPT)
.LBB9_1187:
	s_or_b64 exec, exec, s[6:7]
	v_lshl_add_u64 v[0:1], v[6:7], 0, v[36:37]
	s_branch .LBB9_1191
.LBB9_1188:                             ;   in Loop: Header=BB9_1191 Depth=1
	s_or_b64 exec, exec, s[6:7]
	v_readfirstlane_b32 s6, v2
	s_cmp_eq_u32 s6, 0
	s_cbranch_scc1 .LBB9_1190
; %bb.1189:                             ;   in Loop: Header=BB9_1191 Depth=1
	s_sleep 1
	s_cbranch_execnz .LBB9_1191
	s_branch .LBB9_1193
.LBB9_1190:
	s_branch .LBB9_1193
.LBB9_1191:                             ; =>This Inner Loop Header: Depth=1
	v_mov_b32_e32 v2, 1
	s_and_saveexec_b64 s[6:7], s[0:1]
	s_cbranch_execz .LBB9_1188
; %bb.1192:                             ;   in Loop: Header=BB9_1191 Depth=1
	global_load_dword v2, v[4:5], off offset:20 sc0 sc1
	s_waitcnt vmcnt(0)
	buffer_inv sc0 sc1
	v_and_b32_e32 v2, 1, v2
	s_branch .LBB9_1188
.LBB9_1193:
	global_load_dwordx2 v[0:1], v[0:1], off
	s_and_saveexec_b64 s[6:7], s[0:1]
	s_cbranch_execz .LBB9_1196
; %bb.1194:
	v_mov_b32_e32 v8, 0
	global_load_dwordx2 v[6:7], v8, s[42:43] offset:40
	global_load_dwordx2 v[10:11], v8, s[42:43] offset:24 sc0 sc1
	global_load_dwordx2 v[12:13], v8, s[42:43]
	s_mov_b64 s[0:1], 0
	s_waitcnt vmcnt(2)
	v_lshl_add_u64 v[2:3], v[6:7], 0, 1
	v_lshl_add_u64 v[14:15], v[2:3], 0, s[4:5]
	v_cmp_eq_u64_e32 vcc, 0, v[14:15]
	s_waitcnt vmcnt(1)
	v_mov_b32_e32 v4, v10
	v_cndmask_b32_e32 v3, v15, v3, vcc
	v_cndmask_b32_e32 v2, v14, v2, vcc
	v_and_b32_e32 v5, v3, v7
	v_and_b32_e32 v6, v2, v6
	v_mul_lo_u32 v5, v5, 24
	v_mul_hi_u32 v7, v6, 24
	v_mul_lo_u32 v6, v6, 24
	v_add_u32_e32 v7, v7, v5
	s_waitcnt vmcnt(0)
	v_lshl_add_u64 v[6:7], v[12:13], 0, v[6:7]
	global_store_dwordx2 v[6:7], v[10:11], off
	v_mov_b32_e32 v5, v11
	buffer_wbl2 sc0 sc1
	s_waitcnt vmcnt(0)
	global_atomic_cmpswap_x2 v[4:5], v8, v[2:5], s[42:43] offset:24 sc0 sc1
	s_waitcnt vmcnt(0)
	v_cmp_ne_u64_e32 vcc, v[4:5], v[10:11]
	s_and_b64 exec, exec, vcc
	s_cbranch_execz .LBB9_1196
.LBB9_1195:                             ; =>This Inner Loop Header: Depth=1
	s_sleep 1
	global_store_dwordx2 v[6:7], v[4:5], off
	buffer_wbl2 sc0 sc1
	s_waitcnt vmcnt(0)
	global_atomic_cmpswap_x2 v[10:11], v8, v[2:5], s[42:43] offset:24 sc0 sc1
	s_waitcnt vmcnt(0)
	v_cmp_eq_u64_e32 vcc, v[10:11], v[4:5]
	s_or_b64 s[0:1], vcc, s[0:1]
	v_mov_b64_e32 v[4:5], v[10:11]
	s_andn2_b64 exec, exec, s[0:1]
	s_cbranch_execnz .LBB9_1195
.LBB9_1196:
	s_or_b64 exec, exec, s[6:7]
	s_and_b64 vcc, exec, s[44:45]
	s_cbranch_vccz .LBB9_1281
; %bb.1197:
	s_waitcnt vmcnt(0)
	v_and_b32_e32 v28, 2, v0
	v_mov_b32_e32 v31, 0
	v_and_b32_e32 v2, -3, v0
	v_mov_b32_e32 v3, v1
	s_mov_b64 s[6:7], 3
	v_mov_b32_e32 v6, 2
	v_mov_b32_e32 v7, 1
	s_getpc_b64 s[4:5]
	s_add_u32 s4, s4, .str.6@rel32@lo+4
	s_addc_u32 s5, s5, .str.6@rel32@hi+12
	s_branch .LBB9_1199
.LBB9_1198:                             ;   in Loop: Header=BB9_1199 Depth=1
	s_or_b64 exec, exec, s[18:19]
	s_sub_u32 s6, s6, s10
	s_subb_u32 s7, s7, s11
	s_add_u32 s4, s4, s10
	s_addc_u32 s5, s5, s11
	s_cmp_lg_u64 s[6:7], 0
	s_cbranch_scc0 .LBB9_1280
.LBB9_1199:                             ; =>This Loop Header: Depth=1
                                        ;     Child Loop BB9_1202 Depth 2
                                        ;     Child Loop BB9_1209 Depth 2
	;; [unrolled: 1-line block ×11, first 2 shown]
	v_cmp_lt_u64_e64 s[0:1], s[6:7], 56
	s_and_b64 s[0:1], s[0:1], exec
	v_cmp_gt_u64_e64 s[0:1], s[6:7], 7
	s_cselect_b32 s11, s7, 0
	s_cselect_b32 s10, s6, 56
	s_and_b64 vcc, exec, s[0:1]
	s_cbranch_vccnz .LBB9_1204
; %bb.1200:                             ;   in Loop: Header=BB9_1199 Depth=1
	s_mov_b64 s[0:1], 0
	s_cmp_eq_u64 s[6:7], 0
	v_mov_b64_e32 v[10:11], 0
	s_cbranch_scc1 .LBB9_1203
; %bb.1201:                             ;   in Loop: Header=BB9_1199 Depth=1
	s_lshl_b64 s[16:17], s[10:11], 3
	s_mov_b64 s[18:19], 0
	v_mov_b64_e32 v[10:11], 0
	s_mov_b64 s[20:21], s[4:5]
.LBB9_1202:                             ;   Parent Loop BB9_1199 Depth=1
                                        ; =>  This Inner Loop Header: Depth=2
	global_load_ubyte v4, v31, s[20:21]
	s_waitcnt vmcnt(0)
	v_and_b32_e32 v30, 0xffff, v4
	v_lshlrev_b64 v[4:5], s18, v[30:31]
	s_add_u32 s18, s18, 8
	s_addc_u32 s19, s19, 0
	s_add_u32 s20, s20, 1
	s_addc_u32 s21, s21, 0
	v_or_b32_e32 v10, v4, v10
	s_cmp_lg_u32 s16, s18
	v_or_b32_e32 v11, v5, v11
	s_cbranch_scc1 .LBB9_1202
.LBB9_1203:                             ;   in Loop: Header=BB9_1199 Depth=1
	s_mov_b32 s15, 0
	s_andn2_b64 vcc, exec, s[0:1]
	s_mov_b64 s[0:1], s[4:5]
	s_cbranch_vccz .LBB9_1205
	s_branch .LBB9_1206
.LBB9_1204:                             ;   in Loop: Header=BB9_1199 Depth=1
                                        ; implicit-def: $vgpr10_vgpr11
                                        ; implicit-def: $sgpr15
	s_mov_b64 s[0:1], s[4:5]
.LBB9_1205:                             ;   in Loop: Header=BB9_1199 Depth=1
	global_load_dwordx2 v[10:11], v31, s[4:5]
	s_add_i32 s15, s10, -8
	s_add_u32 s0, s4, 8
	s_addc_u32 s1, s5, 0
.LBB9_1206:                             ;   in Loop: Header=BB9_1199 Depth=1
	s_cmp_gt_u32 s15, 7
	s_cbranch_scc1 .LBB9_1210
; %bb.1207:                             ;   in Loop: Header=BB9_1199 Depth=1
	s_cmp_eq_u32 s15, 0
	s_cbranch_scc1 .LBB9_1211
; %bb.1208:                             ;   in Loop: Header=BB9_1199 Depth=1
	s_mov_b64 s[16:17], 0
	v_mov_b64_e32 v[12:13], 0
	s_mov_b64 s[18:19], 0
.LBB9_1209:                             ;   Parent Loop BB9_1199 Depth=1
                                        ; =>  This Inner Loop Header: Depth=2
	s_add_u32 s20, s0, s18
	s_addc_u32 s21, s1, s19
	global_load_ubyte v4, v31, s[20:21]
	s_add_u32 s18, s18, 1
	s_addc_u32 s19, s19, 0
	s_waitcnt vmcnt(0)
	v_and_b32_e32 v30, 0xffff, v4
	v_lshlrev_b64 v[4:5], s16, v[30:31]
	s_add_u32 s16, s16, 8
	s_addc_u32 s17, s17, 0
	v_or_b32_e32 v12, v4, v12
	s_cmp_lg_u32 s15, s18
	v_or_b32_e32 v13, v5, v13
	s_cbranch_scc1 .LBB9_1209
	s_branch .LBB9_1212
.LBB9_1210:                             ;   in Loop: Header=BB9_1199 Depth=1
                                        ; implicit-def: $vgpr12_vgpr13
                                        ; implicit-def: $sgpr20
	s_branch .LBB9_1213
.LBB9_1211:                             ;   in Loop: Header=BB9_1199 Depth=1
	v_mov_b64_e32 v[12:13], 0
.LBB9_1212:                             ;   in Loop: Header=BB9_1199 Depth=1
	s_mov_b32 s20, 0
	s_cbranch_execnz .LBB9_1214
.LBB9_1213:                             ;   in Loop: Header=BB9_1199 Depth=1
	global_load_dwordx2 v[12:13], v31, s[0:1]
	s_add_i32 s20, s15, -8
	s_add_u32 s0, s0, 8
	s_addc_u32 s1, s1, 0
.LBB9_1214:                             ;   in Loop: Header=BB9_1199 Depth=1
	s_cmp_gt_u32 s20, 7
	s_cbranch_scc1 .LBB9_1218
; %bb.1215:                             ;   in Loop: Header=BB9_1199 Depth=1
	s_cmp_eq_u32 s20, 0
	s_cbranch_scc1 .LBB9_1219
; %bb.1216:                             ;   in Loop: Header=BB9_1199 Depth=1
	s_mov_b64 s[16:17], 0
	v_mov_b64_e32 v[14:15], 0
	s_mov_b64 s[18:19], 0
.LBB9_1217:                             ;   Parent Loop BB9_1199 Depth=1
                                        ; =>  This Inner Loop Header: Depth=2
	s_add_u32 s22, s0, s18
	s_addc_u32 s23, s1, s19
	global_load_ubyte v4, v31, s[22:23]
	s_add_u32 s18, s18, 1
	s_addc_u32 s19, s19, 0
	s_waitcnt vmcnt(0)
	v_and_b32_e32 v30, 0xffff, v4
	v_lshlrev_b64 v[4:5], s16, v[30:31]
	s_add_u32 s16, s16, 8
	s_addc_u32 s17, s17, 0
	v_or_b32_e32 v14, v4, v14
	s_cmp_lg_u32 s20, s18
	v_or_b32_e32 v15, v5, v15
	s_cbranch_scc1 .LBB9_1217
	s_branch .LBB9_1220
.LBB9_1218:                             ;   in Loop: Header=BB9_1199 Depth=1
                                        ; implicit-def: $sgpr15
	s_branch .LBB9_1221
.LBB9_1219:                             ;   in Loop: Header=BB9_1199 Depth=1
	v_mov_b64_e32 v[14:15], 0
.LBB9_1220:                             ;   in Loop: Header=BB9_1199 Depth=1
	s_mov_b32 s15, 0
	s_cbranch_execnz .LBB9_1222
.LBB9_1221:                             ;   in Loop: Header=BB9_1199 Depth=1
	global_load_dwordx2 v[14:15], v31, s[0:1]
	s_add_i32 s15, s20, -8
	s_add_u32 s0, s0, 8
	s_addc_u32 s1, s1, 0
.LBB9_1222:                             ;   in Loop: Header=BB9_1199 Depth=1
	s_cmp_gt_u32 s15, 7
	s_cbranch_scc1 .LBB9_1226
; %bb.1223:                             ;   in Loop: Header=BB9_1199 Depth=1
	s_cmp_eq_u32 s15, 0
	s_cbranch_scc1 .LBB9_1227
; %bb.1224:                             ;   in Loop: Header=BB9_1199 Depth=1
	s_mov_b64 s[16:17], 0
	v_mov_b64_e32 v[16:17], 0
	s_mov_b64 s[18:19], 0
.LBB9_1225:                             ;   Parent Loop BB9_1199 Depth=1
                                        ; =>  This Inner Loop Header: Depth=2
	s_add_u32 s20, s0, s18
	s_addc_u32 s21, s1, s19
	global_load_ubyte v4, v31, s[20:21]
	s_add_u32 s18, s18, 1
	s_addc_u32 s19, s19, 0
	s_waitcnt vmcnt(0)
	v_and_b32_e32 v30, 0xffff, v4
	v_lshlrev_b64 v[4:5], s16, v[30:31]
	s_add_u32 s16, s16, 8
	s_addc_u32 s17, s17, 0
	v_or_b32_e32 v16, v4, v16
	s_cmp_lg_u32 s15, s18
	v_or_b32_e32 v17, v5, v17
	s_cbranch_scc1 .LBB9_1225
	s_branch .LBB9_1228
.LBB9_1226:                             ;   in Loop: Header=BB9_1199 Depth=1
                                        ; implicit-def: $vgpr16_vgpr17
                                        ; implicit-def: $sgpr20
	s_branch .LBB9_1229
.LBB9_1227:                             ;   in Loop: Header=BB9_1199 Depth=1
	v_mov_b64_e32 v[16:17], 0
.LBB9_1228:                             ;   in Loop: Header=BB9_1199 Depth=1
	s_mov_b32 s20, 0
	s_cbranch_execnz .LBB9_1230
.LBB9_1229:                             ;   in Loop: Header=BB9_1199 Depth=1
	global_load_dwordx2 v[16:17], v31, s[0:1]
	s_add_i32 s20, s15, -8
	s_add_u32 s0, s0, 8
	s_addc_u32 s1, s1, 0
.LBB9_1230:                             ;   in Loop: Header=BB9_1199 Depth=1
	s_cmp_gt_u32 s20, 7
	s_cbranch_scc1 .LBB9_1234
; %bb.1231:                             ;   in Loop: Header=BB9_1199 Depth=1
	s_cmp_eq_u32 s20, 0
	s_cbranch_scc1 .LBB9_1235
; %bb.1232:                             ;   in Loop: Header=BB9_1199 Depth=1
	s_mov_b64 s[16:17], 0
	v_mov_b64_e32 v[18:19], 0
	s_mov_b64 s[18:19], 0
.LBB9_1233:                             ;   Parent Loop BB9_1199 Depth=1
                                        ; =>  This Inner Loop Header: Depth=2
	s_add_u32 s22, s0, s18
	s_addc_u32 s23, s1, s19
	global_load_ubyte v4, v31, s[22:23]
	s_add_u32 s18, s18, 1
	s_addc_u32 s19, s19, 0
	s_waitcnt vmcnt(0)
	v_and_b32_e32 v30, 0xffff, v4
	v_lshlrev_b64 v[4:5], s16, v[30:31]
	s_add_u32 s16, s16, 8
	s_addc_u32 s17, s17, 0
	v_or_b32_e32 v18, v4, v18
	s_cmp_lg_u32 s20, s18
	v_or_b32_e32 v19, v5, v19
	s_cbranch_scc1 .LBB9_1233
	s_branch .LBB9_1236
.LBB9_1234:                             ;   in Loop: Header=BB9_1199 Depth=1
                                        ; implicit-def: $sgpr15
	s_branch .LBB9_1237
.LBB9_1235:                             ;   in Loop: Header=BB9_1199 Depth=1
	v_mov_b64_e32 v[18:19], 0
.LBB9_1236:                             ;   in Loop: Header=BB9_1199 Depth=1
	s_mov_b32 s15, 0
	s_cbranch_execnz .LBB9_1238
.LBB9_1237:                             ;   in Loop: Header=BB9_1199 Depth=1
	global_load_dwordx2 v[18:19], v31, s[0:1]
	s_add_i32 s15, s20, -8
	s_add_u32 s0, s0, 8
	s_addc_u32 s1, s1, 0
.LBB9_1238:                             ;   in Loop: Header=BB9_1199 Depth=1
	s_cmp_gt_u32 s15, 7
	s_cbranch_scc1 .LBB9_1242
; %bb.1239:                             ;   in Loop: Header=BB9_1199 Depth=1
	s_cmp_eq_u32 s15, 0
	s_cbranch_scc1 .LBB9_1243
; %bb.1240:                             ;   in Loop: Header=BB9_1199 Depth=1
	s_mov_b64 s[16:17], 0
	v_mov_b64_e32 v[20:21], 0
	s_mov_b64 s[18:19], 0
.LBB9_1241:                             ;   Parent Loop BB9_1199 Depth=1
                                        ; =>  This Inner Loop Header: Depth=2
	s_add_u32 s20, s0, s18
	s_addc_u32 s21, s1, s19
	global_load_ubyte v4, v31, s[20:21]
	s_add_u32 s18, s18, 1
	s_addc_u32 s19, s19, 0
	s_waitcnt vmcnt(0)
	v_and_b32_e32 v30, 0xffff, v4
	v_lshlrev_b64 v[4:5], s16, v[30:31]
	s_add_u32 s16, s16, 8
	s_addc_u32 s17, s17, 0
	v_or_b32_e32 v20, v4, v20
	s_cmp_lg_u32 s15, s18
	v_or_b32_e32 v21, v5, v21
	s_cbranch_scc1 .LBB9_1241
	s_branch .LBB9_1244
.LBB9_1242:                             ;   in Loop: Header=BB9_1199 Depth=1
                                        ; implicit-def: $vgpr20_vgpr21
                                        ; implicit-def: $sgpr20
	s_branch .LBB9_1245
.LBB9_1243:                             ;   in Loop: Header=BB9_1199 Depth=1
	v_mov_b64_e32 v[20:21], 0
.LBB9_1244:                             ;   in Loop: Header=BB9_1199 Depth=1
	s_mov_b32 s20, 0
	s_cbranch_execnz .LBB9_1246
.LBB9_1245:                             ;   in Loop: Header=BB9_1199 Depth=1
	global_load_dwordx2 v[20:21], v31, s[0:1]
	s_add_i32 s20, s15, -8
	s_add_u32 s0, s0, 8
	s_addc_u32 s1, s1, 0
.LBB9_1246:                             ;   in Loop: Header=BB9_1199 Depth=1
	s_cmp_gt_u32 s20, 7
	s_cbranch_scc1 .LBB9_1250
; %bb.1247:                             ;   in Loop: Header=BB9_1199 Depth=1
	s_cmp_eq_u32 s20, 0
	s_cbranch_scc1 .LBB9_1251
; %bb.1248:                             ;   in Loop: Header=BB9_1199 Depth=1
	s_mov_b64 s[16:17], 0
	v_mov_b64_e32 v[22:23], 0
	s_mov_b64 s[18:19], s[0:1]
.LBB9_1249:                             ;   Parent Loop BB9_1199 Depth=1
                                        ; =>  This Inner Loop Header: Depth=2
	global_load_ubyte v4, v31, s[18:19]
	s_add_i32 s20, s20, -1
	s_waitcnt vmcnt(0)
	v_and_b32_e32 v30, 0xffff, v4
	v_lshlrev_b64 v[4:5], s16, v[30:31]
	s_add_u32 s16, s16, 8
	s_addc_u32 s17, s17, 0
	s_add_u32 s18, s18, 1
	s_addc_u32 s19, s19, 0
	v_or_b32_e32 v22, v4, v22
	s_cmp_lg_u32 s20, 0
	v_or_b32_e32 v23, v5, v23
	s_cbranch_scc1 .LBB9_1249
	s_branch .LBB9_1252
.LBB9_1250:                             ;   in Loop: Header=BB9_1199 Depth=1
	s_branch .LBB9_1253
.LBB9_1251:                             ;   in Loop: Header=BB9_1199 Depth=1
	v_mov_b64_e32 v[22:23], 0
.LBB9_1252:                             ;   in Loop: Header=BB9_1199 Depth=1
	s_cbranch_execnz .LBB9_1254
.LBB9_1253:                             ;   in Loop: Header=BB9_1199 Depth=1
	global_load_dwordx2 v[22:23], v31, s[0:1]
.LBB9_1254:                             ;   in Loop: Header=BB9_1199 Depth=1
	v_readfirstlane_b32 s0, v47
	s_waitcnt vmcnt(0)
	v_mov_b64_e32 v[4:5], 0
	v_cmp_eq_u32_e64 s[0:1], s0, v47
	s_and_saveexec_b64 s[16:17], s[0:1]
	s_cbranch_execz .LBB9_1260
; %bb.1255:                             ;   in Loop: Header=BB9_1199 Depth=1
	global_load_dwordx2 v[26:27], v31, s[42:43] offset:24 sc0 sc1
	s_waitcnt vmcnt(0)
	buffer_inv sc0 sc1
	global_load_dwordx2 v[4:5], v31, s[42:43] offset:40
	global_load_dwordx2 v[8:9], v31, s[42:43]
	s_waitcnt vmcnt(1)
	v_and_b32_e32 v4, v4, v26
	v_and_b32_e32 v5, v5, v27
	v_mul_lo_u32 v5, v5, 24
	v_mul_hi_u32 v24, v4, 24
	v_add_u32_e32 v5, v24, v5
	v_mul_lo_u32 v4, v4, 24
	s_waitcnt vmcnt(0)
	v_lshl_add_u64 v[4:5], v[8:9], 0, v[4:5]
	global_load_dwordx2 v[24:25], v[4:5], off sc0 sc1
	s_waitcnt vmcnt(0)
	global_atomic_cmpswap_x2 v[4:5], v31, v[24:27], s[42:43] offset:24 sc0 sc1
	s_waitcnt vmcnt(0)
	buffer_inv sc0 sc1
	v_cmp_ne_u64_e32 vcc, v[4:5], v[26:27]
	s_and_saveexec_b64 s[18:19], vcc
	s_cbranch_execz .LBB9_1259
; %bb.1256:                             ;   in Loop: Header=BB9_1199 Depth=1
	s_mov_b64 s[20:21], 0
.LBB9_1257:                             ;   Parent Loop BB9_1199 Depth=1
                                        ; =>  This Inner Loop Header: Depth=2
	s_sleep 1
	global_load_dwordx2 v[8:9], v31, s[42:43] offset:40
	global_load_dwordx2 v[24:25], v31, s[42:43]
	v_mov_b64_e32 v[26:27], v[4:5]
	s_waitcnt vmcnt(1)
	v_and_b32_e32 v4, v8, v26
	s_waitcnt vmcnt(0)
	v_mad_u64_u32 v[4:5], s[22:23], v4, 24, v[24:25]
	v_and_b32_e32 v9, v9, v27
	v_mov_b32_e32 v8, v5
	v_mad_u64_u32 v[8:9], s[22:23], v9, 24, v[8:9]
	v_mov_b32_e32 v5, v8
	global_load_dwordx2 v[24:25], v[4:5], off sc0 sc1
	s_waitcnt vmcnt(0)
	global_atomic_cmpswap_x2 v[4:5], v31, v[24:27], s[42:43] offset:24 sc0 sc1
	s_waitcnt vmcnt(0)
	buffer_inv sc0 sc1
	v_cmp_eq_u64_e32 vcc, v[4:5], v[26:27]
	s_or_b64 s[20:21], vcc, s[20:21]
	s_andn2_b64 exec, exec, s[20:21]
	s_cbranch_execnz .LBB9_1257
; %bb.1258:                             ;   in Loop: Header=BB9_1199 Depth=1
	s_or_b64 exec, exec, s[20:21]
.LBB9_1259:                             ;   in Loop: Header=BB9_1199 Depth=1
	s_or_b64 exec, exec, s[18:19]
.LBB9_1260:                             ;   in Loop: Header=BB9_1199 Depth=1
	s_or_b64 exec, exec, s[16:17]
	global_load_dwordx2 v[8:9], v31, s[42:43] offset:40
	global_load_dwordx4 v[24:27], v31, s[42:43]
	v_readfirstlane_b32 s16, v4
	v_readfirstlane_b32 s17, v5
	s_mov_b64 s[18:19], exec
	s_waitcnt vmcnt(1)
	v_readfirstlane_b32 s20, v8
	v_readfirstlane_b32 s21, v9
	s_and_b64 s[20:21], s[16:17], s[20:21]
	s_mul_i32 s15, s21, 24
	s_mul_hi_u32 s22, s20, 24
	s_add_i32 s23, s22, s15
	s_mul_i32 s22, s20, 24
	s_waitcnt vmcnt(0)
	v_lshl_add_u64 v[32:33], v[24:25], 0, s[22:23]
	s_and_saveexec_b64 s[22:23], s[0:1]
	s_cbranch_execz .LBB9_1262
; %bb.1261:                             ;   in Loop: Header=BB9_1199 Depth=1
	v_mov_b64_e32 v[4:5], s[18:19]
	global_store_dwordx4 v[32:33], v[4:7], off offset:8
.LBB9_1262:                             ;   in Loop: Header=BB9_1199 Depth=1
	s_or_b64 exec, exec, s[22:23]
	s_nop 0
	v_or_b32_e32 v5, v2, v28
	v_cmp_gt_u64_e64 vcc, s[6:7], 56
	s_lshl_b32 s15, s10, 2
	s_lshl_b64 s[18:19], s[20:21], 12
	v_cndmask_b32_e32 v2, v5, v2, vcc
	s_add_i32 s15, s15, 28
	v_lshl_add_u64 v[26:27], v[26:27], 0, s[18:19]
	v_or_b32_e32 v4, 0, v3
	s_and_b32 s15, s15, 0x1e0
	v_and_b32_e32 v2, 0xffffff1f, v2
	v_cndmask_b32_e32 v9, v4, v3, vcc
	v_or_b32_e32 v8, s15, v2
	v_readfirstlane_b32 s18, v26
	v_readfirstlane_b32 s19, v27
	s_nop 4
	global_store_dwordx4 v36, v[8:11], s[18:19]
	global_store_dwordx4 v36, v[12:15], s[18:19] offset:16
	global_store_dwordx4 v36, v[16:19], s[18:19] offset:32
	;; [unrolled: 1-line block ×3, first 2 shown]
	s_and_saveexec_b64 s[18:19], s[0:1]
	s_cbranch_execz .LBB9_1270
; %bb.1263:                             ;   in Loop: Header=BB9_1199 Depth=1
	global_load_dwordx2 v[12:13], v31, s[42:43] offset:32 sc0 sc1
	global_load_dwordx2 v[2:3], v31, s[42:43] offset:40
	v_mov_b32_e32 v10, s16
	v_mov_b32_e32 v11, s17
	s_waitcnt vmcnt(0)
	v_readfirstlane_b32 s20, v2
	v_readfirstlane_b32 s21, v3
	s_and_b64 s[20:21], s[20:21], s[16:17]
	s_mul_i32 s15, s21, 24
	s_mul_hi_u32 s21, s20, 24
	s_mul_i32 s20, s20, 24
	s_add_i32 s21, s21, s15
	v_lshl_add_u64 v[8:9], v[24:25], 0, s[20:21]
	global_store_dwordx2 v[8:9], v[12:13], off
	buffer_wbl2 sc0 sc1
	s_waitcnt vmcnt(0)
	global_atomic_cmpswap_x2 v[4:5], v31, v[10:13], s[42:43] offset:32 sc0 sc1
	s_waitcnt vmcnt(0)
	v_cmp_ne_u64_e32 vcc, v[4:5], v[12:13]
	s_and_saveexec_b64 s[20:21], vcc
	s_cbranch_execz .LBB9_1266
; %bb.1264:                             ;   in Loop: Header=BB9_1199 Depth=1
	s_mov_b64 s[22:23], 0
.LBB9_1265:                             ;   Parent Loop BB9_1199 Depth=1
                                        ; =>  This Inner Loop Header: Depth=2
	s_sleep 1
	global_store_dwordx2 v[8:9], v[4:5], off
	v_mov_b32_e32 v2, s16
	v_mov_b32_e32 v3, s17
	buffer_wbl2 sc0 sc1
	s_waitcnt vmcnt(0)
	global_atomic_cmpswap_x2 v[2:3], v31, v[2:5], s[42:43] offset:32 sc0 sc1
	s_waitcnt vmcnt(0)
	v_cmp_eq_u64_e32 vcc, v[2:3], v[4:5]
	s_or_b64 s[22:23], vcc, s[22:23]
	v_mov_b64_e32 v[4:5], v[2:3]
	s_andn2_b64 exec, exec, s[22:23]
	s_cbranch_execnz .LBB9_1265
.LBB9_1266:                             ;   in Loop: Header=BB9_1199 Depth=1
	s_or_b64 exec, exec, s[20:21]
	global_load_dwordx2 v[2:3], v31, s[42:43] offset:16
	s_mov_b64 s[22:23], exec
	v_mbcnt_lo_u32_b32 v4, s22, 0
	v_mbcnt_hi_u32_b32 v4, s23, v4
	v_cmp_eq_u32_e32 vcc, 0, v4
	s_and_saveexec_b64 s[20:21], vcc
	s_cbranch_execz .LBB9_1268
; %bb.1267:                             ;   in Loop: Header=BB9_1199 Depth=1
	s_bcnt1_i32_b64 s15, s[22:23]
	v_mov_b32_e32 v30, s15
	buffer_wbl2 sc0 sc1
	s_waitcnt vmcnt(0)
	global_atomic_add_x2 v[2:3], v[30:31], off offset:8 sc1
.LBB9_1268:                             ;   in Loop: Header=BB9_1199 Depth=1
	s_or_b64 exec, exec, s[20:21]
	s_waitcnt vmcnt(0)
	global_load_dwordx2 v[4:5], v[2:3], off offset:16
	s_waitcnt vmcnt(0)
	v_cmp_eq_u64_e32 vcc, 0, v[4:5]
	s_cbranch_vccnz .LBB9_1270
; %bb.1269:                             ;   in Loop: Header=BB9_1199 Depth=1
	global_load_dword v30, v[2:3], off offset:24
	s_waitcnt vmcnt(0)
	v_and_b32_e32 v2, 0xffffff, v30
	s_nop 0
	v_readfirstlane_b32 m0, v2
	buffer_wbl2 sc0 sc1
	global_store_dwordx2 v[4:5], v[30:31], off sc0 sc1
	s_sendmsg sendmsg(MSG_INTERRUPT)
.LBB9_1270:                             ;   in Loop: Header=BB9_1199 Depth=1
	s_or_b64 exec, exec, s[18:19]
	v_mov_b32_e32 v37, v31
	v_lshl_add_u64 v[2:3], v[26:27], 0, v[36:37]
	s_branch .LBB9_1274
.LBB9_1271:                             ;   in Loop: Header=BB9_1274 Depth=2
	s_or_b64 exec, exec, s[18:19]
	v_readfirstlane_b32 s15, v4
	s_cmp_eq_u32 s15, 0
	s_cbranch_scc1 .LBB9_1273
; %bb.1272:                             ;   in Loop: Header=BB9_1274 Depth=2
	s_sleep 1
	s_cbranch_execnz .LBB9_1274
	s_branch .LBB9_1276
.LBB9_1273:                             ;   in Loop: Header=BB9_1199 Depth=1
	s_branch .LBB9_1276
.LBB9_1274:                             ;   Parent Loop BB9_1199 Depth=1
                                        ; =>  This Inner Loop Header: Depth=2
	v_mov_b32_e32 v4, 1
	s_and_saveexec_b64 s[18:19], s[0:1]
	s_cbranch_execz .LBB9_1271
; %bb.1275:                             ;   in Loop: Header=BB9_1274 Depth=2
	global_load_dword v4, v[32:33], off offset:20 sc0 sc1
	s_waitcnt vmcnt(0)
	buffer_inv sc0 sc1
	v_and_b32_e32 v4, 1, v4
	s_branch .LBB9_1271
.LBB9_1276:                             ;   in Loop: Header=BB9_1199 Depth=1
	global_load_dwordx4 v[2:5], v[2:3], off
	s_and_saveexec_b64 s[18:19], s[0:1]
	s_cbranch_execz .LBB9_1198
; %bb.1277:                             ;   in Loop: Header=BB9_1199 Depth=1
	global_load_dwordx2 v[4:5], v31, s[42:43] offset:40
	global_load_dwordx2 v[12:13], v31, s[42:43] offset:24 sc0 sc1
	global_load_dwordx2 v[14:15], v31, s[42:43]
	s_waitcnt vmcnt(2)
	v_lshl_add_u64 v[8:9], v[4:5], 0, 1
	v_lshl_add_u64 v[16:17], v[8:9], 0, s[16:17]
	v_cmp_eq_u64_e32 vcc, 0, v[16:17]
	s_waitcnt vmcnt(1)
	v_mov_b32_e32 v10, v12
	v_cndmask_b32_e32 v9, v17, v9, vcc
	v_cndmask_b32_e32 v8, v16, v8, vcc
	v_and_b32_e32 v5, v9, v5
	v_and_b32_e32 v4, v8, v4
	v_mul_lo_u32 v5, v5, 24
	v_mul_hi_u32 v11, v4, 24
	v_mul_lo_u32 v4, v4, 24
	v_add_u32_e32 v5, v11, v5
	s_waitcnt vmcnt(0)
	v_lshl_add_u64 v[4:5], v[14:15], 0, v[4:5]
	global_store_dwordx2 v[4:5], v[12:13], off
	v_mov_b32_e32 v11, v13
	buffer_wbl2 sc0 sc1
	s_waitcnt vmcnt(0)
	global_atomic_cmpswap_x2 v[10:11], v31, v[8:11], s[42:43] offset:24 sc0 sc1
	s_waitcnt vmcnt(0)
	v_cmp_ne_u64_e32 vcc, v[10:11], v[12:13]
	s_and_b64 exec, exec, vcc
	s_cbranch_execz .LBB9_1198
; %bb.1278:                             ;   in Loop: Header=BB9_1199 Depth=1
	s_mov_b64 s[0:1], 0
.LBB9_1279:                             ;   Parent Loop BB9_1199 Depth=1
                                        ; =>  This Inner Loop Header: Depth=2
	s_sleep 1
	global_store_dwordx2 v[4:5], v[10:11], off
	buffer_wbl2 sc0 sc1
	s_waitcnt vmcnt(0)
	global_atomic_cmpswap_x2 v[12:13], v31, v[8:11], s[42:43] offset:24 sc0 sc1
	s_waitcnt vmcnt(0)
	v_cmp_eq_u64_e32 vcc, v[12:13], v[10:11]
	s_or_b64 s[0:1], vcc, s[0:1]
	v_mov_b64_e32 v[10:11], v[12:13]
	s_andn2_b64 exec, exec, s[0:1]
	s_cbranch_execnz .LBB9_1279
	s_branch .LBB9_1198
.LBB9_1280:
	s_branch .LBB9_1308
.LBB9_1281:
                                        ; implicit-def: $vgpr2_vgpr3
	s_cbranch_execz .LBB9_1308
; %bb.1282:
	v_readfirstlane_b32 s0, v47
	s_waitcnt vmcnt(0)
	v_mov_b64_e32 v[2:3], 0
	v_cmp_eq_u32_e64 s[0:1], s0, v47
	s_and_saveexec_b64 s[4:5], s[0:1]
	s_cbranch_execz .LBB9_1288
; %bb.1283:
	v_mov_b32_e32 v4, 0
	global_load_dwordx2 v[8:9], v4, s[42:43] offset:24 sc0 sc1
	s_waitcnt vmcnt(0)
	buffer_inv sc0 sc1
	global_load_dwordx2 v[2:3], v4, s[42:43] offset:40
	global_load_dwordx2 v[6:7], v4, s[42:43]
	s_waitcnt vmcnt(1)
	v_and_b32_e32 v2, v2, v8
	v_and_b32_e32 v3, v3, v9
	v_mul_lo_u32 v3, v3, 24
	v_mul_hi_u32 v5, v2, 24
	v_add_u32_e32 v3, v5, v3
	v_mul_lo_u32 v2, v2, 24
	s_waitcnt vmcnt(0)
	v_lshl_add_u64 v[2:3], v[6:7], 0, v[2:3]
	global_load_dwordx2 v[6:7], v[2:3], off sc0 sc1
	s_waitcnt vmcnt(0)
	global_atomic_cmpswap_x2 v[2:3], v4, v[6:9], s[42:43] offset:24 sc0 sc1
	s_waitcnt vmcnt(0)
	buffer_inv sc0 sc1
	v_cmp_ne_u64_e32 vcc, v[2:3], v[8:9]
	s_and_saveexec_b64 s[6:7], vcc
	s_cbranch_execz .LBB9_1287
; %bb.1284:
	s_mov_b64 s[10:11], 0
.LBB9_1285:                             ; =>This Inner Loop Header: Depth=1
	s_sleep 1
	global_load_dwordx2 v[6:7], v4, s[42:43] offset:40
	global_load_dwordx2 v[10:11], v4, s[42:43]
	v_mov_b64_e32 v[8:9], v[2:3]
	s_waitcnt vmcnt(1)
	v_and_b32_e32 v2, v6, v8
	s_waitcnt vmcnt(0)
	v_mad_u64_u32 v[2:3], s[16:17], v2, 24, v[10:11]
	v_and_b32_e32 v5, v7, v9
	v_mov_b32_e32 v6, v3
	v_mad_u64_u32 v[6:7], s[16:17], v5, 24, v[6:7]
	v_mov_b32_e32 v3, v6
	global_load_dwordx2 v[6:7], v[2:3], off sc0 sc1
	s_waitcnt vmcnt(0)
	global_atomic_cmpswap_x2 v[2:3], v4, v[6:9], s[42:43] offset:24 sc0 sc1
	s_waitcnt vmcnt(0)
	buffer_inv sc0 sc1
	v_cmp_eq_u64_e32 vcc, v[2:3], v[8:9]
	s_or_b64 s[10:11], vcc, s[10:11]
	s_andn2_b64 exec, exec, s[10:11]
	s_cbranch_execnz .LBB9_1285
; %bb.1286:
	s_or_b64 exec, exec, s[10:11]
.LBB9_1287:
	s_or_b64 exec, exec, s[6:7]
.LBB9_1288:
	s_or_b64 exec, exec, s[4:5]
	v_mov_b32_e32 v37, 0
	global_load_dwordx2 v[8:9], v37, s[42:43] offset:40
	global_load_dwordx4 v[4:7], v37, s[42:43]
	v_readfirstlane_b32 s4, v2
	v_readfirstlane_b32 s5, v3
	s_mov_b64 s[6:7], exec
	s_waitcnt vmcnt(1)
	v_readfirstlane_b32 s10, v8
	v_readfirstlane_b32 s11, v9
	s_and_b64 s[10:11], s[4:5], s[10:11]
	s_mul_i32 s15, s11, 24
	s_mul_hi_u32 s16, s10, 24
	s_add_i32 s17, s16, s15
	s_mul_i32 s16, s10, 24
	s_waitcnt vmcnt(0)
	v_lshl_add_u64 v[8:9], v[4:5], 0, s[16:17]
	s_and_saveexec_b64 s[16:17], s[0:1]
	s_cbranch_execz .LBB9_1290
; %bb.1289:
	v_mov_b64_e32 v[10:11], s[6:7]
	v_mov_b32_e32 v12, 2
	v_mov_b32_e32 v13, 1
	global_store_dwordx4 v[8:9], v[10:13], off offset:8
.LBB9_1290:
	s_or_b64 exec, exec, s[16:17]
	s_lshl_b64 s[6:7], s[10:11], 12
	v_lshl_add_u64 v[6:7], v[6:7], 0, s[6:7]
	s_movk_i32 s6, 0xff1f
	s_mov_b32 s16, 0
	v_and_or_b32 v0, v0, s6, 32
	v_mov_b32_e32 v2, v37
	v_mov_b32_e32 v3, v37
	v_readfirstlane_b32 s6, v6
	v_readfirstlane_b32 s7, v7
	s_mov_b32 s17, s16
	s_mov_b32 s18, s16
	;; [unrolled: 1-line block ×3, first 2 shown]
	s_nop 1
	global_store_dwordx4 v36, v[0:3], s[6:7]
	s_nop 1
	v_mov_b64_e32 v[0:1], s[16:17]
	v_mov_b64_e32 v[2:3], s[18:19]
	global_store_dwordx4 v36, v[0:3], s[6:7] offset:16
	global_store_dwordx4 v36, v[0:3], s[6:7] offset:32
	;; [unrolled: 1-line block ×3, first 2 shown]
	s_and_saveexec_b64 s[6:7], s[0:1]
	s_cbranch_execz .LBB9_1298
; %bb.1291:
	v_mov_b32_e32 v10, 0
	global_load_dwordx2 v[14:15], v10, s[42:43] offset:32 sc0 sc1
	global_load_dwordx2 v[0:1], v10, s[42:43] offset:40
	v_mov_b32_e32 v12, s4
	v_mov_b32_e32 v13, s5
	s_waitcnt vmcnt(0)
	v_readfirstlane_b32 s10, v0
	v_readfirstlane_b32 s11, v1
	s_and_b64 s[10:11], s[10:11], s[4:5]
	s_mul_i32 s11, s11, 24
	s_mul_hi_u32 s15, s10, 24
	s_mul_i32 s10, s10, 24
	s_add_i32 s11, s15, s11
	v_lshl_add_u64 v[4:5], v[4:5], 0, s[10:11]
	global_store_dwordx2 v[4:5], v[14:15], off
	buffer_wbl2 sc0 sc1
	s_waitcnt vmcnt(0)
	global_atomic_cmpswap_x2 v[2:3], v10, v[12:15], s[42:43] offset:32 sc0 sc1
	s_waitcnt vmcnt(0)
	v_cmp_ne_u64_e32 vcc, v[2:3], v[14:15]
	s_and_saveexec_b64 s[10:11], vcc
	s_cbranch_execz .LBB9_1294
; %bb.1292:
	s_mov_b64 s[16:17], 0
.LBB9_1293:                             ; =>This Inner Loop Header: Depth=1
	s_sleep 1
	global_store_dwordx2 v[4:5], v[2:3], off
	v_mov_b32_e32 v0, s4
	v_mov_b32_e32 v1, s5
	buffer_wbl2 sc0 sc1
	s_waitcnt vmcnt(0)
	global_atomic_cmpswap_x2 v[0:1], v10, v[0:3], s[42:43] offset:32 sc0 sc1
	s_waitcnt vmcnt(0)
	v_cmp_eq_u64_e32 vcc, v[0:1], v[2:3]
	s_or_b64 s[16:17], vcc, s[16:17]
	v_mov_b64_e32 v[2:3], v[0:1]
	s_andn2_b64 exec, exec, s[16:17]
	s_cbranch_execnz .LBB9_1293
.LBB9_1294:
	s_or_b64 exec, exec, s[10:11]
	v_mov_b32_e32 v3, 0
	global_load_dwordx2 v[0:1], v3, s[42:43] offset:16
	s_mov_b64 s[10:11], exec
	v_mbcnt_lo_u32_b32 v2, s10, 0
	v_mbcnt_hi_u32_b32 v2, s11, v2
	v_cmp_eq_u32_e32 vcc, 0, v2
	s_and_saveexec_b64 s[16:17], vcc
	s_cbranch_execz .LBB9_1296
; %bb.1295:
	s_bcnt1_i32_b64 s10, s[10:11]
	v_mov_b32_e32 v2, s10
	buffer_wbl2 sc0 sc1
	s_waitcnt vmcnt(0)
	global_atomic_add_x2 v[0:1], v[2:3], off offset:8 sc1
.LBB9_1296:
	s_or_b64 exec, exec, s[16:17]
	s_waitcnt vmcnt(0)
	global_load_dwordx2 v[2:3], v[0:1], off offset:16
	s_waitcnt vmcnt(0)
	v_cmp_eq_u64_e32 vcc, 0, v[2:3]
	s_cbranch_vccnz .LBB9_1298
; %bb.1297:
	global_load_dword v0, v[0:1], off offset:24
	v_mov_b32_e32 v1, 0
	buffer_wbl2 sc0 sc1
	s_waitcnt vmcnt(0)
	global_store_dwordx2 v[2:3], v[0:1], off sc0 sc1
	v_and_b32_e32 v0, 0xffffff, v0
	s_nop 0
	v_readfirstlane_b32 m0, v0
	s_sendmsg sendmsg(MSG_INTERRUPT)
.LBB9_1298:
	s_or_b64 exec, exec, s[6:7]
	v_lshl_add_u64 v[0:1], v[6:7], 0, v[36:37]
	s_branch .LBB9_1302
.LBB9_1299:                             ;   in Loop: Header=BB9_1302 Depth=1
	s_or_b64 exec, exec, s[6:7]
	v_readfirstlane_b32 s6, v2
	s_cmp_eq_u32 s6, 0
	s_cbranch_scc1 .LBB9_1301
; %bb.1300:                             ;   in Loop: Header=BB9_1302 Depth=1
	s_sleep 1
	s_cbranch_execnz .LBB9_1302
	s_branch .LBB9_1304
.LBB9_1301:
	s_branch .LBB9_1304
.LBB9_1302:                             ; =>This Inner Loop Header: Depth=1
	v_mov_b32_e32 v2, 1
	s_and_saveexec_b64 s[6:7], s[0:1]
	s_cbranch_execz .LBB9_1299
; %bb.1303:                             ;   in Loop: Header=BB9_1302 Depth=1
	global_load_dword v2, v[8:9], off offset:20 sc0 sc1
	s_waitcnt vmcnt(0)
	buffer_inv sc0 sc1
	v_and_b32_e32 v2, 1, v2
	s_branch .LBB9_1299
.LBB9_1304:
	global_load_dwordx2 v[2:3], v[0:1], off
	s_and_saveexec_b64 s[6:7], s[0:1]
	s_cbranch_execz .LBB9_1307
; %bb.1305:
	v_mov_b32_e32 v8, 0
	global_load_dwordx2 v[0:1], v8, s[42:43] offset:40
	global_load_dwordx2 v[10:11], v8, s[42:43] offset:24 sc0 sc1
	global_load_dwordx2 v[12:13], v8, s[42:43]
	s_mov_b64 s[0:1], 0
	s_waitcnt vmcnt(2)
	v_lshl_add_u64 v[4:5], v[0:1], 0, 1
	v_lshl_add_u64 v[14:15], v[4:5], 0, s[4:5]
	v_cmp_eq_u64_e32 vcc, 0, v[14:15]
	s_waitcnt vmcnt(1)
	v_mov_b32_e32 v6, v10
	v_cndmask_b32_e32 v5, v15, v5, vcc
	v_cndmask_b32_e32 v4, v14, v4, vcc
	v_and_b32_e32 v1, v5, v1
	v_and_b32_e32 v0, v4, v0
	v_mul_lo_u32 v1, v1, 24
	v_mul_hi_u32 v7, v0, 24
	v_mul_lo_u32 v0, v0, 24
	v_add_u32_e32 v1, v7, v1
	s_waitcnt vmcnt(0)
	v_lshl_add_u64 v[0:1], v[12:13], 0, v[0:1]
	global_store_dwordx2 v[0:1], v[10:11], off
	v_mov_b32_e32 v7, v11
	buffer_wbl2 sc0 sc1
	s_waitcnt vmcnt(0)
	global_atomic_cmpswap_x2 v[6:7], v8, v[4:7], s[42:43] offset:24 sc0 sc1
	s_waitcnt vmcnt(0)
	v_cmp_ne_u64_e32 vcc, v[6:7], v[10:11]
	s_and_b64 exec, exec, vcc
	s_cbranch_execz .LBB9_1307
.LBB9_1306:                             ; =>This Inner Loop Header: Depth=1
	s_sleep 1
	global_store_dwordx2 v[0:1], v[6:7], off
	buffer_wbl2 sc0 sc1
	s_waitcnt vmcnt(0)
	global_atomic_cmpswap_x2 v[10:11], v8, v[4:7], s[42:43] offset:24 sc0 sc1
	s_waitcnt vmcnt(0)
	v_cmp_eq_u64_e32 vcc, v[10:11], v[6:7]
	s_or_b64 s[0:1], vcc, s[0:1]
	v_mov_b64_e32 v[6:7], v[10:11]
	s_andn2_b64 exec, exec, s[0:1]
	s_cbranch_execnz .LBB9_1306
.LBB9_1307:
	s_or_b64 exec, exec, s[6:7]
.LBB9_1308:
	v_readfirstlane_b32 s0, v47
	s_waitcnt vmcnt(0)
	v_mov_b64_e32 v[0:1], 0
	v_cmp_eq_u32_e64 s[0:1], s0, v47
	s_and_saveexec_b64 s[4:5], s[0:1]
	s_cbranch_execz .LBB9_1314
; %bb.1309:
	v_mov_b32_e32 v4, 0
	global_load_dwordx2 v[8:9], v4, s[42:43] offset:24 sc0 sc1
	s_waitcnt vmcnt(0)
	buffer_inv sc0 sc1
	global_load_dwordx2 v[0:1], v4, s[42:43] offset:40
	global_load_dwordx2 v[6:7], v4, s[42:43]
	s_waitcnt vmcnt(1)
	v_and_b32_e32 v0, v0, v8
	v_and_b32_e32 v1, v1, v9
	v_mul_lo_u32 v1, v1, 24
	v_mul_hi_u32 v5, v0, 24
	v_add_u32_e32 v1, v5, v1
	v_mul_lo_u32 v0, v0, 24
	s_waitcnt vmcnt(0)
	v_lshl_add_u64 v[0:1], v[6:7], 0, v[0:1]
	global_load_dwordx2 v[6:7], v[0:1], off sc0 sc1
	s_waitcnt vmcnt(0)
	global_atomic_cmpswap_x2 v[0:1], v4, v[6:9], s[42:43] offset:24 sc0 sc1
	s_waitcnt vmcnt(0)
	buffer_inv sc0 sc1
	v_cmp_ne_u64_e32 vcc, v[0:1], v[8:9]
	s_and_saveexec_b64 s[6:7], vcc
	s_cbranch_execz .LBB9_1313
; %bb.1310:
	s_mov_b64 s[10:11], 0
.LBB9_1311:                             ; =>This Inner Loop Header: Depth=1
	s_sleep 1
	global_load_dwordx2 v[6:7], v4, s[42:43] offset:40
	global_load_dwordx2 v[10:11], v4, s[42:43]
	v_mov_b64_e32 v[8:9], v[0:1]
	s_waitcnt vmcnt(1)
	v_and_b32_e32 v0, v6, v8
	s_waitcnt vmcnt(0)
	v_mad_u64_u32 v[0:1], s[16:17], v0, 24, v[10:11]
	v_and_b32_e32 v5, v7, v9
	v_mov_b32_e32 v6, v1
	v_mad_u64_u32 v[6:7], s[16:17], v5, 24, v[6:7]
	v_mov_b32_e32 v1, v6
	global_load_dwordx2 v[6:7], v[0:1], off sc0 sc1
	s_waitcnt vmcnt(0)
	global_atomic_cmpswap_x2 v[0:1], v4, v[6:9], s[42:43] offset:24 sc0 sc1
	s_waitcnt vmcnt(0)
	buffer_inv sc0 sc1
	v_cmp_eq_u64_e32 vcc, v[0:1], v[8:9]
	s_or_b64 s[10:11], vcc, s[10:11]
	s_andn2_b64 exec, exec, s[10:11]
	s_cbranch_execnz .LBB9_1311
; %bb.1312:
	s_or_b64 exec, exec, s[10:11]
.LBB9_1313:
	s_or_b64 exec, exec, s[6:7]
.LBB9_1314:
	s_or_b64 exec, exec, s[4:5]
	v_mov_b32_e32 v5, 0
	global_load_dwordx2 v[10:11], v5, s[42:43] offset:40
	global_load_dwordx4 v[6:9], v5, s[42:43]
	v_readfirstlane_b32 s4, v0
	v_readfirstlane_b32 s5, v1
	s_mov_b64 s[6:7], exec
	s_waitcnt vmcnt(1)
	v_readfirstlane_b32 s10, v10
	v_readfirstlane_b32 s11, v11
	s_and_b64 s[10:11], s[4:5], s[10:11]
	s_mul_i32 s15, s11, 24
	s_mul_hi_u32 s16, s10, 24
	s_add_i32 s17, s16, s15
	s_mul_i32 s16, s10, 24
	s_waitcnt vmcnt(0)
	v_lshl_add_u64 v[10:11], v[6:7], 0, s[16:17]
	s_and_saveexec_b64 s[16:17], s[0:1]
	s_cbranch_execz .LBB9_1316
; %bb.1315:
	v_mov_b64_e32 v[12:13], s[6:7]
	v_mov_b32_e32 v14, 2
	v_mov_b32_e32 v15, 1
	global_store_dwordx4 v[10:11], v[12:15], off offset:8
.LBB9_1316:
	s_or_b64 exec, exec, s[16:17]
	s_lshl_b64 s[6:7], s[10:11], 12
	v_lshl_add_u64 v[0:1], v[8:9], 0, s[6:7]
	s_movk_i32 s6, 0xff1d
	s_mov_b32 s16, 0
	v_and_or_b32 v2, v2, s6, 34
	v_mov_b32_e32 v4, 10
	v_readfirstlane_b32 s6, v0
	v_readfirstlane_b32 s7, v1
	s_mov_b32 s17, s16
	s_mov_b32 s18, s16
	;; [unrolled: 1-line block ×3, first 2 shown]
	s_nop 1
	global_store_dwordx4 v36, v[2:5], s[6:7]
	v_mov_b64_e32 v[0:1], s[16:17]
	s_nop 0
	v_mov_b64_e32 v[2:3], s[18:19]
	global_store_dwordx4 v36, v[0:3], s[6:7] offset:16
	global_store_dwordx4 v36, v[0:3], s[6:7] offset:32
	;; [unrolled: 1-line block ×3, first 2 shown]
	s_and_saveexec_b64 s[6:7], s[0:1]
	s_cbranch_execz .LBB9_1324
; %bb.1317:
	v_mov_b32_e32 v8, 0
	global_load_dwordx2 v[14:15], v8, s[42:43] offset:32 sc0 sc1
	global_load_dwordx2 v[0:1], v8, s[42:43] offset:40
	v_mov_b32_e32 v12, s4
	v_mov_b32_e32 v13, s5
	s_waitcnt vmcnt(0)
	v_readfirstlane_b32 s10, v0
	v_readfirstlane_b32 s11, v1
	s_and_b64 s[10:11], s[10:11], s[4:5]
	s_mul_i32 s11, s11, 24
	s_mul_hi_u32 s15, s10, 24
	s_mul_i32 s10, s10, 24
	s_add_i32 s11, s15, s11
	v_lshl_add_u64 v[4:5], v[6:7], 0, s[10:11]
	global_store_dwordx2 v[4:5], v[14:15], off
	buffer_wbl2 sc0 sc1
	s_waitcnt vmcnt(0)
	global_atomic_cmpswap_x2 v[2:3], v8, v[12:15], s[42:43] offset:32 sc0 sc1
	s_waitcnt vmcnt(0)
	v_cmp_ne_u64_e32 vcc, v[2:3], v[14:15]
	s_and_saveexec_b64 s[10:11], vcc
	s_cbranch_execz .LBB9_1320
; %bb.1318:
	s_mov_b64 s[16:17], 0
.LBB9_1319:                             ; =>This Inner Loop Header: Depth=1
	s_sleep 1
	global_store_dwordx2 v[4:5], v[2:3], off
	v_mov_b32_e32 v0, s4
	v_mov_b32_e32 v1, s5
	buffer_wbl2 sc0 sc1
	s_waitcnt vmcnt(0)
	global_atomic_cmpswap_x2 v[0:1], v8, v[0:3], s[42:43] offset:32 sc0 sc1
	s_waitcnt vmcnt(0)
	v_cmp_eq_u64_e32 vcc, v[0:1], v[2:3]
	s_or_b64 s[16:17], vcc, s[16:17]
	v_mov_b64_e32 v[2:3], v[0:1]
	s_andn2_b64 exec, exec, s[16:17]
	s_cbranch_execnz .LBB9_1319
.LBB9_1320:
	s_or_b64 exec, exec, s[10:11]
	v_mov_b32_e32 v3, 0
	global_load_dwordx2 v[0:1], v3, s[42:43] offset:16
	s_mov_b64 s[10:11], exec
	v_mbcnt_lo_u32_b32 v2, s10, 0
	v_mbcnt_hi_u32_b32 v2, s11, v2
	v_cmp_eq_u32_e32 vcc, 0, v2
	s_and_saveexec_b64 s[16:17], vcc
	s_cbranch_execz .LBB9_1322
; %bb.1321:
	s_bcnt1_i32_b64 s10, s[10:11]
	v_mov_b32_e32 v2, s10
	buffer_wbl2 sc0 sc1
	s_waitcnt vmcnt(0)
	global_atomic_add_x2 v[0:1], v[2:3], off offset:8 sc1
.LBB9_1322:
	s_or_b64 exec, exec, s[16:17]
	s_waitcnt vmcnt(0)
	global_load_dwordx2 v[2:3], v[0:1], off offset:16
	s_waitcnt vmcnt(0)
	v_cmp_eq_u64_e32 vcc, 0, v[2:3]
	s_cbranch_vccnz .LBB9_1324
; %bb.1323:
	global_load_dword v0, v[0:1], off offset:24
	v_mov_b32_e32 v1, 0
	buffer_wbl2 sc0 sc1
	s_waitcnt vmcnt(0)
	global_store_dwordx2 v[2:3], v[0:1], off sc0 sc1
	v_and_b32_e32 v0, 0xffffff, v0
	s_nop 0
	v_readfirstlane_b32 m0, v0
	s_sendmsg sendmsg(MSG_INTERRUPT)
.LBB9_1324:
	s_or_b64 exec, exec, s[6:7]
	s_branch .LBB9_1328
.LBB9_1325:                             ;   in Loop: Header=BB9_1328 Depth=1
	s_or_b64 exec, exec, s[6:7]
	v_readfirstlane_b32 s6, v0
	s_cmp_eq_u32 s6, 0
	s_cbranch_scc1 .LBB9_1327
; %bb.1326:                             ;   in Loop: Header=BB9_1328 Depth=1
	s_sleep 1
	s_cbranch_execnz .LBB9_1328
	s_branch .LBB9_1330
.LBB9_1327:
	s_branch .LBB9_1330
.LBB9_1328:                             ; =>This Inner Loop Header: Depth=1
	v_mov_b32_e32 v0, 1
	s_and_saveexec_b64 s[6:7], s[0:1]
	s_cbranch_execz .LBB9_1325
; %bb.1329:                             ;   in Loop: Header=BB9_1328 Depth=1
	global_load_dword v0, v[10:11], off offset:20 sc0 sc1
	s_waitcnt vmcnt(0)
	buffer_inv sc0 sc1
	v_and_b32_e32 v0, 1, v0
	s_branch .LBB9_1325
.LBB9_1330:
	s_and_saveexec_b64 s[6:7], s[0:1]
	s_cbranch_execz .LBB9_1333
; %bb.1331:
	v_mov_b32_e32 v6, 0
	global_load_dwordx2 v[4:5], v6, s[42:43] offset:40
	global_load_dwordx2 v[8:9], v6, s[42:43] offset:24 sc0 sc1
	global_load_dwordx2 v[10:11], v6, s[42:43]
	s_mov_b64 s[0:1], 0
	s_waitcnt vmcnt(2)
	v_lshl_add_u64 v[0:1], v[4:5], 0, 1
	v_lshl_add_u64 v[12:13], v[0:1], 0, s[4:5]
	v_cmp_eq_u64_e32 vcc, 0, v[12:13]
	s_waitcnt vmcnt(1)
	v_mov_b32_e32 v2, v8
	v_cndmask_b32_e32 v1, v13, v1, vcc
	v_cndmask_b32_e32 v0, v12, v0, vcc
	v_and_b32_e32 v3, v1, v5
	v_and_b32_e32 v4, v0, v4
	v_mul_lo_u32 v3, v3, 24
	v_mul_hi_u32 v5, v4, 24
	v_mul_lo_u32 v4, v4, 24
	v_add_u32_e32 v5, v5, v3
	s_waitcnt vmcnt(0)
	v_lshl_add_u64 v[4:5], v[10:11], 0, v[4:5]
	global_store_dwordx2 v[4:5], v[8:9], off
	v_mov_b32_e32 v3, v9
	buffer_wbl2 sc0 sc1
	s_waitcnt vmcnt(0)
	global_atomic_cmpswap_x2 v[2:3], v6, v[0:3], s[42:43] offset:24 sc0 sc1
	s_waitcnt vmcnt(0)
	v_cmp_ne_u64_e32 vcc, v[2:3], v[8:9]
	s_and_b64 exec, exec, vcc
	s_cbranch_execz .LBB9_1333
.LBB9_1332:                             ; =>This Inner Loop Header: Depth=1
	s_sleep 1
	global_store_dwordx2 v[4:5], v[2:3], off
	buffer_wbl2 sc0 sc1
	s_waitcnt vmcnt(0)
	global_atomic_cmpswap_x2 v[8:9], v6, v[0:3], s[42:43] offset:24 sc0 sc1
	s_waitcnt vmcnt(0)
	v_cmp_eq_u64_e32 vcc, v[8:9], v[2:3]
	s_or_b64 s[0:1], vcc, s[0:1]
	v_mov_b64_e32 v[2:3], v[8:9]
	s_andn2_b64 exec, exec, s[0:1]
	s_cbranch_execnz .LBB9_1332
.LBB9_1333:
	s_or_b64 exec, exec, s[6:7]
	v_readfirstlane_b32 s0, v47
	v_mov_b64_e32 v[4:5], 0
	s_nop 0
	v_cmp_eq_u32_e64 s[0:1], s0, v47
	s_and_saveexec_b64 s[4:5], s[0:1]
	s_cbranch_execz .LBB9_1339
; %bb.1334:
	v_mov_b32_e32 v0, 0
	global_load_dwordx2 v[6:7], v0, s[42:43] offset:24 sc0 sc1
	s_waitcnt vmcnt(0)
	buffer_inv sc0 sc1
	global_load_dwordx2 v[2:3], v0, s[42:43] offset:40
	global_load_dwordx2 v[4:5], v0, s[42:43]
	s_waitcnt vmcnt(1)
	v_and_b32_e32 v1, v2, v6
	v_and_b32_e32 v2, v3, v7
	v_mul_lo_u32 v2, v2, 24
	v_mul_hi_u32 v3, v1, 24
	v_add_u32_e32 v3, v3, v2
	v_mul_lo_u32 v2, v1, 24
	s_waitcnt vmcnt(0)
	v_lshl_add_u64 v[2:3], v[4:5], 0, v[2:3]
	global_load_dwordx2 v[4:5], v[2:3], off sc0 sc1
	s_waitcnt vmcnt(0)
	global_atomic_cmpswap_x2 v[4:5], v0, v[4:7], s[42:43] offset:24 sc0 sc1
	s_waitcnt vmcnt(0)
	buffer_inv sc0 sc1
	v_cmp_ne_u64_e32 vcc, v[4:5], v[6:7]
	s_and_saveexec_b64 s[6:7], vcc
	s_cbranch_execz .LBB9_1338
; %bb.1335:
	s_mov_b64 s[10:11], 0
.LBB9_1336:                             ; =>This Inner Loop Header: Depth=1
	s_sleep 1
	global_load_dwordx2 v[2:3], v0, s[42:43] offset:40
	global_load_dwordx2 v[8:9], v0, s[42:43]
	v_mov_b64_e32 v[6:7], v[4:5]
	s_waitcnt vmcnt(1)
	v_and_b32_e32 v2, v2, v6
	v_and_b32_e32 v1, v3, v7
	s_waitcnt vmcnt(0)
	v_mad_u64_u32 v[2:3], s[16:17], v2, 24, v[8:9]
	v_mov_b32_e32 v4, v3
	v_mad_u64_u32 v[4:5], s[16:17], v1, 24, v[4:5]
	v_mov_b32_e32 v3, v4
	global_load_dwordx2 v[4:5], v[2:3], off sc0 sc1
	s_waitcnt vmcnt(0)
	global_atomic_cmpswap_x2 v[4:5], v0, v[4:7], s[42:43] offset:24 sc0 sc1
	s_waitcnt vmcnt(0)
	buffer_inv sc0 sc1
	v_cmp_eq_u64_e32 vcc, v[4:5], v[6:7]
	s_or_b64 s[10:11], vcc, s[10:11]
	s_andn2_b64 exec, exec, s[10:11]
	s_cbranch_execnz .LBB9_1336
; %bb.1337:
	s_or_b64 exec, exec, s[10:11]
.LBB9_1338:
	s_or_b64 exec, exec, s[6:7]
.LBB9_1339:
	s_or_b64 exec, exec, s[4:5]
	v_mov_b32_e32 v37, 0
	global_load_dwordx2 v[6:7], v37, s[42:43] offset:40
	global_load_dwordx4 v[0:3], v37, s[42:43]
	v_readfirstlane_b32 s4, v4
	v_readfirstlane_b32 s5, v5
	s_mov_b64 s[6:7], exec
	s_waitcnt vmcnt(1)
	v_readfirstlane_b32 s10, v6
	v_readfirstlane_b32 s11, v7
	s_and_b64 s[10:11], s[4:5], s[10:11]
	s_mul_i32 s15, s11, 24
	s_mul_hi_u32 s16, s10, 24
	s_add_i32 s17, s16, s15
	s_mul_i32 s16, s10, 24
	s_waitcnt vmcnt(0)
	v_lshl_add_u64 v[4:5], v[0:1], 0, s[16:17]
	s_and_saveexec_b64 s[16:17], s[0:1]
	s_cbranch_execz .LBB9_1341
; %bb.1340:
	v_mov_b64_e32 v[6:7], s[6:7]
	v_mov_b32_e32 v8, 2
	v_mov_b32_e32 v9, 1
	global_store_dwordx4 v[4:5], v[6:9], off offset:8
.LBB9_1341:
	s_or_b64 exec, exec, s[16:17]
	s_lshl_b64 s[6:7], s[10:11], 12
	v_lshl_add_u64 v[6:7], v[2:3], 0, s[6:7]
	s_mov_b32 s16, 0
	v_mov_b32_e32 v8, 33
	v_mov_b32_e32 v9, v37
	;; [unrolled: 1-line block ×4, first 2 shown]
	v_readfirstlane_b32 s6, v6
	v_readfirstlane_b32 s7, v7
	s_mov_b32 s17, s16
	s_mov_b32 s18, s16
	;; [unrolled: 1-line block ×3, first 2 shown]
	s_nop 1
	global_store_dwordx4 v36, v[8:11], s[6:7]
	s_nop 1
	v_mov_b64_e32 v[8:9], s[16:17]
	v_mov_b64_e32 v[10:11], s[18:19]
	global_store_dwordx4 v36, v[8:11], s[6:7] offset:16
	global_store_dwordx4 v36, v[8:11], s[6:7] offset:32
	;; [unrolled: 1-line block ×3, first 2 shown]
	s_and_saveexec_b64 s[6:7], s[0:1]
	s_cbranch_execz .LBB9_1349
; %bb.1342:
	v_mov_b32_e32 v10, 0
	global_load_dwordx2 v[14:15], v10, s[42:43] offset:32 sc0 sc1
	global_load_dwordx2 v[2:3], v10, s[42:43] offset:40
	v_mov_b32_e32 v12, s4
	v_mov_b32_e32 v13, s5
	s_waitcnt vmcnt(0)
	v_readfirstlane_b32 s10, v2
	v_readfirstlane_b32 s11, v3
	s_and_b64 s[10:11], s[10:11], s[4:5]
	s_mul_i32 s11, s11, 24
	s_mul_hi_u32 s15, s10, 24
	s_mul_i32 s10, s10, 24
	s_add_i32 s11, s15, s11
	v_lshl_add_u64 v[8:9], v[0:1], 0, s[10:11]
	global_store_dwordx2 v[8:9], v[14:15], off
	buffer_wbl2 sc0 sc1
	s_waitcnt vmcnt(0)
	global_atomic_cmpswap_x2 v[2:3], v10, v[12:15], s[42:43] offset:32 sc0 sc1
	s_waitcnt vmcnt(0)
	v_cmp_ne_u64_e32 vcc, v[2:3], v[14:15]
	s_and_saveexec_b64 s[10:11], vcc
	s_cbranch_execz .LBB9_1345
; %bb.1343:
	s_mov_b64 s[16:17], 0
.LBB9_1344:                             ; =>This Inner Loop Header: Depth=1
	s_sleep 1
	global_store_dwordx2 v[8:9], v[2:3], off
	v_mov_b32_e32 v0, s4
	v_mov_b32_e32 v1, s5
	buffer_wbl2 sc0 sc1
	s_waitcnt vmcnt(0)
	global_atomic_cmpswap_x2 v[0:1], v10, v[0:3], s[42:43] offset:32 sc0 sc1
	s_waitcnt vmcnt(0)
	v_cmp_eq_u64_e32 vcc, v[0:1], v[2:3]
	s_or_b64 s[16:17], vcc, s[16:17]
	v_mov_b64_e32 v[2:3], v[0:1]
	s_andn2_b64 exec, exec, s[16:17]
	s_cbranch_execnz .LBB9_1344
.LBB9_1345:
	s_or_b64 exec, exec, s[10:11]
	v_mov_b32_e32 v3, 0
	global_load_dwordx2 v[0:1], v3, s[42:43] offset:16
	s_mov_b64 s[10:11], exec
	v_mbcnt_lo_u32_b32 v2, s10, 0
	v_mbcnt_hi_u32_b32 v2, s11, v2
	v_cmp_eq_u32_e32 vcc, 0, v2
	s_and_saveexec_b64 s[16:17], vcc
	s_cbranch_execz .LBB9_1347
; %bb.1346:
	s_bcnt1_i32_b64 s10, s[10:11]
	v_mov_b32_e32 v2, s10
	buffer_wbl2 sc0 sc1
	s_waitcnt vmcnt(0)
	global_atomic_add_x2 v[0:1], v[2:3], off offset:8 sc1
.LBB9_1347:
	s_or_b64 exec, exec, s[16:17]
	s_waitcnt vmcnt(0)
	global_load_dwordx2 v[2:3], v[0:1], off offset:16
	s_waitcnt vmcnt(0)
	v_cmp_eq_u64_e32 vcc, 0, v[2:3]
	s_cbranch_vccnz .LBB9_1349
; %bb.1348:
	global_load_dword v0, v[0:1], off offset:24
	v_mov_b32_e32 v1, 0
	buffer_wbl2 sc0 sc1
	s_waitcnt vmcnt(0)
	global_store_dwordx2 v[2:3], v[0:1], off sc0 sc1
	v_and_b32_e32 v0, 0xffffff, v0
	s_nop 0
	v_readfirstlane_b32 m0, v0
	s_sendmsg sendmsg(MSG_INTERRUPT)
.LBB9_1349:
	s_or_b64 exec, exec, s[6:7]
	v_lshl_add_u64 v[0:1], v[6:7], 0, v[36:37]
	s_branch .LBB9_1353
.LBB9_1350:                             ;   in Loop: Header=BB9_1353 Depth=1
	s_or_b64 exec, exec, s[6:7]
	v_readfirstlane_b32 s6, v2
	s_cmp_eq_u32 s6, 0
	s_cbranch_scc1 .LBB9_1352
; %bb.1351:                             ;   in Loop: Header=BB9_1353 Depth=1
	s_sleep 1
	s_cbranch_execnz .LBB9_1353
	s_branch .LBB9_1355
.LBB9_1352:
	s_branch .LBB9_1355
.LBB9_1353:                             ; =>This Inner Loop Header: Depth=1
	v_mov_b32_e32 v2, 1
	s_and_saveexec_b64 s[6:7], s[0:1]
	s_cbranch_execz .LBB9_1350
; %bb.1354:                             ;   in Loop: Header=BB9_1353 Depth=1
	global_load_dword v2, v[4:5], off offset:20 sc0 sc1
	s_waitcnt vmcnt(0)
	buffer_inv sc0 sc1
	v_and_b32_e32 v2, 1, v2
	s_branch .LBB9_1350
.LBB9_1355:
	global_load_dwordx2 v[4:5], v[0:1], off
	s_and_saveexec_b64 s[6:7], s[0:1]
	s_cbranch_execz .LBB9_1358
; %bb.1356:
	v_mov_b32_e32 v8, 0
	global_load_dwordx2 v[6:7], v8, s[42:43] offset:40
	global_load_dwordx2 v[10:11], v8, s[42:43] offset:24 sc0 sc1
	global_load_dwordx2 v[12:13], v8, s[42:43]
	s_mov_b64 s[0:1], 0
	s_waitcnt vmcnt(2)
	v_lshl_add_u64 v[0:1], v[6:7], 0, 1
	v_lshl_add_u64 v[14:15], v[0:1], 0, s[4:5]
	v_cmp_eq_u64_e32 vcc, 0, v[14:15]
	s_waitcnt vmcnt(1)
	v_mov_b32_e32 v2, v10
	v_cndmask_b32_e32 v1, v15, v1, vcc
	v_cndmask_b32_e32 v0, v14, v0, vcc
	v_and_b32_e32 v3, v1, v7
	v_and_b32_e32 v6, v0, v6
	v_mul_lo_u32 v3, v3, 24
	v_mul_hi_u32 v7, v6, 24
	v_mul_lo_u32 v6, v6, 24
	v_add_u32_e32 v7, v7, v3
	s_waitcnt vmcnt(0)
	v_lshl_add_u64 v[6:7], v[12:13], 0, v[6:7]
	global_store_dwordx2 v[6:7], v[10:11], off
	v_mov_b32_e32 v3, v11
	buffer_wbl2 sc0 sc1
	s_waitcnt vmcnt(0)
	global_atomic_cmpswap_x2 v[2:3], v8, v[0:3], s[42:43] offset:24 sc0 sc1
	s_waitcnt vmcnt(0)
	v_cmp_ne_u64_e32 vcc, v[2:3], v[10:11]
	s_and_b64 exec, exec, vcc
	s_cbranch_execz .LBB9_1358
.LBB9_1357:                             ; =>This Inner Loop Header: Depth=1
	s_sleep 1
	global_store_dwordx2 v[6:7], v[2:3], off
	buffer_wbl2 sc0 sc1
	s_waitcnt vmcnt(0)
	global_atomic_cmpswap_x2 v[10:11], v8, v[0:3], s[42:43] offset:24 sc0 sc1
	s_waitcnt vmcnt(0)
	v_cmp_eq_u64_e32 vcc, v[10:11], v[2:3]
	s_or_b64 s[0:1], vcc, s[0:1]
	v_mov_b64_e32 v[2:3], v[10:11]
	s_andn2_b64 exec, exec, s[0:1]
	s_cbranch_execnz .LBB9_1357
.LBB9_1358:
	s_or_b64 exec, exec, s[6:7]
	s_and_b64 vcc, exec, s[2:3]
	s_cbranch_vccz .LBB9_1443
; %bb.1359:
	s_waitcnt vmcnt(0)
	v_and_b32_e32 v26, 2, v4
	v_mov_b32_e32 v29, 0
	v_and_b32_e32 v0, -3, v4
	v_mov_b32_e32 v1, v5
	s_mov_b64 s[4:5], 3
	v_mov_b32_e32 v8, 2
	v_mov_b32_e32 v9, 1
	s_getpc_b64 s[2:3]
	s_add_u32 s2, s2, .str.5@rel32@lo+4
	s_addc_u32 s3, s3, .str.5@rel32@hi+12
	s_branch .LBB9_1361
.LBB9_1360:                             ;   in Loop: Header=BB9_1361 Depth=1
	s_or_b64 exec, exec, s[16:17]
	s_sub_u32 s4, s4, s6
	s_subb_u32 s5, s5, s7
	s_add_u32 s2, s2, s6
	s_addc_u32 s3, s3, s7
	s_cmp_lg_u64 s[4:5], 0
	s_cbranch_scc0 .LBB9_1442
.LBB9_1361:                             ; =>This Loop Header: Depth=1
                                        ;     Child Loop BB9_1364 Depth 2
                                        ;     Child Loop BB9_1371 Depth 2
	;; [unrolled: 1-line block ×11, first 2 shown]
	v_cmp_lt_u64_e64 s[0:1], s[4:5], 56
	s_and_b64 s[0:1], s[0:1], exec
	v_cmp_gt_u64_e64 s[0:1], s[4:5], 7
	s_cselect_b32 s7, s5, 0
	s_cselect_b32 s6, s4, 56
	s_and_b64 vcc, exec, s[0:1]
	s_cbranch_vccnz .LBB9_1366
; %bb.1362:                             ;   in Loop: Header=BB9_1361 Depth=1
	s_mov_b64 s[0:1], 0
	s_cmp_eq_u64 s[4:5], 0
	s_waitcnt vmcnt(0)
	v_mov_b64_e32 v[2:3], 0
	s_cbranch_scc1 .LBB9_1365
; %bb.1363:                             ;   in Loop: Header=BB9_1361 Depth=1
	s_lshl_b64 s[10:11], s[6:7], 3
	s_mov_b64 s[16:17], 0
	v_mov_b64_e32 v[2:3], 0
	s_mov_b64 s[18:19], s[2:3]
.LBB9_1364:                             ;   Parent Loop BB9_1361 Depth=1
                                        ; =>  This Inner Loop Header: Depth=2
	global_load_ubyte v6, v29, s[18:19]
	s_waitcnt vmcnt(0)
	v_and_b32_e32 v28, 0xffff, v6
	v_lshlrev_b64 v[6:7], s16, v[28:29]
	s_add_u32 s16, s16, 8
	s_addc_u32 s17, s17, 0
	s_add_u32 s18, s18, 1
	s_addc_u32 s19, s19, 0
	v_or_b32_e32 v2, v6, v2
	s_cmp_lg_u32 s10, s16
	v_or_b32_e32 v3, v7, v3
	s_cbranch_scc1 .LBB9_1364
.LBB9_1365:                             ;   in Loop: Header=BB9_1361 Depth=1
	s_mov_b32 s15, 0
	s_andn2_b64 vcc, exec, s[0:1]
	s_mov_b64 s[0:1], s[2:3]
	s_cbranch_vccz .LBB9_1367
	s_branch .LBB9_1368
.LBB9_1366:                             ;   in Loop: Header=BB9_1361 Depth=1
                                        ; implicit-def: $vgpr2_vgpr3
                                        ; implicit-def: $sgpr15
	s_mov_b64 s[0:1], s[2:3]
.LBB9_1367:                             ;   in Loop: Header=BB9_1361 Depth=1
	global_load_dwordx2 v[2:3], v29, s[2:3]
	s_add_i32 s15, s6, -8
	s_add_u32 s0, s2, 8
	s_addc_u32 s1, s3, 0
.LBB9_1368:                             ;   in Loop: Header=BB9_1361 Depth=1
	s_cmp_gt_u32 s15, 7
	s_cbranch_scc1 .LBB9_1372
; %bb.1369:                             ;   in Loop: Header=BB9_1361 Depth=1
	s_cmp_eq_u32 s15, 0
	s_cbranch_scc1 .LBB9_1373
; %bb.1370:                             ;   in Loop: Header=BB9_1361 Depth=1
	s_mov_b64 s[10:11], 0
	v_mov_b64_e32 v[10:11], 0
	s_mov_b64 s[16:17], 0
.LBB9_1371:                             ;   Parent Loop BB9_1361 Depth=1
                                        ; =>  This Inner Loop Header: Depth=2
	s_add_u32 s18, s0, s16
	s_addc_u32 s19, s1, s17
	global_load_ubyte v6, v29, s[18:19]
	s_add_u32 s16, s16, 1
	s_addc_u32 s17, s17, 0
	s_waitcnt vmcnt(0)
	v_and_b32_e32 v28, 0xffff, v6
	v_lshlrev_b64 v[6:7], s10, v[28:29]
	s_add_u32 s10, s10, 8
	s_addc_u32 s11, s11, 0
	v_or_b32_e32 v10, v6, v10
	s_cmp_lg_u32 s15, s16
	v_or_b32_e32 v11, v7, v11
	s_cbranch_scc1 .LBB9_1371
	s_branch .LBB9_1374
.LBB9_1372:                             ;   in Loop: Header=BB9_1361 Depth=1
                                        ; implicit-def: $vgpr10_vgpr11
                                        ; implicit-def: $sgpr18
	s_branch .LBB9_1375
.LBB9_1373:                             ;   in Loop: Header=BB9_1361 Depth=1
	v_mov_b64_e32 v[10:11], 0
.LBB9_1374:                             ;   in Loop: Header=BB9_1361 Depth=1
	s_mov_b32 s18, 0
	s_cbranch_execnz .LBB9_1376
.LBB9_1375:                             ;   in Loop: Header=BB9_1361 Depth=1
	global_load_dwordx2 v[10:11], v29, s[0:1]
	s_add_i32 s18, s15, -8
	s_add_u32 s0, s0, 8
	s_addc_u32 s1, s1, 0
.LBB9_1376:                             ;   in Loop: Header=BB9_1361 Depth=1
	s_cmp_gt_u32 s18, 7
	s_cbranch_scc1 .LBB9_1380
; %bb.1377:                             ;   in Loop: Header=BB9_1361 Depth=1
	s_cmp_eq_u32 s18, 0
	s_cbranch_scc1 .LBB9_1381
; %bb.1378:                             ;   in Loop: Header=BB9_1361 Depth=1
	s_mov_b64 s[10:11], 0
	v_mov_b64_e32 v[12:13], 0
	s_mov_b64 s[16:17], 0
.LBB9_1379:                             ;   Parent Loop BB9_1361 Depth=1
                                        ; =>  This Inner Loop Header: Depth=2
	s_add_u32 s20, s0, s16
	s_addc_u32 s21, s1, s17
	global_load_ubyte v6, v29, s[20:21]
	s_add_u32 s16, s16, 1
	s_addc_u32 s17, s17, 0
	s_waitcnt vmcnt(0)
	v_and_b32_e32 v28, 0xffff, v6
	v_lshlrev_b64 v[6:7], s10, v[28:29]
	s_add_u32 s10, s10, 8
	s_addc_u32 s11, s11, 0
	v_or_b32_e32 v12, v6, v12
	s_cmp_lg_u32 s18, s16
	v_or_b32_e32 v13, v7, v13
	s_cbranch_scc1 .LBB9_1379
	s_branch .LBB9_1382
.LBB9_1380:                             ;   in Loop: Header=BB9_1361 Depth=1
                                        ; implicit-def: $sgpr15
	s_branch .LBB9_1383
.LBB9_1381:                             ;   in Loop: Header=BB9_1361 Depth=1
	v_mov_b64_e32 v[12:13], 0
.LBB9_1382:                             ;   in Loop: Header=BB9_1361 Depth=1
	s_mov_b32 s15, 0
	s_cbranch_execnz .LBB9_1384
.LBB9_1383:                             ;   in Loop: Header=BB9_1361 Depth=1
	global_load_dwordx2 v[12:13], v29, s[0:1]
	s_add_i32 s15, s18, -8
	s_add_u32 s0, s0, 8
	s_addc_u32 s1, s1, 0
.LBB9_1384:                             ;   in Loop: Header=BB9_1361 Depth=1
	s_cmp_gt_u32 s15, 7
	s_cbranch_scc1 .LBB9_1388
; %bb.1385:                             ;   in Loop: Header=BB9_1361 Depth=1
	s_cmp_eq_u32 s15, 0
	s_cbranch_scc1 .LBB9_1389
; %bb.1386:                             ;   in Loop: Header=BB9_1361 Depth=1
	s_mov_b64 s[10:11], 0
	v_mov_b64_e32 v[14:15], 0
	s_mov_b64 s[16:17], 0
.LBB9_1387:                             ;   Parent Loop BB9_1361 Depth=1
                                        ; =>  This Inner Loop Header: Depth=2
	s_add_u32 s18, s0, s16
	s_addc_u32 s19, s1, s17
	global_load_ubyte v6, v29, s[18:19]
	s_add_u32 s16, s16, 1
	s_addc_u32 s17, s17, 0
	s_waitcnt vmcnt(0)
	v_and_b32_e32 v28, 0xffff, v6
	v_lshlrev_b64 v[6:7], s10, v[28:29]
	s_add_u32 s10, s10, 8
	s_addc_u32 s11, s11, 0
	v_or_b32_e32 v14, v6, v14
	s_cmp_lg_u32 s15, s16
	v_or_b32_e32 v15, v7, v15
	s_cbranch_scc1 .LBB9_1387
	s_branch .LBB9_1390
.LBB9_1388:                             ;   in Loop: Header=BB9_1361 Depth=1
                                        ; implicit-def: $vgpr14_vgpr15
                                        ; implicit-def: $sgpr18
	s_branch .LBB9_1391
.LBB9_1389:                             ;   in Loop: Header=BB9_1361 Depth=1
	v_mov_b64_e32 v[14:15], 0
.LBB9_1390:                             ;   in Loop: Header=BB9_1361 Depth=1
	s_mov_b32 s18, 0
	s_cbranch_execnz .LBB9_1392
.LBB9_1391:                             ;   in Loop: Header=BB9_1361 Depth=1
	global_load_dwordx2 v[14:15], v29, s[0:1]
	s_add_i32 s18, s15, -8
	s_add_u32 s0, s0, 8
	s_addc_u32 s1, s1, 0
.LBB9_1392:                             ;   in Loop: Header=BB9_1361 Depth=1
	s_cmp_gt_u32 s18, 7
	s_cbranch_scc1 .LBB9_1396
; %bb.1393:                             ;   in Loop: Header=BB9_1361 Depth=1
	s_cmp_eq_u32 s18, 0
	s_cbranch_scc1 .LBB9_1397
; %bb.1394:                             ;   in Loop: Header=BB9_1361 Depth=1
	s_mov_b64 s[10:11], 0
	v_mov_b64_e32 v[16:17], 0
	s_mov_b64 s[16:17], 0
.LBB9_1395:                             ;   Parent Loop BB9_1361 Depth=1
                                        ; =>  This Inner Loop Header: Depth=2
	s_add_u32 s20, s0, s16
	s_addc_u32 s21, s1, s17
	global_load_ubyte v6, v29, s[20:21]
	s_add_u32 s16, s16, 1
	s_addc_u32 s17, s17, 0
	s_waitcnt vmcnt(0)
	v_and_b32_e32 v28, 0xffff, v6
	v_lshlrev_b64 v[6:7], s10, v[28:29]
	s_add_u32 s10, s10, 8
	s_addc_u32 s11, s11, 0
	v_or_b32_e32 v16, v6, v16
	s_cmp_lg_u32 s18, s16
	v_or_b32_e32 v17, v7, v17
	s_cbranch_scc1 .LBB9_1395
	s_branch .LBB9_1398
.LBB9_1396:                             ;   in Loop: Header=BB9_1361 Depth=1
                                        ; implicit-def: $sgpr15
	s_branch .LBB9_1399
.LBB9_1397:                             ;   in Loop: Header=BB9_1361 Depth=1
	v_mov_b64_e32 v[16:17], 0
.LBB9_1398:                             ;   in Loop: Header=BB9_1361 Depth=1
	s_mov_b32 s15, 0
	s_cbranch_execnz .LBB9_1400
.LBB9_1399:                             ;   in Loop: Header=BB9_1361 Depth=1
	global_load_dwordx2 v[16:17], v29, s[0:1]
	s_add_i32 s15, s18, -8
	s_add_u32 s0, s0, 8
	s_addc_u32 s1, s1, 0
.LBB9_1400:                             ;   in Loop: Header=BB9_1361 Depth=1
	s_cmp_gt_u32 s15, 7
	s_cbranch_scc1 .LBB9_1404
; %bb.1401:                             ;   in Loop: Header=BB9_1361 Depth=1
	s_cmp_eq_u32 s15, 0
	s_cbranch_scc1 .LBB9_1405
; %bb.1402:                             ;   in Loop: Header=BB9_1361 Depth=1
	s_mov_b64 s[10:11], 0
	v_mov_b64_e32 v[18:19], 0
	s_mov_b64 s[16:17], 0
.LBB9_1403:                             ;   Parent Loop BB9_1361 Depth=1
                                        ; =>  This Inner Loop Header: Depth=2
	s_add_u32 s18, s0, s16
	s_addc_u32 s19, s1, s17
	global_load_ubyte v6, v29, s[18:19]
	s_add_u32 s16, s16, 1
	s_addc_u32 s17, s17, 0
	s_waitcnt vmcnt(0)
	v_and_b32_e32 v28, 0xffff, v6
	v_lshlrev_b64 v[6:7], s10, v[28:29]
	s_add_u32 s10, s10, 8
	s_addc_u32 s11, s11, 0
	v_or_b32_e32 v18, v6, v18
	s_cmp_lg_u32 s15, s16
	v_or_b32_e32 v19, v7, v19
	s_cbranch_scc1 .LBB9_1403
	s_branch .LBB9_1406
.LBB9_1404:                             ;   in Loop: Header=BB9_1361 Depth=1
                                        ; implicit-def: $vgpr18_vgpr19
                                        ; implicit-def: $sgpr18
	s_branch .LBB9_1407
.LBB9_1405:                             ;   in Loop: Header=BB9_1361 Depth=1
	v_mov_b64_e32 v[18:19], 0
.LBB9_1406:                             ;   in Loop: Header=BB9_1361 Depth=1
	s_mov_b32 s18, 0
	s_cbranch_execnz .LBB9_1408
.LBB9_1407:                             ;   in Loop: Header=BB9_1361 Depth=1
	global_load_dwordx2 v[18:19], v29, s[0:1]
	s_add_i32 s18, s15, -8
	s_add_u32 s0, s0, 8
	s_addc_u32 s1, s1, 0
.LBB9_1408:                             ;   in Loop: Header=BB9_1361 Depth=1
	s_cmp_gt_u32 s18, 7
	s_cbranch_scc1 .LBB9_1412
; %bb.1409:                             ;   in Loop: Header=BB9_1361 Depth=1
	s_cmp_eq_u32 s18, 0
	s_cbranch_scc1 .LBB9_1413
; %bb.1410:                             ;   in Loop: Header=BB9_1361 Depth=1
	s_mov_b64 s[10:11], 0
	v_mov_b64_e32 v[20:21], 0
	s_mov_b64 s[16:17], s[0:1]
.LBB9_1411:                             ;   Parent Loop BB9_1361 Depth=1
                                        ; =>  This Inner Loop Header: Depth=2
	global_load_ubyte v6, v29, s[16:17]
	s_add_i32 s18, s18, -1
	s_waitcnt vmcnt(0)
	v_and_b32_e32 v28, 0xffff, v6
	v_lshlrev_b64 v[6:7], s10, v[28:29]
	s_add_u32 s10, s10, 8
	s_addc_u32 s11, s11, 0
	s_add_u32 s16, s16, 1
	s_addc_u32 s17, s17, 0
	v_or_b32_e32 v20, v6, v20
	s_cmp_lg_u32 s18, 0
	v_or_b32_e32 v21, v7, v21
	s_cbranch_scc1 .LBB9_1411
	s_branch .LBB9_1414
.LBB9_1412:                             ;   in Loop: Header=BB9_1361 Depth=1
	s_branch .LBB9_1415
.LBB9_1413:                             ;   in Loop: Header=BB9_1361 Depth=1
	v_mov_b64_e32 v[20:21], 0
.LBB9_1414:                             ;   in Loop: Header=BB9_1361 Depth=1
	s_cbranch_execnz .LBB9_1416
.LBB9_1415:                             ;   in Loop: Header=BB9_1361 Depth=1
	global_load_dwordx2 v[20:21], v29, s[0:1]
.LBB9_1416:                             ;   in Loop: Header=BB9_1361 Depth=1
	v_readfirstlane_b32 s0, v47
	v_mov_b64_e32 v[6:7], 0
	s_nop 0
	v_cmp_eq_u32_e64 s[0:1], s0, v47
	s_and_saveexec_b64 s[10:11], s[0:1]
	s_cbranch_execz .LBB9_1422
; %bb.1417:                             ;   in Loop: Header=BB9_1361 Depth=1
	global_load_dwordx2 v[24:25], v29, s[42:43] offset:24 sc0 sc1
	s_waitcnt vmcnt(0)
	buffer_inv sc0 sc1
	global_load_dwordx2 v[6:7], v29, s[42:43] offset:40
	global_load_dwordx2 v[22:23], v29, s[42:43]
	s_waitcnt vmcnt(1)
	v_and_b32_e32 v6, v6, v24
	v_and_b32_e32 v7, v7, v25
	v_mul_lo_u32 v7, v7, 24
	v_mul_hi_u32 v27, v6, 24
	v_add_u32_e32 v7, v27, v7
	v_mul_lo_u32 v6, v6, 24
	s_waitcnt vmcnt(0)
	v_lshl_add_u64 v[6:7], v[22:23], 0, v[6:7]
	global_load_dwordx2 v[22:23], v[6:7], off sc0 sc1
	s_waitcnt vmcnt(0)
	global_atomic_cmpswap_x2 v[6:7], v29, v[22:25], s[42:43] offset:24 sc0 sc1
	s_waitcnt vmcnt(0)
	buffer_inv sc0 sc1
	v_cmp_ne_u64_e32 vcc, v[6:7], v[24:25]
	s_and_saveexec_b64 s[16:17], vcc
	s_cbranch_execz .LBB9_1421
; %bb.1418:                             ;   in Loop: Header=BB9_1361 Depth=1
	s_mov_b64 s[18:19], 0
.LBB9_1419:                             ;   Parent Loop BB9_1361 Depth=1
                                        ; =>  This Inner Loop Header: Depth=2
	s_sleep 1
	global_load_dwordx2 v[22:23], v29, s[42:43] offset:40
	global_load_dwordx2 v[30:31], v29, s[42:43]
	v_mov_b64_e32 v[24:25], v[6:7]
	s_waitcnt vmcnt(1)
	v_and_b32_e32 v6, v22, v24
	s_waitcnt vmcnt(0)
	v_mad_u64_u32 v[6:7], s[20:21], v6, 24, v[30:31]
	v_and_b32_e32 v23, v23, v25
	v_mov_b32_e32 v22, v7
	v_mad_u64_u32 v[22:23], s[20:21], v23, 24, v[22:23]
	v_mov_b32_e32 v7, v22
	global_load_dwordx2 v[22:23], v[6:7], off sc0 sc1
	s_waitcnt vmcnt(0)
	global_atomic_cmpswap_x2 v[6:7], v29, v[22:25], s[42:43] offset:24 sc0 sc1
	s_waitcnt vmcnt(0)
	buffer_inv sc0 sc1
	v_cmp_eq_u64_e32 vcc, v[6:7], v[24:25]
	s_or_b64 s[18:19], vcc, s[18:19]
	s_andn2_b64 exec, exec, s[18:19]
	s_cbranch_execnz .LBB9_1419
; %bb.1420:                             ;   in Loop: Header=BB9_1361 Depth=1
	s_or_b64 exec, exec, s[18:19]
.LBB9_1421:                             ;   in Loop: Header=BB9_1361 Depth=1
	s_or_b64 exec, exec, s[16:17]
.LBB9_1422:                             ;   in Loop: Header=BB9_1361 Depth=1
	s_or_b64 exec, exec, s[10:11]
	global_load_dwordx2 v[30:31], v29, s[42:43] offset:40
	global_load_dwordx4 v[22:25], v29, s[42:43]
	v_readfirstlane_b32 s10, v6
	v_readfirstlane_b32 s11, v7
	s_mov_b64 s[16:17], exec
	s_waitcnt vmcnt(1)
	v_readfirstlane_b32 s18, v30
	v_readfirstlane_b32 s19, v31
	s_and_b64 s[18:19], s[10:11], s[18:19]
	s_mul_i32 s15, s19, 24
	s_mul_hi_u32 s20, s18, 24
	s_add_i32 s21, s20, s15
	s_mul_i32 s20, s18, 24
	s_waitcnt vmcnt(0)
	v_lshl_add_u64 v[30:31], v[22:23], 0, s[20:21]
	s_and_saveexec_b64 s[20:21], s[0:1]
	s_cbranch_execz .LBB9_1424
; %bb.1423:                             ;   in Loop: Header=BB9_1361 Depth=1
	v_mov_b64_e32 v[6:7], s[16:17]
	global_store_dwordx4 v[30:31], v[6:9], off offset:8
.LBB9_1424:                             ;   in Loop: Header=BB9_1361 Depth=1
	s_or_b64 exec, exec, s[20:21]
	s_lshl_b64 s[16:17], s[18:19], 12
	v_lshl_add_u64 v[6:7], v[24:25], 0, s[16:17]
	v_or_b32_e32 v25, v0, v26
	v_cmp_gt_u64_e64 vcc, s[4:5], 56
	s_lshl_b32 s15, s6, 2
	s_add_i32 s15, s15, 28
	v_cndmask_b32_e32 v0, v25, v0, vcc
	v_or_b32_e32 v24, 0, v1
	s_and_b32 s15, s15, 0x1e0
	v_and_b32_e32 v0, 0xffffff1f, v0
	v_cndmask_b32_e32 v1, v24, v1, vcc
	v_or_b32_e32 v0, s15, v0
	v_readfirstlane_b32 s16, v6
	v_readfirstlane_b32 s17, v7
	s_nop 4
	global_store_dwordx4 v36, v[0:3], s[16:17]
	global_store_dwordx4 v36, v[10:13], s[16:17] offset:16
	global_store_dwordx4 v36, v[14:17], s[16:17] offset:32
	global_store_dwordx4 v36, v[18:21], s[16:17] offset:48
	s_and_saveexec_b64 s[16:17], s[0:1]
	s_cbranch_execz .LBB9_1432
; %bb.1425:                             ;   in Loop: Header=BB9_1361 Depth=1
	global_load_dwordx2 v[14:15], v29, s[42:43] offset:32 sc0 sc1
	global_load_dwordx2 v[0:1], v29, s[42:43] offset:40
	v_mov_b32_e32 v12, s10
	v_mov_b32_e32 v13, s11
	s_waitcnt vmcnt(0)
	v_readfirstlane_b32 s18, v0
	v_readfirstlane_b32 s19, v1
	s_and_b64 s[18:19], s[18:19], s[10:11]
	s_mul_i32 s15, s19, 24
	s_mul_hi_u32 s19, s18, 24
	s_mul_i32 s18, s18, 24
	s_add_i32 s19, s19, s15
	v_lshl_add_u64 v[10:11], v[22:23], 0, s[18:19]
	global_store_dwordx2 v[10:11], v[14:15], off
	buffer_wbl2 sc0 sc1
	s_waitcnt vmcnt(0)
	global_atomic_cmpswap_x2 v[2:3], v29, v[12:15], s[42:43] offset:32 sc0 sc1
	s_waitcnt vmcnt(0)
	v_cmp_ne_u64_e32 vcc, v[2:3], v[14:15]
	s_and_saveexec_b64 s[18:19], vcc
	s_cbranch_execz .LBB9_1428
; %bb.1426:                             ;   in Loop: Header=BB9_1361 Depth=1
	s_mov_b64 s[20:21], 0
.LBB9_1427:                             ;   Parent Loop BB9_1361 Depth=1
                                        ; =>  This Inner Loop Header: Depth=2
	s_sleep 1
	global_store_dwordx2 v[10:11], v[2:3], off
	v_mov_b32_e32 v0, s10
	v_mov_b32_e32 v1, s11
	buffer_wbl2 sc0 sc1
	s_waitcnt vmcnt(0)
	global_atomic_cmpswap_x2 v[0:1], v29, v[0:3], s[42:43] offset:32 sc0 sc1
	s_waitcnt vmcnt(0)
	v_cmp_eq_u64_e32 vcc, v[0:1], v[2:3]
	s_or_b64 s[20:21], vcc, s[20:21]
	v_mov_b64_e32 v[2:3], v[0:1]
	s_andn2_b64 exec, exec, s[20:21]
	s_cbranch_execnz .LBB9_1427
.LBB9_1428:                             ;   in Loop: Header=BB9_1361 Depth=1
	s_or_b64 exec, exec, s[18:19]
	global_load_dwordx2 v[0:1], v29, s[42:43] offset:16
	s_mov_b64 s[20:21], exec
	v_mbcnt_lo_u32_b32 v2, s20, 0
	v_mbcnt_hi_u32_b32 v2, s21, v2
	v_cmp_eq_u32_e32 vcc, 0, v2
	s_and_saveexec_b64 s[18:19], vcc
	s_cbranch_execz .LBB9_1430
; %bb.1429:                             ;   in Loop: Header=BB9_1361 Depth=1
	s_bcnt1_i32_b64 s15, s[20:21]
	v_mov_b32_e32 v28, s15
	buffer_wbl2 sc0 sc1
	s_waitcnt vmcnt(0)
	global_atomic_add_x2 v[0:1], v[28:29], off offset:8 sc1
.LBB9_1430:                             ;   in Loop: Header=BB9_1361 Depth=1
	s_or_b64 exec, exec, s[18:19]
	s_waitcnt vmcnt(0)
	global_load_dwordx2 v[2:3], v[0:1], off offset:16
	s_waitcnt vmcnt(0)
	v_cmp_eq_u64_e32 vcc, 0, v[2:3]
	s_cbranch_vccnz .LBB9_1432
; %bb.1431:                             ;   in Loop: Header=BB9_1361 Depth=1
	global_load_dword v28, v[0:1], off offset:24
	s_waitcnt vmcnt(0)
	v_and_b32_e32 v0, 0xffffff, v28
	s_nop 0
	v_readfirstlane_b32 m0, v0
	buffer_wbl2 sc0 sc1
	global_store_dwordx2 v[2:3], v[28:29], off sc0 sc1
	s_sendmsg sendmsg(MSG_INTERRUPT)
.LBB9_1432:                             ;   in Loop: Header=BB9_1361 Depth=1
	s_or_b64 exec, exec, s[16:17]
	v_mov_b32_e32 v37, v29
	v_lshl_add_u64 v[0:1], v[6:7], 0, v[36:37]
	s_branch .LBB9_1436
.LBB9_1433:                             ;   in Loop: Header=BB9_1436 Depth=2
	s_or_b64 exec, exec, s[16:17]
	v_readfirstlane_b32 s15, v2
	s_cmp_eq_u32 s15, 0
	s_cbranch_scc1 .LBB9_1435
; %bb.1434:                             ;   in Loop: Header=BB9_1436 Depth=2
	s_sleep 1
	s_cbranch_execnz .LBB9_1436
	s_branch .LBB9_1438
.LBB9_1435:                             ;   in Loop: Header=BB9_1361 Depth=1
	s_branch .LBB9_1438
.LBB9_1436:                             ;   Parent Loop BB9_1361 Depth=1
                                        ; =>  This Inner Loop Header: Depth=2
	v_mov_b32_e32 v2, 1
	s_and_saveexec_b64 s[16:17], s[0:1]
	s_cbranch_execz .LBB9_1433
; %bb.1437:                             ;   in Loop: Header=BB9_1436 Depth=2
	global_load_dword v2, v[30:31], off offset:20 sc0 sc1
	s_waitcnt vmcnt(0)
	buffer_inv sc0 sc1
	v_and_b32_e32 v2, 1, v2
	s_branch .LBB9_1433
.LBB9_1438:                             ;   in Loop: Header=BB9_1361 Depth=1
	global_load_dwordx4 v[0:3], v[0:1], off
	s_and_saveexec_b64 s[16:17], s[0:1]
	s_cbranch_execz .LBB9_1360
; %bb.1439:                             ;   in Loop: Header=BB9_1361 Depth=1
	global_load_dwordx2 v[2:3], v29, s[42:43] offset:40
	global_load_dwordx2 v[6:7], v29, s[42:43] offset:24 sc0 sc1
	global_load_dwordx2 v[14:15], v29, s[42:43]
	s_waitcnt vmcnt(2)
	v_lshl_add_u64 v[10:11], v[2:3], 0, 1
	v_lshl_add_u64 v[16:17], v[10:11], 0, s[10:11]
	v_cmp_eq_u64_e32 vcc, 0, v[16:17]
	s_waitcnt vmcnt(1)
	v_mov_b32_e32 v12, v6
	v_cndmask_b32_e32 v11, v17, v11, vcc
	v_cndmask_b32_e32 v10, v16, v10, vcc
	v_and_b32_e32 v3, v11, v3
	v_and_b32_e32 v2, v10, v2
	v_mul_lo_u32 v3, v3, 24
	v_mul_hi_u32 v13, v2, 24
	v_mul_lo_u32 v2, v2, 24
	v_add_u32_e32 v3, v13, v3
	s_waitcnt vmcnt(0)
	v_lshl_add_u64 v[2:3], v[14:15], 0, v[2:3]
	global_store_dwordx2 v[2:3], v[6:7], off
	v_mov_b32_e32 v13, v7
	buffer_wbl2 sc0 sc1
	s_waitcnt vmcnt(0)
	global_atomic_cmpswap_x2 v[12:13], v29, v[10:13], s[42:43] offset:24 sc0 sc1
	s_waitcnt vmcnt(0)
	v_cmp_ne_u64_e32 vcc, v[12:13], v[6:7]
	s_and_b64 exec, exec, vcc
	s_cbranch_execz .LBB9_1360
; %bb.1440:                             ;   in Loop: Header=BB9_1361 Depth=1
	s_mov_b64 s[0:1], 0
.LBB9_1441:                             ;   Parent Loop BB9_1361 Depth=1
                                        ; =>  This Inner Loop Header: Depth=2
	s_sleep 1
	global_store_dwordx2 v[2:3], v[12:13], off
	buffer_wbl2 sc0 sc1
	s_waitcnt vmcnt(0)
	global_atomic_cmpswap_x2 v[6:7], v29, v[10:13], s[42:43] offset:24 sc0 sc1
	s_waitcnt vmcnt(0)
	v_cmp_eq_u64_e32 vcc, v[6:7], v[12:13]
	s_or_b64 s[0:1], vcc, s[0:1]
	v_mov_b64_e32 v[12:13], v[6:7]
	s_andn2_b64 exec, exec, s[0:1]
	s_cbranch_execnz .LBB9_1441
	s_branch .LBB9_1360
.LBB9_1442:
	s_branch .LBB9_1470
.LBB9_1443:
                                        ; implicit-def: $vgpr0_vgpr1
	s_cbranch_execz .LBB9_1470
; %bb.1444:
	v_readfirstlane_b32 s0, v47
	v_mov_b64_e32 v[6:7], 0
	s_nop 0
	v_cmp_eq_u32_e64 s[0:1], s0, v47
	s_and_saveexec_b64 s[2:3], s[0:1]
	s_cbranch_execz .LBB9_1450
; %bb.1445:
	s_waitcnt vmcnt(0)
	v_mov_b32_e32 v0, 0
	global_load_dwordx2 v[8:9], v0, s[42:43] offset:24 sc0 sc1
	s_waitcnt vmcnt(0)
	buffer_inv sc0 sc1
	global_load_dwordx2 v[2:3], v0, s[42:43] offset:40
	global_load_dwordx2 v[6:7], v0, s[42:43]
	s_waitcnt vmcnt(1)
	v_and_b32_e32 v1, v2, v8
	v_and_b32_e32 v2, v3, v9
	v_mul_lo_u32 v2, v2, 24
	v_mul_hi_u32 v3, v1, 24
	v_add_u32_e32 v3, v3, v2
	v_mul_lo_u32 v2, v1, 24
	s_waitcnt vmcnt(0)
	v_lshl_add_u64 v[2:3], v[6:7], 0, v[2:3]
	global_load_dwordx2 v[6:7], v[2:3], off sc0 sc1
	s_waitcnt vmcnt(0)
	global_atomic_cmpswap_x2 v[6:7], v0, v[6:9], s[42:43] offset:24 sc0 sc1
	s_waitcnt vmcnt(0)
	buffer_inv sc0 sc1
	v_cmp_ne_u64_e32 vcc, v[6:7], v[8:9]
	s_and_saveexec_b64 s[4:5], vcc
	s_cbranch_execz .LBB9_1449
; %bb.1446:
	s_mov_b64 s[6:7], 0
.LBB9_1447:                             ; =>This Inner Loop Header: Depth=1
	s_sleep 1
	global_load_dwordx2 v[2:3], v0, s[42:43] offset:40
	global_load_dwordx2 v[10:11], v0, s[42:43]
	v_mov_b64_e32 v[8:9], v[6:7]
	s_waitcnt vmcnt(1)
	v_and_b32_e32 v2, v2, v8
	v_and_b32_e32 v1, v3, v9
	s_waitcnt vmcnt(0)
	v_mad_u64_u32 v[2:3], s[10:11], v2, 24, v[10:11]
	v_mov_b32_e32 v6, v3
	v_mad_u64_u32 v[6:7], s[10:11], v1, 24, v[6:7]
	v_mov_b32_e32 v3, v6
	global_load_dwordx2 v[6:7], v[2:3], off sc0 sc1
	s_waitcnt vmcnt(0)
	global_atomic_cmpswap_x2 v[6:7], v0, v[6:9], s[42:43] offset:24 sc0 sc1
	s_waitcnt vmcnt(0)
	buffer_inv sc0 sc1
	v_cmp_eq_u64_e32 vcc, v[6:7], v[8:9]
	s_or_b64 s[6:7], vcc, s[6:7]
	s_andn2_b64 exec, exec, s[6:7]
	s_cbranch_execnz .LBB9_1447
; %bb.1448:
	s_or_b64 exec, exec, s[6:7]
.LBB9_1449:
	s_or_b64 exec, exec, s[4:5]
.LBB9_1450:
	s_or_b64 exec, exec, s[2:3]
	v_mov_b32_e32 v37, 0
	global_load_dwordx2 v[8:9], v37, s[42:43] offset:40
	global_load_dwordx4 v[0:3], v37, s[42:43]
	v_readfirstlane_b32 s2, v6
	v_readfirstlane_b32 s3, v7
	s_mov_b64 s[4:5], exec
	s_waitcnt vmcnt(1)
	v_readfirstlane_b32 s6, v8
	v_readfirstlane_b32 s7, v9
	s_and_b64 s[6:7], s[2:3], s[6:7]
	s_mul_i32 s10, s7, 24
	s_mul_hi_u32 s11, s6, 24
	s_add_i32 s11, s11, s10
	s_mul_i32 s10, s6, 24
	s_waitcnt vmcnt(0)
	v_lshl_add_u64 v[8:9], v[0:1], 0, s[10:11]
	s_and_saveexec_b64 s[10:11], s[0:1]
	s_cbranch_execz .LBB9_1452
; %bb.1451:
	v_mov_b64_e32 v[10:11], s[4:5]
	v_mov_b32_e32 v12, 2
	v_mov_b32_e32 v13, 1
	global_store_dwordx4 v[8:9], v[10:13], off offset:8
.LBB9_1452:
	s_or_b64 exec, exec, s[10:11]
	s_lshl_b64 s[4:5], s[6:7], 12
	v_lshl_add_u64 v[10:11], v[2:3], 0, s[4:5]
	s_movk_i32 s4, 0xff1f
	v_and_or_b32 v4, v4, s4, 32
	s_mov_b32 s4, 0
	v_mov_b32_e32 v6, v37
	v_mov_b32_e32 v7, v37
	v_readfirstlane_b32 s10, v10
	v_readfirstlane_b32 s11, v11
	s_mov_b32 s5, s4
	s_mov_b32 s6, s4
	;; [unrolled: 1-line block ×3, first 2 shown]
	s_nop 1
	global_store_dwordx4 v36, v[4:7], s[10:11]
	v_mov_b64_e32 v[2:3], s[4:5]
	s_nop 0
	v_mov_b64_e32 v[4:5], s[6:7]
	global_store_dwordx4 v36, v[2:5], s[10:11] offset:16
	global_store_dwordx4 v36, v[2:5], s[10:11] offset:32
	;; [unrolled: 1-line block ×3, first 2 shown]
	s_and_saveexec_b64 s[4:5], s[0:1]
	s_cbranch_execz .LBB9_1460
; %bb.1453:
	v_mov_b32_e32 v6, 0
	global_load_dwordx2 v[14:15], v6, s[42:43] offset:32 sc0 sc1
	global_load_dwordx2 v[2:3], v6, s[42:43] offset:40
	v_mov_b32_e32 v12, s2
	v_mov_b32_e32 v13, s3
	s_waitcnt vmcnt(0)
	v_readfirstlane_b32 s6, v2
	v_readfirstlane_b32 s7, v3
	s_and_b64 s[6:7], s[6:7], s[2:3]
	s_mul_i32 s7, s7, 24
	s_mul_hi_u32 s10, s6, 24
	s_mul_i32 s6, s6, 24
	s_add_i32 s7, s10, s7
	v_lshl_add_u64 v[4:5], v[0:1], 0, s[6:7]
	global_store_dwordx2 v[4:5], v[14:15], off
	buffer_wbl2 sc0 sc1
	s_waitcnt vmcnt(0)
	global_atomic_cmpswap_x2 v[2:3], v6, v[12:15], s[42:43] offset:32 sc0 sc1
	s_waitcnt vmcnt(0)
	v_cmp_ne_u64_e32 vcc, v[2:3], v[14:15]
	s_and_saveexec_b64 s[6:7], vcc
	s_cbranch_execz .LBB9_1456
; %bb.1454:
	s_mov_b64 s[10:11], 0
.LBB9_1455:                             ; =>This Inner Loop Header: Depth=1
	s_sleep 1
	global_store_dwordx2 v[4:5], v[2:3], off
	v_mov_b32_e32 v0, s2
	v_mov_b32_e32 v1, s3
	buffer_wbl2 sc0 sc1
	s_waitcnt vmcnt(0)
	global_atomic_cmpswap_x2 v[0:1], v6, v[0:3], s[42:43] offset:32 sc0 sc1
	s_waitcnt vmcnt(0)
	v_cmp_eq_u64_e32 vcc, v[0:1], v[2:3]
	s_or_b64 s[10:11], vcc, s[10:11]
	v_mov_b64_e32 v[2:3], v[0:1]
	s_andn2_b64 exec, exec, s[10:11]
	s_cbranch_execnz .LBB9_1455
.LBB9_1456:
	s_or_b64 exec, exec, s[6:7]
	v_mov_b32_e32 v3, 0
	global_load_dwordx2 v[0:1], v3, s[42:43] offset:16
	s_mov_b64 s[6:7], exec
	v_mbcnt_lo_u32_b32 v2, s6, 0
	v_mbcnt_hi_u32_b32 v2, s7, v2
	v_cmp_eq_u32_e32 vcc, 0, v2
	s_and_saveexec_b64 s[10:11], vcc
	s_cbranch_execz .LBB9_1458
; %bb.1457:
	s_bcnt1_i32_b64 s6, s[6:7]
	v_mov_b32_e32 v2, s6
	buffer_wbl2 sc0 sc1
	s_waitcnt vmcnt(0)
	global_atomic_add_x2 v[0:1], v[2:3], off offset:8 sc1
.LBB9_1458:
	s_or_b64 exec, exec, s[10:11]
	s_waitcnt vmcnt(0)
	global_load_dwordx2 v[2:3], v[0:1], off offset:16
	s_waitcnt vmcnt(0)
	v_cmp_eq_u64_e32 vcc, 0, v[2:3]
	s_cbranch_vccnz .LBB9_1460
; %bb.1459:
	global_load_dword v0, v[0:1], off offset:24
	v_mov_b32_e32 v1, 0
	buffer_wbl2 sc0 sc1
	s_waitcnt vmcnt(0)
	global_store_dwordx2 v[2:3], v[0:1], off sc0 sc1
	v_and_b32_e32 v0, 0xffffff, v0
	s_nop 0
	v_readfirstlane_b32 m0, v0
	s_sendmsg sendmsg(MSG_INTERRUPT)
.LBB9_1460:
	s_or_b64 exec, exec, s[4:5]
	v_lshl_add_u64 v[0:1], v[10:11], 0, v[36:37]
	s_branch .LBB9_1464
.LBB9_1461:                             ;   in Loop: Header=BB9_1464 Depth=1
	s_or_b64 exec, exec, s[4:5]
	v_readfirstlane_b32 s4, v2
	s_cmp_eq_u32 s4, 0
	s_cbranch_scc1 .LBB9_1463
; %bb.1462:                             ;   in Loop: Header=BB9_1464 Depth=1
	s_sleep 1
	s_cbranch_execnz .LBB9_1464
	s_branch .LBB9_1466
.LBB9_1463:
	s_branch .LBB9_1466
.LBB9_1464:                             ; =>This Inner Loop Header: Depth=1
	v_mov_b32_e32 v2, 1
	s_and_saveexec_b64 s[4:5], s[0:1]
	s_cbranch_execz .LBB9_1461
; %bb.1465:                             ;   in Loop: Header=BB9_1464 Depth=1
	global_load_dword v2, v[8:9], off offset:20 sc0 sc1
	s_waitcnt vmcnt(0)
	buffer_inv sc0 sc1
	v_and_b32_e32 v2, 1, v2
	s_branch .LBB9_1461
.LBB9_1466:
	global_load_dwordx2 v[0:1], v[0:1], off
	s_and_saveexec_b64 s[4:5], s[0:1]
	s_cbranch_execz .LBB9_1469
; %bb.1467:
	v_mov_b32_e32 v8, 0
	global_load_dwordx2 v[6:7], v8, s[42:43] offset:40
	global_load_dwordx2 v[10:11], v8, s[42:43] offset:24 sc0 sc1
	global_load_dwordx2 v[12:13], v8, s[42:43]
	s_mov_b64 s[0:1], 0
	s_waitcnt vmcnt(2)
	v_lshl_add_u64 v[2:3], v[6:7], 0, 1
	v_lshl_add_u64 v[14:15], v[2:3], 0, s[2:3]
	v_cmp_eq_u64_e32 vcc, 0, v[14:15]
	s_waitcnt vmcnt(1)
	v_mov_b32_e32 v4, v10
	v_cndmask_b32_e32 v3, v15, v3, vcc
	v_cndmask_b32_e32 v2, v14, v2, vcc
	v_and_b32_e32 v5, v3, v7
	v_and_b32_e32 v6, v2, v6
	v_mul_lo_u32 v5, v5, 24
	v_mul_hi_u32 v7, v6, 24
	v_mul_lo_u32 v6, v6, 24
	v_add_u32_e32 v7, v7, v5
	s_waitcnt vmcnt(0)
	v_lshl_add_u64 v[6:7], v[12:13], 0, v[6:7]
	global_store_dwordx2 v[6:7], v[10:11], off
	v_mov_b32_e32 v5, v11
	buffer_wbl2 sc0 sc1
	s_waitcnt vmcnt(0)
	global_atomic_cmpswap_x2 v[4:5], v8, v[2:5], s[42:43] offset:24 sc0 sc1
	s_waitcnt vmcnt(0)
	v_cmp_ne_u64_e32 vcc, v[4:5], v[10:11]
	s_and_b64 exec, exec, vcc
	s_cbranch_execz .LBB9_1469
.LBB9_1468:                             ; =>This Inner Loop Header: Depth=1
	s_sleep 1
	global_store_dwordx2 v[6:7], v[4:5], off
	buffer_wbl2 sc0 sc1
	s_waitcnt vmcnt(0)
	global_atomic_cmpswap_x2 v[10:11], v8, v[2:5], s[42:43] offset:24 sc0 sc1
	s_waitcnt vmcnt(0)
	v_cmp_eq_u64_e32 vcc, v[10:11], v[4:5]
	s_or_b64 s[0:1], vcc, s[0:1]
	v_mov_b64_e32 v[4:5], v[10:11]
	s_andn2_b64 exec, exec, s[0:1]
	s_cbranch_execnz .LBB9_1468
.LBB9_1469:
	s_or_b64 exec, exec, s[4:5]
.LBB9_1470:
	s_getpc_b64 s[2:3]
	s_add_u32 s2, s2, .str.2@rel32@lo+4
	s_addc_u32 s3, s3, .str.2@rel32@hi+12
	s_cmp_lg_u64 s[2:3], 0
	s_cbranch_scc0 .LBB9_1555
; %bb.1471:
	s_waitcnt vmcnt(0)
	v_and_b32_e32 v6, -3, v0
	v_mov_b32_e32 v7, v1
	s_mov_b64 s[4:5], 13
	v_mov_b32_e32 v27, 0
	v_mov_b32_e32 v4, 2
	;; [unrolled: 1-line block ×3, first 2 shown]
	s_branch .LBB9_1473
.LBB9_1472:                             ;   in Loop: Header=BB9_1473 Depth=1
	s_or_b64 exec, exec, s[16:17]
	s_sub_u32 s4, s4, s6
	s_subb_u32 s5, s5, s7
	s_add_u32 s2, s2, s6
	s_addc_u32 s3, s3, s7
	s_cmp_lg_u64 s[4:5], 0
	s_cbranch_scc0 .LBB9_1554
.LBB9_1473:                             ; =>This Loop Header: Depth=1
                                        ;     Child Loop BB9_1476 Depth 2
                                        ;     Child Loop BB9_1483 Depth 2
	;; [unrolled: 1-line block ×11, first 2 shown]
	v_cmp_lt_u64_e64 s[0:1], s[4:5], 56
	s_and_b64 s[0:1], s[0:1], exec
	v_cmp_gt_u64_e64 s[0:1], s[4:5], 7
	s_cselect_b32 s7, s5, 0
	s_cselect_b32 s6, s4, 56
	s_and_b64 vcc, exec, s[0:1]
	s_cbranch_vccnz .LBB9_1478
; %bb.1474:                             ;   in Loop: Header=BB9_1473 Depth=1
	s_mov_b64 s[0:1], 0
	s_cmp_eq_u64 s[4:5], 0
	s_waitcnt vmcnt(0)
	v_mov_b64_e32 v[8:9], 0
	s_cbranch_scc1 .LBB9_1477
; %bb.1475:                             ;   in Loop: Header=BB9_1473 Depth=1
	s_lshl_b64 s[10:11], s[6:7], 3
	s_mov_b64 s[16:17], 0
	v_mov_b64_e32 v[8:9], 0
	s_mov_b64 s[18:19], s[2:3]
.LBB9_1476:                             ;   Parent Loop BB9_1473 Depth=1
                                        ; =>  This Inner Loop Header: Depth=2
	global_load_ubyte v2, v27, s[18:19]
	s_waitcnt vmcnt(0)
	v_and_b32_e32 v26, 0xffff, v2
	v_lshlrev_b64 v[2:3], s16, v[26:27]
	s_add_u32 s16, s16, 8
	s_addc_u32 s17, s17, 0
	s_add_u32 s18, s18, 1
	s_addc_u32 s19, s19, 0
	v_or_b32_e32 v8, v2, v8
	s_cmp_lg_u32 s10, s16
	v_or_b32_e32 v9, v3, v9
	s_cbranch_scc1 .LBB9_1476
.LBB9_1477:                             ;   in Loop: Header=BB9_1473 Depth=1
	s_mov_b32 s15, 0
	s_andn2_b64 vcc, exec, s[0:1]
	s_mov_b64 s[0:1], s[2:3]
	s_cbranch_vccz .LBB9_1479
	s_branch .LBB9_1480
.LBB9_1478:                             ;   in Loop: Header=BB9_1473 Depth=1
                                        ; implicit-def: $sgpr15
	s_mov_b64 s[0:1], s[2:3]
.LBB9_1479:                             ;   in Loop: Header=BB9_1473 Depth=1
	global_load_dwordx2 v[8:9], v27, s[2:3]
	s_add_i32 s15, s6, -8
	s_add_u32 s0, s2, 8
	s_addc_u32 s1, s3, 0
.LBB9_1480:                             ;   in Loop: Header=BB9_1473 Depth=1
	s_cmp_gt_u32 s15, 7
	s_cbranch_scc1 .LBB9_1484
; %bb.1481:                             ;   in Loop: Header=BB9_1473 Depth=1
	s_cmp_eq_u32 s15, 0
	s_cbranch_scc1 .LBB9_1485
; %bb.1482:                             ;   in Loop: Header=BB9_1473 Depth=1
	s_mov_b64 s[10:11], 0
	v_mov_b64_e32 v[10:11], 0
	s_mov_b64 s[16:17], 0
.LBB9_1483:                             ;   Parent Loop BB9_1473 Depth=1
                                        ; =>  This Inner Loop Header: Depth=2
	s_add_u32 s18, s0, s16
	s_addc_u32 s19, s1, s17
	global_load_ubyte v2, v27, s[18:19]
	s_add_u32 s16, s16, 1
	s_addc_u32 s17, s17, 0
	s_waitcnt vmcnt(0)
	v_and_b32_e32 v26, 0xffff, v2
	v_lshlrev_b64 v[2:3], s10, v[26:27]
	s_add_u32 s10, s10, 8
	s_addc_u32 s11, s11, 0
	v_or_b32_e32 v10, v2, v10
	s_cmp_lg_u32 s15, s16
	v_or_b32_e32 v11, v3, v11
	s_cbranch_scc1 .LBB9_1483
	s_branch .LBB9_1486
.LBB9_1484:                             ;   in Loop: Header=BB9_1473 Depth=1
                                        ; implicit-def: $vgpr10_vgpr11
                                        ; implicit-def: $sgpr18
	s_branch .LBB9_1487
.LBB9_1485:                             ;   in Loop: Header=BB9_1473 Depth=1
	v_mov_b64_e32 v[10:11], 0
.LBB9_1486:                             ;   in Loop: Header=BB9_1473 Depth=1
	s_mov_b32 s18, 0
	s_cbranch_execnz .LBB9_1488
.LBB9_1487:                             ;   in Loop: Header=BB9_1473 Depth=1
	global_load_dwordx2 v[10:11], v27, s[0:1]
	s_add_i32 s18, s15, -8
	s_add_u32 s0, s0, 8
	s_addc_u32 s1, s1, 0
.LBB9_1488:                             ;   in Loop: Header=BB9_1473 Depth=1
	s_cmp_gt_u32 s18, 7
	s_cbranch_scc1 .LBB9_1492
; %bb.1489:                             ;   in Loop: Header=BB9_1473 Depth=1
	s_cmp_eq_u32 s18, 0
	s_cbranch_scc1 .LBB9_1493
; %bb.1490:                             ;   in Loop: Header=BB9_1473 Depth=1
	s_mov_b64 s[10:11], 0
	v_mov_b64_e32 v[12:13], 0
	s_mov_b64 s[16:17], 0
.LBB9_1491:                             ;   Parent Loop BB9_1473 Depth=1
                                        ; =>  This Inner Loop Header: Depth=2
	s_add_u32 s20, s0, s16
	s_addc_u32 s21, s1, s17
	global_load_ubyte v2, v27, s[20:21]
	s_add_u32 s16, s16, 1
	s_addc_u32 s17, s17, 0
	s_waitcnt vmcnt(0)
	v_and_b32_e32 v26, 0xffff, v2
	v_lshlrev_b64 v[2:3], s10, v[26:27]
	s_add_u32 s10, s10, 8
	s_addc_u32 s11, s11, 0
	v_or_b32_e32 v12, v2, v12
	s_cmp_lg_u32 s18, s16
	v_or_b32_e32 v13, v3, v13
	s_cbranch_scc1 .LBB9_1491
	s_branch .LBB9_1494
.LBB9_1492:                             ;   in Loop: Header=BB9_1473 Depth=1
                                        ; implicit-def: $sgpr15
	s_branch .LBB9_1495
.LBB9_1493:                             ;   in Loop: Header=BB9_1473 Depth=1
	v_mov_b64_e32 v[12:13], 0
.LBB9_1494:                             ;   in Loop: Header=BB9_1473 Depth=1
	s_mov_b32 s15, 0
	s_cbranch_execnz .LBB9_1496
.LBB9_1495:                             ;   in Loop: Header=BB9_1473 Depth=1
	global_load_dwordx2 v[12:13], v27, s[0:1]
	s_add_i32 s15, s18, -8
	s_add_u32 s0, s0, 8
	s_addc_u32 s1, s1, 0
.LBB9_1496:                             ;   in Loop: Header=BB9_1473 Depth=1
	s_cmp_gt_u32 s15, 7
	s_cbranch_scc1 .LBB9_1500
; %bb.1497:                             ;   in Loop: Header=BB9_1473 Depth=1
	s_cmp_eq_u32 s15, 0
	s_cbranch_scc1 .LBB9_1501
; %bb.1498:                             ;   in Loop: Header=BB9_1473 Depth=1
	s_mov_b64 s[10:11], 0
	v_mov_b64_e32 v[14:15], 0
	s_mov_b64 s[16:17], 0
.LBB9_1499:                             ;   Parent Loop BB9_1473 Depth=1
                                        ; =>  This Inner Loop Header: Depth=2
	s_add_u32 s18, s0, s16
	s_addc_u32 s19, s1, s17
	global_load_ubyte v2, v27, s[18:19]
	s_add_u32 s16, s16, 1
	s_addc_u32 s17, s17, 0
	s_waitcnt vmcnt(0)
	v_and_b32_e32 v26, 0xffff, v2
	v_lshlrev_b64 v[2:3], s10, v[26:27]
	s_add_u32 s10, s10, 8
	s_addc_u32 s11, s11, 0
	v_or_b32_e32 v14, v2, v14
	s_cmp_lg_u32 s15, s16
	v_or_b32_e32 v15, v3, v15
	s_cbranch_scc1 .LBB9_1499
	s_branch .LBB9_1502
.LBB9_1500:                             ;   in Loop: Header=BB9_1473 Depth=1
                                        ; implicit-def: $vgpr14_vgpr15
                                        ; implicit-def: $sgpr18
	s_branch .LBB9_1503
.LBB9_1501:                             ;   in Loop: Header=BB9_1473 Depth=1
	v_mov_b64_e32 v[14:15], 0
.LBB9_1502:                             ;   in Loop: Header=BB9_1473 Depth=1
	s_mov_b32 s18, 0
	s_cbranch_execnz .LBB9_1504
.LBB9_1503:                             ;   in Loop: Header=BB9_1473 Depth=1
	global_load_dwordx2 v[14:15], v27, s[0:1]
	s_add_i32 s18, s15, -8
	s_add_u32 s0, s0, 8
	s_addc_u32 s1, s1, 0
.LBB9_1504:                             ;   in Loop: Header=BB9_1473 Depth=1
	s_cmp_gt_u32 s18, 7
	s_cbranch_scc1 .LBB9_1508
; %bb.1505:                             ;   in Loop: Header=BB9_1473 Depth=1
	s_cmp_eq_u32 s18, 0
	s_cbranch_scc1 .LBB9_1509
; %bb.1506:                             ;   in Loop: Header=BB9_1473 Depth=1
	s_mov_b64 s[10:11], 0
	v_mov_b64_e32 v[16:17], 0
	s_mov_b64 s[16:17], 0
.LBB9_1507:                             ;   Parent Loop BB9_1473 Depth=1
                                        ; =>  This Inner Loop Header: Depth=2
	s_add_u32 s20, s0, s16
	s_addc_u32 s21, s1, s17
	global_load_ubyte v2, v27, s[20:21]
	s_add_u32 s16, s16, 1
	s_addc_u32 s17, s17, 0
	s_waitcnt vmcnt(0)
	v_and_b32_e32 v26, 0xffff, v2
	v_lshlrev_b64 v[2:3], s10, v[26:27]
	s_add_u32 s10, s10, 8
	s_addc_u32 s11, s11, 0
	v_or_b32_e32 v16, v2, v16
	s_cmp_lg_u32 s18, s16
	v_or_b32_e32 v17, v3, v17
	s_cbranch_scc1 .LBB9_1507
	s_branch .LBB9_1510
.LBB9_1508:                             ;   in Loop: Header=BB9_1473 Depth=1
                                        ; implicit-def: $sgpr15
	s_branch .LBB9_1511
.LBB9_1509:                             ;   in Loop: Header=BB9_1473 Depth=1
	v_mov_b64_e32 v[16:17], 0
.LBB9_1510:                             ;   in Loop: Header=BB9_1473 Depth=1
	s_mov_b32 s15, 0
	s_cbranch_execnz .LBB9_1512
.LBB9_1511:                             ;   in Loop: Header=BB9_1473 Depth=1
	global_load_dwordx2 v[16:17], v27, s[0:1]
	s_add_i32 s15, s18, -8
	s_add_u32 s0, s0, 8
	s_addc_u32 s1, s1, 0
.LBB9_1512:                             ;   in Loop: Header=BB9_1473 Depth=1
	s_cmp_gt_u32 s15, 7
	s_cbranch_scc1 .LBB9_1516
; %bb.1513:                             ;   in Loop: Header=BB9_1473 Depth=1
	s_cmp_eq_u32 s15, 0
	s_cbranch_scc1 .LBB9_1517
; %bb.1514:                             ;   in Loop: Header=BB9_1473 Depth=1
	s_mov_b64 s[10:11], 0
	v_mov_b64_e32 v[18:19], 0
	s_mov_b64 s[16:17], 0
.LBB9_1515:                             ;   Parent Loop BB9_1473 Depth=1
                                        ; =>  This Inner Loop Header: Depth=2
	s_add_u32 s18, s0, s16
	s_addc_u32 s19, s1, s17
	global_load_ubyte v2, v27, s[18:19]
	s_add_u32 s16, s16, 1
	s_addc_u32 s17, s17, 0
	s_waitcnt vmcnt(0)
	v_and_b32_e32 v26, 0xffff, v2
	v_lshlrev_b64 v[2:3], s10, v[26:27]
	s_add_u32 s10, s10, 8
	s_addc_u32 s11, s11, 0
	v_or_b32_e32 v18, v2, v18
	s_cmp_lg_u32 s15, s16
	v_or_b32_e32 v19, v3, v19
	s_cbranch_scc1 .LBB9_1515
	s_branch .LBB9_1518
.LBB9_1516:                             ;   in Loop: Header=BB9_1473 Depth=1
                                        ; implicit-def: $vgpr18_vgpr19
                                        ; implicit-def: $sgpr18
	s_branch .LBB9_1519
.LBB9_1517:                             ;   in Loop: Header=BB9_1473 Depth=1
	v_mov_b64_e32 v[18:19], 0
.LBB9_1518:                             ;   in Loop: Header=BB9_1473 Depth=1
	s_mov_b32 s18, 0
	s_cbranch_execnz .LBB9_1520
.LBB9_1519:                             ;   in Loop: Header=BB9_1473 Depth=1
	global_load_dwordx2 v[18:19], v27, s[0:1]
	s_add_i32 s18, s15, -8
	s_add_u32 s0, s0, 8
	s_addc_u32 s1, s1, 0
.LBB9_1520:                             ;   in Loop: Header=BB9_1473 Depth=1
	s_cmp_gt_u32 s18, 7
	s_cbranch_scc1 .LBB9_1524
; %bb.1521:                             ;   in Loop: Header=BB9_1473 Depth=1
	s_cmp_eq_u32 s18, 0
	s_cbranch_scc1 .LBB9_1525
; %bb.1522:                             ;   in Loop: Header=BB9_1473 Depth=1
	s_mov_b64 s[10:11], 0
	v_mov_b64_e32 v[20:21], 0
	s_mov_b64 s[16:17], s[0:1]
.LBB9_1523:                             ;   Parent Loop BB9_1473 Depth=1
                                        ; =>  This Inner Loop Header: Depth=2
	global_load_ubyte v2, v27, s[16:17]
	s_add_i32 s18, s18, -1
	s_waitcnt vmcnt(0)
	v_and_b32_e32 v26, 0xffff, v2
	v_lshlrev_b64 v[2:3], s10, v[26:27]
	s_add_u32 s10, s10, 8
	s_addc_u32 s11, s11, 0
	s_add_u32 s16, s16, 1
	s_addc_u32 s17, s17, 0
	v_or_b32_e32 v20, v2, v20
	s_cmp_lg_u32 s18, 0
	v_or_b32_e32 v21, v3, v21
	s_cbranch_scc1 .LBB9_1523
	s_branch .LBB9_1526
.LBB9_1524:                             ;   in Loop: Header=BB9_1473 Depth=1
	s_branch .LBB9_1527
.LBB9_1525:                             ;   in Loop: Header=BB9_1473 Depth=1
	v_mov_b64_e32 v[20:21], 0
.LBB9_1526:                             ;   in Loop: Header=BB9_1473 Depth=1
	s_cbranch_execnz .LBB9_1528
.LBB9_1527:                             ;   in Loop: Header=BB9_1473 Depth=1
	global_load_dwordx2 v[20:21], v27, s[0:1]
.LBB9_1528:                             ;   in Loop: Header=BB9_1473 Depth=1
	v_readfirstlane_b32 s0, v47
	v_mov_b64_e32 v[2:3], 0
	s_nop 0
	v_cmp_eq_u32_e64 s[0:1], s0, v47
	s_and_saveexec_b64 s[10:11], s[0:1]
	s_cbranch_execz .LBB9_1534
; %bb.1529:                             ;   in Loop: Header=BB9_1473 Depth=1
	global_load_dwordx2 v[24:25], v27, s[42:43] offset:24 sc0 sc1
	s_waitcnt vmcnt(0)
	buffer_inv sc0 sc1
	global_load_dwordx2 v[2:3], v27, s[42:43] offset:40
	global_load_dwordx2 v[22:23], v27, s[42:43]
	s_waitcnt vmcnt(1)
	v_and_b32_e32 v2, v2, v24
	v_and_b32_e32 v3, v3, v25
	v_mul_lo_u32 v3, v3, 24
	v_mul_hi_u32 v26, v2, 24
	v_add_u32_e32 v3, v26, v3
	v_mul_lo_u32 v2, v2, 24
	s_waitcnt vmcnt(0)
	v_lshl_add_u64 v[2:3], v[22:23], 0, v[2:3]
	global_load_dwordx2 v[22:23], v[2:3], off sc0 sc1
	s_waitcnt vmcnt(0)
	global_atomic_cmpswap_x2 v[2:3], v27, v[22:25], s[42:43] offset:24 sc0 sc1
	s_waitcnt vmcnt(0)
	buffer_inv sc0 sc1
	v_cmp_ne_u64_e32 vcc, v[2:3], v[24:25]
	s_and_saveexec_b64 s[16:17], vcc
	s_cbranch_execz .LBB9_1533
; %bb.1530:                             ;   in Loop: Header=BB9_1473 Depth=1
	s_mov_b64 s[18:19], 0
.LBB9_1531:                             ;   Parent Loop BB9_1473 Depth=1
                                        ; =>  This Inner Loop Header: Depth=2
	s_sleep 1
	global_load_dwordx2 v[22:23], v27, s[42:43] offset:40
	global_load_dwordx2 v[28:29], v27, s[42:43]
	v_mov_b64_e32 v[24:25], v[2:3]
	s_waitcnt vmcnt(1)
	v_and_b32_e32 v2, v22, v24
	s_waitcnt vmcnt(0)
	v_mad_u64_u32 v[2:3], s[20:21], v2, 24, v[28:29]
	v_and_b32_e32 v23, v23, v25
	v_mov_b32_e32 v22, v3
	v_mad_u64_u32 v[22:23], s[20:21], v23, 24, v[22:23]
	v_mov_b32_e32 v3, v22
	global_load_dwordx2 v[22:23], v[2:3], off sc0 sc1
	s_waitcnt vmcnt(0)
	global_atomic_cmpswap_x2 v[2:3], v27, v[22:25], s[42:43] offset:24 sc0 sc1
	s_waitcnt vmcnt(0)
	buffer_inv sc0 sc1
	v_cmp_eq_u64_e32 vcc, v[2:3], v[24:25]
	s_or_b64 s[18:19], vcc, s[18:19]
	s_andn2_b64 exec, exec, s[18:19]
	s_cbranch_execnz .LBB9_1531
; %bb.1532:                             ;   in Loop: Header=BB9_1473 Depth=1
	s_or_b64 exec, exec, s[18:19]
.LBB9_1533:                             ;   in Loop: Header=BB9_1473 Depth=1
	s_or_b64 exec, exec, s[16:17]
.LBB9_1534:                             ;   in Loop: Header=BB9_1473 Depth=1
	s_or_b64 exec, exec, s[10:11]
	global_load_dwordx2 v[28:29], v27, s[42:43] offset:40
	global_load_dwordx4 v[22:25], v27, s[42:43]
	v_readfirstlane_b32 s10, v2
	v_readfirstlane_b32 s11, v3
	s_mov_b64 s[16:17], exec
	s_waitcnt vmcnt(1)
	v_readfirstlane_b32 s18, v28
	v_readfirstlane_b32 s19, v29
	s_and_b64 s[18:19], s[10:11], s[18:19]
	s_mul_i32 s15, s19, 24
	s_mul_hi_u32 s20, s18, 24
	s_add_i32 s21, s20, s15
	s_mul_i32 s20, s18, 24
	s_waitcnt vmcnt(0)
	v_lshl_add_u64 v[28:29], v[22:23], 0, s[20:21]
	s_and_saveexec_b64 s[20:21], s[0:1]
	s_cbranch_execz .LBB9_1536
; %bb.1535:                             ;   in Loop: Header=BB9_1473 Depth=1
	v_mov_b64_e32 v[2:3], s[16:17]
	global_store_dwordx4 v[28:29], v[2:5], off offset:8
.LBB9_1536:                             ;   in Loop: Header=BB9_1473 Depth=1
	s_or_b64 exec, exec, s[20:21]
	s_lshl_b64 s[16:17], s[18:19], 12
	v_lshl_add_u64 v[2:3], v[24:25], 0, s[16:17]
	v_or_b32_e32 v24, 2, v6
	v_cmp_gt_u64_e64 vcc, s[4:5], 56
	s_lshl_b32 s15, s6, 2
	s_add_i32 s15, s15, 28
	v_cndmask_b32_e32 v6, v24, v6, vcc
	s_and_b32 s15, s15, 0x1e0
	v_and_b32_e32 v6, 0xffffff1f, v6
	v_or_b32_e32 v6, s15, v6
	v_readfirstlane_b32 s16, v2
	v_readfirstlane_b32 s17, v3
	s_nop 4
	global_store_dwordx4 v36, v[6:9], s[16:17]
	global_store_dwordx4 v36, v[10:13], s[16:17] offset:16
	global_store_dwordx4 v36, v[14:17], s[16:17] offset:32
	;; [unrolled: 1-line block ×3, first 2 shown]
	s_and_saveexec_b64 s[16:17], s[0:1]
	s_cbranch_execz .LBB9_1544
; %bb.1537:                             ;   in Loop: Header=BB9_1473 Depth=1
	global_load_dwordx2 v[14:15], v27, s[42:43] offset:32 sc0 sc1
	global_load_dwordx2 v[6:7], v27, s[42:43] offset:40
	v_mov_b32_e32 v12, s10
	v_mov_b32_e32 v13, s11
	s_waitcnt vmcnt(0)
	v_readfirstlane_b32 s18, v6
	v_readfirstlane_b32 s19, v7
	s_and_b64 s[18:19], s[18:19], s[10:11]
	s_mul_i32 s15, s19, 24
	s_mul_hi_u32 s19, s18, 24
	s_mul_i32 s18, s18, 24
	s_add_i32 s19, s19, s15
	v_lshl_add_u64 v[10:11], v[22:23], 0, s[18:19]
	global_store_dwordx2 v[10:11], v[14:15], off
	buffer_wbl2 sc0 sc1
	s_waitcnt vmcnt(0)
	global_atomic_cmpswap_x2 v[8:9], v27, v[12:15], s[42:43] offset:32 sc0 sc1
	s_waitcnt vmcnt(0)
	v_cmp_ne_u64_e32 vcc, v[8:9], v[14:15]
	s_and_saveexec_b64 s[18:19], vcc
	s_cbranch_execz .LBB9_1540
; %bb.1538:                             ;   in Loop: Header=BB9_1473 Depth=1
	s_mov_b64 s[20:21], 0
.LBB9_1539:                             ;   Parent Loop BB9_1473 Depth=1
                                        ; =>  This Inner Loop Header: Depth=2
	s_sleep 1
	global_store_dwordx2 v[10:11], v[8:9], off
	v_mov_b32_e32 v6, s10
	v_mov_b32_e32 v7, s11
	buffer_wbl2 sc0 sc1
	s_waitcnt vmcnt(0)
	global_atomic_cmpswap_x2 v[6:7], v27, v[6:9], s[42:43] offset:32 sc0 sc1
	s_waitcnt vmcnt(0)
	v_cmp_eq_u64_e32 vcc, v[6:7], v[8:9]
	s_or_b64 s[20:21], vcc, s[20:21]
	v_mov_b64_e32 v[8:9], v[6:7]
	s_andn2_b64 exec, exec, s[20:21]
	s_cbranch_execnz .LBB9_1539
.LBB9_1540:                             ;   in Loop: Header=BB9_1473 Depth=1
	s_or_b64 exec, exec, s[18:19]
	global_load_dwordx2 v[6:7], v27, s[42:43] offset:16
	s_mov_b64 s[20:21], exec
	v_mbcnt_lo_u32_b32 v8, s20, 0
	v_mbcnt_hi_u32_b32 v8, s21, v8
	v_cmp_eq_u32_e32 vcc, 0, v8
	s_and_saveexec_b64 s[18:19], vcc
	s_cbranch_execz .LBB9_1542
; %bb.1541:                             ;   in Loop: Header=BB9_1473 Depth=1
	s_bcnt1_i32_b64 s15, s[20:21]
	v_mov_b32_e32 v26, s15
	buffer_wbl2 sc0 sc1
	s_waitcnt vmcnt(0)
	global_atomic_add_x2 v[6:7], v[26:27], off offset:8 sc1
.LBB9_1542:                             ;   in Loop: Header=BB9_1473 Depth=1
	s_or_b64 exec, exec, s[18:19]
	s_waitcnt vmcnt(0)
	global_load_dwordx2 v[8:9], v[6:7], off offset:16
	s_waitcnt vmcnt(0)
	v_cmp_eq_u64_e32 vcc, 0, v[8:9]
	s_cbranch_vccnz .LBB9_1544
; %bb.1543:                             ;   in Loop: Header=BB9_1473 Depth=1
	global_load_dword v26, v[6:7], off offset:24
	s_waitcnt vmcnt(0)
	v_and_b32_e32 v6, 0xffffff, v26
	s_nop 0
	v_readfirstlane_b32 m0, v6
	buffer_wbl2 sc0 sc1
	global_store_dwordx2 v[8:9], v[26:27], off sc0 sc1
	s_sendmsg sendmsg(MSG_INTERRUPT)
.LBB9_1544:                             ;   in Loop: Header=BB9_1473 Depth=1
	s_or_b64 exec, exec, s[16:17]
	v_mov_b32_e32 v37, v27
	v_lshl_add_u64 v[2:3], v[2:3], 0, v[36:37]
	s_branch .LBB9_1548
.LBB9_1545:                             ;   in Loop: Header=BB9_1548 Depth=2
	s_or_b64 exec, exec, s[16:17]
	v_readfirstlane_b32 s15, v6
	s_cmp_eq_u32 s15, 0
	s_cbranch_scc1 .LBB9_1547
; %bb.1546:                             ;   in Loop: Header=BB9_1548 Depth=2
	s_sleep 1
	s_cbranch_execnz .LBB9_1548
	s_branch .LBB9_1550
.LBB9_1547:                             ;   in Loop: Header=BB9_1473 Depth=1
	s_branch .LBB9_1550
.LBB9_1548:                             ;   Parent Loop BB9_1473 Depth=1
                                        ; =>  This Inner Loop Header: Depth=2
	v_mov_b32_e32 v6, 1
	s_and_saveexec_b64 s[16:17], s[0:1]
	s_cbranch_execz .LBB9_1545
; %bb.1549:                             ;   in Loop: Header=BB9_1548 Depth=2
	global_load_dword v6, v[28:29], off offset:20 sc0 sc1
	s_waitcnt vmcnt(0)
	buffer_inv sc0 sc1
	v_and_b32_e32 v6, 1, v6
	s_branch .LBB9_1545
.LBB9_1550:                             ;   in Loop: Header=BB9_1473 Depth=1
	global_load_dwordx4 v[6:9], v[2:3], off
	s_and_saveexec_b64 s[16:17], s[0:1]
	s_cbranch_execz .LBB9_1472
; %bb.1551:                             ;   in Loop: Header=BB9_1473 Depth=1
	global_load_dwordx2 v[2:3], v27, s[42:43] offset:40
	global_load_dwordx2 v[12:13], v27, s[42:43] offset:24 sc0 sc1
	global_load_dwordx2 v[14:15], v27, s[42:43]
	s_waitcnt vmcnt(2)
	v_lshl_add_u64 v[8:9], v[2:3], 0, 1
	v_lshl_add_u64 v[16:17], v[8:9], 0, s[10:11]
	v_cmp_eq_u64_e32 vcc, 0, v[16:17]
	s_waitcnt vmcnt(1)
	v_mov_b32_e32 v10, v12
	v_cndmask_b32_e32 v9, v17, v9, vcc
	v_cndmask_b32_e32 v8, v16, v8, vcc
	v_and_b32_e32 v3, v9, v3
	v_and_b32_e32 v2, v8, v2
	v_mul_lo_u32 v3, v3, 24
	v_mul_hi_u32 v11, v2, 24
	v_mul_lo_u32 v2, v2, 24
	v_add_u32_e32 v3, v11, v3
	s_waitcnt vmcnt(0)
	v_lshl_add_u64 v[2:3], v[14:15], 0, v[2:3]
	global_store_dwordx2 v[2:3], v[12:13], off
	v_mov_b32_e32 v11, v13
	buffer_wbl2 sc0 sc1
	s_waitcnt vmcnt(0)
	global_atomic_cmpswap_x2 v[10:11], v27, v[8:11], s[42:43] offset:24 sc0 sc1
	s_waitcnt vmcnt(0)
	v_cmp_ne_u64_e32 vcc, v[10:11], v[12:13]
	s_and_b64 exec, exec, vcc
	s_cbranch_execz .LBB9_1472
; %bb.1552:                             ;   in Loop: Header=BB9_1473 Depth=1
	s_mov_b64 s[0:1], 0
.LBB9_1553:                             ;   Parent Loop BB9_1473 Depth=1
                                        ; =>  This Inner Loop Header: Depth=2
	s_sleep 1
	global_store_dwordx2 v[2:3], v[10:11], off
	buffer_wbl2 sc0 sc1
	s_waitcnt vmcnt(0)
	global_atomic_cmpswap_x2 v[12:13], v27, v[8:11], s[42:43] offset:24 sc0 sc1
	s_waitcnt vmcnt(0)
	v_cmp_eq_u64_e32 vcc, v[12:13], v[10:11]
	s_or_b64 s[0:1], vcc, s[0:1]
	v_mov_b64_e32 v[10:11], v[12:13]
	s_andn2_b64 exec, exec, s[0:1]
	s_cbranch_execnz .LBB9_1553
	s_branch .LBB9_1472
.LBB9_1554:
	s_mov_b64 s[0:1], 0
	s_branch .LBB9_1556
.LBB9_1555:
	s_mov_b64 s[0:1], -1
.LBB9_1556:
	v_accvgpr_write_b32 a0, v34
	v_accvgpr_write_b32 a1, v35
	s_mov_b32 s46, s12
	s_mov_b32 s47, s13
	;; [unrolled: 1-line block ×3, first 2 shown]
	s_and_b64 vcc, exec, s[0:1]
	s_cbranch_vccz .LBB9_1583
; %bb.1557:
	v_readfirstlane_b32 s0, v47
	s_waitcnt vmcnt(0)
	v_mov_b64_e32 v[8:9], 0
	v_cmp_eq_u32_e64 s[0:1], s0, v47
	s_and_saveexec_b64 s[2:3], s[0:1]
	s_cbranch_execz .LBB9_1563
; %bb.1558:
	v_mov_b32_e32 v2, 0
	global_load_dwordx2 v[6:7], v2, s[42:43] offset:24 sc0 sc1
	s_waitcnt vmcnt(0)
	buffer_inv sc0 sc1
	global_load_dwordx2 v[4:5], v2, s[42:43] offset:40
	global_load_dwordx2 v[8:9], v2, s[42:43]
	s_waitcnt vmcnt(1)
	v_and_b32_e32 v3, v4, v6
	v_and_b32_e32 v4, v5, v7
	v_mul_lo_u32 v4, v4, 24
	v_mul_hi_u32 v5, v3, 24
	v_add_u32_e32 v5, v5, v4
	v_mul_lo_u32 v4, v3, 24
	s_waitcnt vmcnt(0)
	v_lshl_add_u64 v[4:5], v[8:9], 0, v[4:5]
	global_load_dwordx2 v[4:5], v[4:5], off sc0 sc1
	s_waitcnt vmcnt(0)
	global_atomic_cmpswap_x2 v[8:9], v2, v[4:7], s[42:43] offset:24 sc0 sc1
	s_waitcnt vmcnt(0)
	buffer_inv sc0 sc1
	v_cmp_ne_u64_e32 vcc, v[8:9], v[6:7]
	s_and_saveexec_b64 s[4:5], vcc
	s_cbranch_execz .LBB9_1562
; %bb.1559:
	s_mov_b64 s[6:7], 0
.LBB9_1560:                             ; =>This Inner Loop Header: Depth=1
	s_sleep 1
	global_load_dwordx2 v[4:5], v2, s[42:43] offset:40
	global_load_dwordx2 v[10:11], v2, s[42:43]
	v_mov_b64_e32 v[6:7], v[8:9]
	s_waitcnt vmcnt(1)
	v_and_b32_e32 v4, v4, v6
	v_and_b32_e32 v3, v5, v7
	s_waitcnt vmcnt(0)
	v_mad_u64_u32 v[4:5], s[10:11], v4, 24, v[10:11]
	v_mov_b32_e32 v8, v5
	v_mad_u64_u32 v[8:9], s[10:11], v3, 24, v[8:9]
	v_mov_b32_e32 v5, v8
	global_load_dwordx2 v[4:5], v[4:5], off sc0 sc1
	s_waitcnt vmcnt(0)
	global_atomic_cmpswap_x2 v[8:9], v2, v[4:7], s[42:43] offset:24 sc0 sc1
	s_waitcnt vmcnt(0)
	buffer_inv sc0 sc1
	v_cmp_eq_u64_e32 vcc, v[8:9], v[6:7]
	s_or_b64 s[6:7], vcc, s[6:7]
	s_andn2_b64 exec, exec, s[6:7]
	s_cbranch_execnz .LBB9_1560
; %bb.1561:
	s_or_b64 exec, exec, s[6:7]
.LBB9_1562:
	s_or_b64 exec, exec, s[4:5]
.LBB9_1563:
	s_or_b64 exec, exec, s[2:3]
	v_mov_b32_e32 v2, 0
	global_load_dwordx2 v[10:11], v2, s[42:43] offset:40
	global_load_dwordx4 v[4:7], v2, s[42:43]
	v_readfirstlane_b32 s2, v8
	v_readfirstlane_b32 s3, v9
	s_mov_b64 s[4:5], exec
	s_waitcnt vmcnt(1)
	v_readfirstlane_b32 s6, v10
	v_readfirstlane_b32 s7, v11
	s_and_b64 s[6:7], s[2:3], s[6:7]
	s_mul_i32 s10, s7, 24
	s_mul_hi_u32 s11, s6, 24
	s_add_i32 s11, s11, s10
	s_mul_i32 s10, s6, 24
	s_waitcnt vmcnt(0)
	v_lshl_add_u64 v[8:9], v[4:5], 0, s[10:11]
	s_and_saveexec_b64 s[10:11], s[0:1]
	s_cbranch_execz .LBB9_1565
; %bb.1564:
	v_mov_b64_e32 v[10:11], s[4:5]
	v_mov_b32_e32 v12, 2
	v_mov_b32_e32 v13, 1
	global_store_dwordx4 v[8:9], v[10:13], off offset:8
.LBB9_1565:
	s_or_b64 exec, exec, s[10:11]
	s_lshl_b64 s[4:5], s[6:7], 12
	v_lshl_add_u64 v[6:7], v[6:7], 0, s[4:5]
	s_movk_i32 s4, 0xff1d
	v_and_or_b32 v0, v0, s4, 34
	s_mov_b32 s4, 0
	v_mov_b32_e32 v3, v2
	v_readfirstlane_b32 s10, v6
	v_readfirstlane_b32 s11, v7
	s_mov_b32 s5, s4
	s_mov_b32 s6, s4
	;; [unrolled: 1-line block ×3, first 2 shown]
	s_nop 1
	global_store_dwordx4 v36, v[0:3], s[10:11]
	s_nop 1
	v_mov_b64_e32 v[0:1], s[4:5]
	v_mov_b64_e32 v[2:3], s[6:7]
	global_store_dwordx4 v36, v[0:3], s[10:11] offset:16
	global_store_dwordx4 v36, v[0:3], s[10:11] offset:32
	;; [unrolled: 1-line block ×3, first 2 shown]
	s_and_saveexec_b64 s[4:5], s[0:1]
	s_cbranch_execz .LBB9_1573
; %bb.1566:
	v_mov_b32_e32 v6, 0
	global_load_dwordx2 v[12:13], v6, s[42:43] offset:32 sc0 sc1
	global_load_dwordx2 v[0:1], v6, s[42:43] offset:40
	v_mov_b32_e32 v10, s2
	v_mov_b32_e32 v11, s3
	s_waitcnt vmcnt(0)
	v_readfirstlane_b32 s6, v0
	v_readfirstlane_b32 s7, v1
	s_and_b64 s[6:7], s[6:7], s[2:3]
	s_mul_i32 s7, s7, 24
	s_mul_hi_u32 s10, s6, 24
	s_mul_i32 s6, s6, 24
	s_add_i32 s7, s10, s7
	v_lshl_add_u64 v[4:5], v[4:5], 0, s[6:7]
	global_store_dwordx2 v[4:5], v[12:13], off
	buffer_wbl2 sc0 sc1
	s_waitcnt vmcnt(0)
	global_atomic_cmpswap_x2 v[2:3], v6, v[10:13], s[42:43] offset:32 sc0 sc1
	s_waitcnt vmcnt(0)
	v_cmp_ne_u64_e32 vcc, v[2:3], v[12:13]
	s_and_saveexec_b64 s[6:7], vcc
	s_cbranch_execz .LBB9_1569
; %bb.1567:
	s_mov_b64 s[10:11], 0
.LBB9_1568:                             ; =>This Inner Loop Header: Depth=1
	s_sleep 1
	global_store_dwordx2 v[4:5], v[2:3], off
	v_mov_b32_e32 v0, s2
	v_mov_b32_e32 v1, s3
	buffer_wbl2 sc0 sc1
	s_waitcnt vmcnt(0)
	global_atomic_cmpswap_x2 v[0:1], v6, v[0:3], s[42:43] offset:32 sc0 sc1
	s_waitcnt vmcnt(0)
	v_cmp_eq_u64_e32 vcc, v[0:1], v[2:3]
	s_or_b64 s[10:11], vcc, s[10:11]
	v_mov_b64_e32 v[2:3], v[0:1]
	s_andn2_b64 exec, exec, s[10:11]
	s_cbranch_execnz .LBB9_1568
.LBB9_1569:
	s_or_b64 exec, exec, s[6:7]
	v_mov_b32_e32 v3, 0
	global_load_dwordx2 v[0:1], v3, s[42:43] offset:16
	s_mov_b64 s[6:7], exec
	v_mbcnt_lo_u32_b32 v2, s6, 0
	v_mbcnt_hi_u32_b32 v2, s7, v2
	v_cmp_eq_u32_e32 vcc, 0, v2
	s_and_saveexec_b64 s[10:11], vcc
	s_cbranch_execz .LBB9_1571
; %bb.1570:
	s_bcnt1_i32_b64 s6, s[6:7]
	v_mov_b32_e32 v2, s6
	buffer_wbl2 sc0 sc1
	s_waitcnt vmcnt(0)
	global_atomic_add_x2 v[0:1], v[2:3], off offset:8 sc1
.LBB9_1571:
	s_or_b64 exec, exec, s[10:11]
	s_waitcnt vmcnt(0)
	global_load_dwordx2 v[2:3], v[0:1], off offset:16
	s_waitcnt vmcnt(0)
	v_cmp_eq_u64_e32 vcc, 0, v[2:3]
	s_cbranch_vccnz .LBB9_1573
; %bb.1572:
	global_load_dword v0, v[0:1], off offset:24
	v_mov_b32_e32 v1, 0
	buffer_wbl2 sc0 sc1
	s_waitcnt vmcnt(0)
	global_store_dwordx2 v[2:3], v[0:1], off sc0 sc1
	v_and_b32_e32 v0, 0xffffff, v0
	s_nop 0
	v_readfirstlane_b32 m0, v0
	s_sendmsg sendmsg(MSG_INTERRUPT)
.LBB9_1573:
	s_or_b64 exec, exec, s[4:5]
	s_branch .LBB9_1577
.LBB9_1574:                             ;   in Loop: Header=BB9_1577 Depth=1
	s_or_b64 exec, exec, s[4:5]
	v_readfirstlane_b32 s4, v0
	s_cmp_eq_u32 s4, 0
	s_cbranch_scc1 .LBB9_1576
; %bb.1575:                             ;   in Loop: Header=BB9_1577 Depth=1
	s_sleep 1
	s_cbranch_execnz .LBB9_1577
	s_branch .LBB9_1579
.LBB9_1576:
	s_branch .LBB9_1579
.LBB9_1577:                             ; =>This Inner Loop Header: Depth=1
	v_mov_b32_e32 v0, 1
	s_and_saveexec_b64 s[4:5], s[0:1]
	s_cbranch_execz .LBB9_1574
; %bb.1578:                             ;   in Loop: Header=BB9_1577 Depth=1
	global_load_dword v0, v[8:9], off offset:20 sc0 sc1
	s_waitcnt vmcnt(0)
	buffer_inv sc0 sc1
	v_and_b32_e32 v0, 1, v0
	s_branch .LBB9_1574
.LBB9_1579:
	s_and_saveexec_b64 s[4:5], s[0:1]
	s_cbranch_execz .LBB9_1582
; %bb.1580:
	v_mov_b32_e32 v6, 0
	global_load_dwordx2 v[4:5], v6, s[42:43] offset:40
	global_load_dwordx2 v[8:9], v6, s[42:43] offset:24 sc0 sc1
	global_load_dwordx2 v[10:11], v6, s[42:43]
	s_mov_b64 s[0:1], 0
	s_waitcnt vmcnt(2)
	v_lshl_add_u64 v[0:1], v[4:5], 0, 1
	v_lshl_add_u64 v[12:13], v[0:1], 0, s[2:3]
	v_cmp_eq_u64_e32 vcc, 0, v[12:13]
	s_waitcnt vmcnt(1)
	v_mov_b32_e32 v2, v8
	v_cndmask_b32_e32 v1, v13, v1, vcc
	v_cndmask_b32_e32 v0, v12, v0, vcc
	v_and_b32_e32 v3, v1, v5
	v_and_b32_e32 v4, v0, v4
	v_mul_lo_u32 v3, v3, 24
	v_mul_hi_u32 v5, v4, 24
	v_mul_lo_u32 v4, v4, 24
	v_add_u32_e32 v5, v5, v3
	s_waitcnt vmcnt(0)
	v_lshl_add_u64 v[4:5], v[10:11], 0, v[4:5]
	global_store_dwordx2 v[4:5], v[8:9], off
	v_mov_b32_e32 v3, v9
	buffer_wbl2 sc0 sc1
	s_waitcnt vmcnt(0)
	global_atomic_cmpswap_x2 v[2:3], v6, v[0:3], s[42:43] offset:24 sc0 sc1
	s_waitcnt vmcnt(0)
	v_cmp_ne_u64_e32 vcc, v[2:3], v[8:9]
	s_and_b64 exec, exec, vcc
	s_cbranch_execz .LBB9_1582
.LBB9_1581:                             ; =>This Inner Loop Header: Depth=1
	s_sleep 1
	global_store_dwordx2 v[4:5], v[2:3], off
	buffer_wbl2 sc0 sc1
	s_waitcnt vmcnt(0)
	global_atomic_cmpswap_x2 v[8:9], v6, v[0:3], s[42:43] offset:24 sc0 sc1
	s_waitcnt vmcnt(0)
	v_cmp_eq_u64_e32 vcc, v[8:9], v[2:3]
	s_or_b64 s[0:1], vcc, s[0:1]
	v_mov_b64_e32 v[2:3], v[8:9]
	s_andn2_b64 exec, exec, s[0:1]
	s_cbranch_execnz .LBB9_1581
.LBB9_1582:
	s_or_b64 exec, exec, s[4:5]
.LBB9_1583:
	s_getpc_b64 s[0:1]
	s_add_u32 s0, s0, .str@rel32@lo+4
	s_addc_u32 s1, s1, .str@rel32@hi+12
	s_waitcnt vmcnt(0)
	v_mov_b32_e32 v0, s0
	v_mov_b32_e32 v1, s1
	s_mov_b64 s[18:19], src_private_base
	s_getpc_b64 s[50:51]
	s_add_u32 s50, s50, _ZNK8migraphx13basic_printerIZNS_4coutEvEUlT_E_ElsEPKc@rel32@lo+4
	s_addc_u32 s51, s51, _ZNK8migraphx13basic_printerIZNS_4coutEvEUlT_E_ElsEPKc@rel32@hi+12
	s_mov_b64 s[36:37], s[8:9]
	v_accvgpr_write_b32 a2, v36
	s_swappc_b64 s[30:31], s[50:51]
	s_getpc_b64 s[0:1]
	s_add_u32 s0, s0, .str.3@rel32@lo+4
	s_addc_u32 s1, s1, .str.3@rel32@hi+12
	s_mov_b64 s[8:9], s[36:37]
	v_mov_b32_e32 v0, s0
	v_mov_b32_e32 v1, s1
	s_swappc_b64 s[30:31], s[50:51]
	s_getpc_b64 s[0:1]
	s_add_u32 s0, s0, _ZN8migraphx4testlsIKNS_13basic_printerIZNS_4coutEvEUlT_E_EEEERS3_S7_RKNS0_10expressionINS0_14lhs_expressionIRNS_5arrayIiLj5EEENS0_3nopEEESC_NS0_5equalEEE@rel32@lo+4
	s_addc_u32 s1, s1, _ZN8migraphx4testlsIKNS_13basic_printerIZNS_4coutEvEUlT_E_EEEERS3_S7_RKNS0_10expressionINS0_14lhs_expressionIRNS_5arrayIiLj5EEENS0_3nopEEESC_NS0_5equalEEE@rel32@hi+12
	s_add_i32 s2, s33, 64
	s_mov_b64 s[8:9], s[36:37]
	v_mov_b32_e32 v0, s2
	v_mov_b32_e32 v1, s19
	s_swappc_b64 s[30:31], s[0:1]
	s_getpc_b64 s[0:1]
	s_add_u32 s0, s0, .str.4@rel32@lo+4
	s_addc_u32 s1, s1, .str.4@rel32@hi+12
	s_mov_b64 s[8:9], s[36:37]
	v_mov_b32_e32 v0, s0
	v_mov_b32_e32 v1, s1
	s_mov_b64 s[18:19], s[36:37]
	s_swappc_b64 s[30:31], s[50:51]
	v_readfirstlane_b32 s0, v47
	v_accvgpr_read_b32 v36, a2
	v_mov_b64_e32 v[4:5], 0
	v_cmp_eq_u32_e64 s[0:1], s0, v47
	s_mov_b64 s[2:3], exec
	v_accvgpr_read_b32 v35, a1
	s_and_b64 s[4:5], s[2:3], s[0:1]
	s_mov_b32 s14, s48
	s_mov_b32 s13, s47
	;; [unrolled: 1-line block ×3, first 2 shown]
	v_accvgpr_read_b32 v34, a0
	s_mov_b64 exec, s[4:5]
	s_cbranch_execz .LBB9_1589
; %bb.1584:
	v_mov_b32_e32 v0, 0
	global_load_dwordx2 v[6:7], v0, s[42:43] offset:24 sc0 sc1
	s_waitcnt vmcnt(0)
	buffer_inv sc0 sc1
	global_load_dwordx2 v[2:3], v0, s[42:43] offset:40
	global_load_dwordx2 v[4:5], v0, s[42:43]
	s_waitcnt vmcnt(1)
	v_and_b32_e32 v1, v2, v6
	v_and_b32_e32 v2, v3, v7
	v_mul_lo_u32 v2, v2, 24
	v_mul_hi_u32 v3, v1, 24
	v_add_u32_e32 v3, v3, v2
	v_mul_lo_u32 v2, v1, 24
	s_waitcnt vmcnt(0)
	v_lshl_add_u64 v[2:3], v[4:5], 0, v[2:3]
	global_load_dwordx2 v[4:5], v[2:3], off sc0 sc1
	s_waitcnt vmcnt(0)
	global_atomic_cmpswap_x2 v[4:5], v0, v[4:7], s[42:43] offset:24 sc0 sc1
	s_waitcnt vmcnt(0)
	buffer_inv sc0 sc1
	v_cmp_ne_u64_e32 vcc, v[4:5], v[6:7]
	s_and_saveexec_b64 s[4:5], vcc
	s_cbranch_execz .LBB9_1588
; %bb.1585:
	s_mov_b64 s[6:7], 0
.LBB9_1586:                             ; =>This Inner Loop Header: Depth=1
	s_sleep 1
	global_load_dwordx2 v[2:3], v0, s[42:43] offset:40
	global_load_dwordx2 v[8:9], v0, s[42:43]
	v_mov_b64_e32 v[6:7], v[4:5]
	s_waitcnt vmcnt(1)
	v_and_b32_e32 v2, v2, v6
	v_and_b32_e32 v1, v3, v7
	s_waitcnt vmcnt(0)
	v_mad_u64_u32 v[2:3], s[8:9], v2, 24, v[8:9]
	v_mov_b32_e32 v4, v3
	v_mad_u64_u32 v[4:5], s[8:9], v1, 24, v[4:5]
	v_mov_b32_e32 v3, v4
	global_load_dwordx2 v[4:5], v[2:3], off sc0 sc1
	s_waitcnt vmcnt(0)
	global_atomic_cmpswap_x2 v[4:5], v0, v[4:7], s[42:43] offset:24 sc0 sc1
	s_waitcnt vmcnt(0)
	buffer_inv sc0 sc1
	v_cmp_eq_u64_e32 vcc, v[4:5], v[6:7]
	s_or_b64 s[6:7], vcc, s[6:7]
	s_andn2_b64 exec, exec, s[6:7]
	s_cbranch_execnz .LBB9_1586
; %bb.1587:
	s_or_b64 exec, exec, s[6:7]
.LBB9_1588:
	s_or_b64 exec, exec, s[4:5]
.LBB9_1589:
	s_or_b64 exec, exec, s[2:3]
	v_mov_b32_e32 v37, 0
	global_load_dwordx2 v[6:7], v37, s[42:43] offset:40
	global_load_dwordx4 v[0:3], v37, s[42:43]
	v_readfirstlane_b32 s2, v4
	v_readfirstlane_b32 s3, v5
	s_mov_b64 s[4:5], exec
	s_waitcnt vmcnt(1)
	v_readfirstlane_b32 s6, v6
	v_readfirstlane_b32 s7, v7
	s_and_b64 s[6:7], s[2:3], s[6:7]
	s_mul_i32 s8, s7, 24
	s_mul_hi_u32 s9, s6, 24
	s_add_i32 s9, s9, s8
	s_mul_i32 s8, s6, 24
	s_waitcnt vmcnt(0)
	v_lshl_add_u64 v[4:5], v[0:1], 0, s[8:9]
	s_and_saveexec_b64 s[8:9], s[0:1]
	s_cbranch_execz .LBB9_1591
; %bb.1590:
	v_mov_b64_e32 v[6:7], s[4:5]
	v_mov_b32_e32 v8, 2
	v_mov_b32_e32 v9, 1
	global_store_dwordx4 v[4:5], v[6:9], off offset:8
.LBB9_1591:
	s_or_b64 exec, exec, s[8:9]
	s_lshl_b64 s[4:5], s[6:7], 12
	v_lshl_add_u64 v[6:7], v[2:3], 0, s[4:5]
	s_mov_b32 s4, 0
	v_mov_b32_e32 v8, 33
	v_mov_b32_e32 v9, v37
	v_mov_b32_e32 v10, v37
	v_mov_b32_e32 v11, v37
	v_readfirstlane_b32 s8, v6
	v_readfirstlane_b32 s9, v7
	s_mov_b32 s6, s4
	s_mov_b32 s7, s4
	;; [unrolled: 1-line block ×3, first 2 shown]
	s_nop 1
	global_store_dwordx4 v36, v[8:11], s[8:9]
	s_nop 1
	v_mov_b64_e32 v[10:11], s[6:7]
	v_mov_b64_e32 v[8:9], s[4:5]
	global_store_dwordx4 v36, v[8:11], s[8:9] offset:16
	global_store_dwordx4 v36, v[8:11], s[8:9] offset:32
	global_store_dwordx4 v36, v[8:11], s[8:9] offset:48
	s_and_saveexec_b64 s[4:5], s[0:1]
	s_mov_b64 s[8:9], s[18:19]
	s_cbranch_execz .LBB9_1599
; %bb.1592:
	v_mov_b32_e32 v10, 0
	global_load_dwordx2 v[14:15], v10, s[42:43] offset:32 sc0 sc1
	global_load_dwordx2 v[2:3], v10, s[42:43] offset:40
	v_mov_b32_e32 v12, s2
	v_mov_b32_e32 v13, s3
	s_waitcnt vmcnt(0)
	v_readfirstlane_b32 s6, v2
	v_readfirstlane_b32 s7, v3
	s_and_b64 s[6:7], s[6:7], s[2:3]
	s_mul_i32 s7, s7, 24
	s_mul_hi_u32 s10, s6, 24
	s_mul_i32 s6, s6, 24
	s_add_i32 s7, s10, s7
	v_lshl_add_u64 v[8:9], v[0:1], 0, s[6:7]
	global_store_dwordx2 v[8:9], v[14:15], off
	buffer_wbl2 sc0 sc1
	s_waitcnt vmcnt(0)
	global_atomic_cmpswap_x2 v[2:3], v10, v[12:15], s[42:43] offset:32 sc0 sc1
	s_waitcnt vmcnt(0)
	v_cmp_ne_u64_e32 vcc, v[2:3], v[14:15]
	s_and_saveexec_b64 s[6:7], vcc
	s_cbranch_execz .LBB9_1595
; %bb.1593:
	s_mov_b64 s[10:11], 0
.LBB9_1594:                             ; =>This Inner Loop Header: Depth=1
	s_sleep 1
	global_store_dwordx2 v[8:9], v[2:3], off
	v_mov_b32_e32 v0, s2
	v_mov_b32_e32 v1, s3
	buffer_wbl2 sc0 sc1
	s_waitcnt vmcnt(0)
	global_atomic_cmpswap_x2 v[0:1], v10, v[0:3], s[42:43] offset:32 sc0 sc1
	s_waitcnt vmcnt(0)
	v_cmp_eq_u64_e32 vcc, v[0:1], v[2:3]
	s_or_b64 s[10:11], vcc, s[10:11]
	v_mov_b64_e32 v[2:3], v[0:1]
	s_andn2_b64 exec, exec, s[10:11]
	s_cbranch_execnz .LBB9_1594
.LBB9_1595:
	s_or_b64 exec, exec, s[6:7]
	v_mov_b32_e32 v3, 0
	global_load_dwordx2 v[0:1], v3, s[42:43] offset:16
	s_mov_b64 s[6:7], exec
	v_mbcnt_lo_u32_b32 v2, s6, 0
	v_mbcnt_hi_u32_b32 v2, s7, v2
	v_cmp_eq_u32_e32 vcc, 0, v2
	s_and_saveexec_b64 s[10:11], vcc
	s_cbranch_execz .LBB9_1597
; %bb.1596:
	s_bcnt1_i32_b64 s6, s[6:7]
	v_mov_b32_e32 v2, s6
	buffer_wbl2 sc0 sc1
	s_waitcnt vmcnt(0)
	global_atomic_add_x2 v[0:1], v[2:3], off offset:8 sc1
.LBB9_1597:
	s_or_b64 exec, exec, s[10:11]
	s_waitcnt vmcnt(0)
	global_load_dwordx2 v[2:3], v[0:1], off offset:16
	s_waitcnt vmcnt(0)
	v_cmp_eq_u64_e32 vcc, 0, v[2:3]
	s_cbranch_vccnz .LBB9_1599
; %bb.1598:
	global_load_dword v0, v[0:1], off offset:24
	v_mov_b32_e32 v1, 0
	buffer_wbl2 sc0 sc1
	s_waitcnt vmcnt(0)
	global_store_dwordx2 v[2:3], v[0:1], off sc0 sc1
	v_and_b32_e32 v0, 0xffffff, v0
	s_nop 0
	v_readfirstlane_b32 m0, v0
	s_sendmsg sendmsg(MSG_INTERRUPT)
.LBB9_1599:
	s_or_b64 exec, exec, s[4:5]
	v_lshl_add_u64 v[0:1], v[6:7], 0, v[36:37]
	s_branch .LBB9_1603
.LBB9_1600:                             ;   in Loop: Header=BB9_1603 Depth=1
	s_or_b64 exec, exec, s[4:5]
	v_readfirstlane_b32 s4, v2
	s_cmp_eq_u32 s4, 0
	s_cbranch_scc1 .LBB9_1602
; %bb.1601:                             ;   in Loop: Header=BB9_1603 Depth=1
	s_sleep 1
	s_cbranch_execnz .LBB9_1603
	s_branch .LBB9_1605
.LBB9_1602:
	s_branch .LBB9_1605
.LBB9_1603:                             ; =>This Inner Loop Header: Depth=1
	v_mov_b32_e32 v2, 1
	s_and_saveexec_b64 s[4:5], s[0:1]
	s_cbranch_execz .LBB9_1600
; %bb.1604:                             ;   in Loop: Header=BB9_1603 Depth=1
	global_load_dword v2, v[4:5], off offset:20 sc0 sc1
	s_waitcnt vmcnt(0)
	buffer_inv sc0 sc1
	v_and_b32_e32 v2, 1, v2
	s_branch .LBB9_1600
.LBB9_1605:
	global_load_dwordx2 v[0:1], v[0:1], off
	s_and_saveexec_b64 s[4:5], s[0:1]
	s_cbranch_execz .LBB9_1608
; %bb.1606:
	v_mov_b32_e32 v8, 0
	global_load_dwordx2 v[6:7], v8, s[42:43] offset:40
	global_load_dwordx2 v[10:11], v8, s[42:43] offset:24 sc0 sc1
	global_load_dwordx2 v[12:13], v8, s[42:43]
	s_mov_b64 s[0:1], 0
	s_waitcnt vmcnt(2)
	v_lshl_add_u64 v[2:3], v[6:7], 0, 1
	v_lshl_add_u64 v[14:15], v[2:3], 0, s[2:3]
	v_cmp_eq_u64_e32 vcc, 0, v[14:15]
	s_waitcnt vmcnt(1)
	v_mov_b32_e32 v4, v10
	v_cndmask_b32_e32 v3, v15, v3, vcc
	v_cndmask_b32_e32 v2, v14, v2, vcc
	v_and_b32_e32 v5, v3, v7
	v_and_b32_e32 v6, v2, v6
	v_mul_lo_u32 v5, v5, 24
	v_mul_hi_u32 v7, v6, 24
	v_mul_lo_u32 v6, v6, 24
	v_add_u32_e32 v7, v7, v5
	s_waitcnt vmcnt(0)
	v_lshl_add_u64 v[6:7], v[12:13], 0, v[6:7]
	global_store_dwordx2 v[6:7], v[10:11], off
	v_mov_b32_e32 v5, v11
	buffer_wbl2 sc0 sc1
	s_waitcnt vmcnt(0)
	global_atomic_cmpswap_x2 v[4:5], v8, v[2:5], s[42:43] offset:24 sc0 sc1
	s_waitcnt vmcnt(0)
	v_cmp_ne_u64_e32 vcc, v[4:5], v[10:11]
	s_and_b64 exec, exec, vcc
	s_cbranch_execz .LBB9_1608
.LBB9_1607:                             ; =>This Inner Loop Header: Depth=1
	s_sleep 1
	global_store_dwordx2 v[6:7], v[4:5], off
	buffer_wbl2 sc0 sc1
	s_waitcnt vmcnt(0)
	global_atomic_cmpswap_x2 v[10:11], v8, v[2:5], s[42:43] offset:24 sc0 sc1
	s_waitcnt vmcnt(0)
	v_cmp_eq_u64_e32 vcc, v[10:11], v[4:5]
	s_or_b64 s[0:1], vcc, s[0:1]
	v_mov_b64_e32 v[4:5], v[10:11]
	s_andn2_b64 exec, exec, s[0:1]
	s_cbranch_execnz .LBB9_1607
.LBB9_1608:
	s_or_b64 exec, exec, s[4:5]
	s_and_b64 vcc, exec, s[44:45]
	s_cbranch_vccz .LBB9_1693
; %bb.1609:
	s_waitcnt vmcnt(0)
	v_and_b32_e32 v28, 2, v0
	v_mov_b32_e32 v31, 0
	v_and_b32_e32 v2, -3, v0
	v_mov_b32_e32 v3, v1
	s_mov_b64 s[4:5], 3
	v_mov_b32_e32 v6, 2
	v_mov_b32_e32 v7, 1
	s_getpc_b64 s[2:3]
	s_add_u32 s2, s2, .str.6@rel32@lo+4
	s_addc_u32 s3, s3, .str.6@rel32@hi+12
	s_branch .LBB9_1611
.LBB9_1610:                             ;   in Loop: Header=BB9_1611 Depth=1
	s_or_b64 exec, exec, s[16:17]
	s_sub_u32 s4, s4, s6
	s_subb_u32 s5, s5, s7
	s_add_u32 s2, s2, s6
	s_addc_u32 s3, s3, s7
	s_cmp_lg_u64 s[4:5], 0
	s_cbranch_scc0 .LBB9_1692
.LBB9_1611:                             ; =>This Loop Header: Depth=1
                                        ;     Child Loop BB9_1614 Depth 2
                                        ;     Child Loop BB9_1621 Depth 2
	;; [unrolled: 1-line block ×11, first 2 shown]
	v_cmp_lt_u64_e64 s[0:1], s[4:5], 56
	s_and_b64 s[0:1], s[0:1], exec
	v_cmp_gt_u64_e64 s[0:1], s[4:5], 7
	s_cselect_b32 s7, s5, 0
	s_cselect_b32 s6, s4, 56
	s_and_b64 vcc, exec, s[0:1]
	s_cbranch_vccnz .LBB9_1616
; %bb.1612:                             ;   in Loop: Header=BB9_1611 Depth=1
	s_mov_b64 s[0:1], 0
	s_cmp_eq_u64 s[4:5], 0
	v_mov_b64_e32 v[10:11], 0
	s_cbranch_scc1 .LBB9_1615
; %bb.1613:                             ;   in Loop: Header=BB9_1611 Depth=1
	s_lshl_b64 s[10:11], s[6:7], 3
	s_mov_b64 s[16:17], 0
	v_mov_b64_e32 v[10:11], 0
	s_mov_b64 s[18:19], s[2:3]
.LBB9_1614:                             ;   Parent Loop BB9_1611 Depth=1
                                        ; =>  This Inner Loop Header: Depth=2
	global_load_ubyte v4, v31, s[18:19]
	s_waitcnt vmcnt(0)
	v_and_b32_e32 v30, 0xffff, v4
	v_lshlrev_b64 v[4:5], s16, v[30:31]
	s_add_u32 s16, s16, 8
	s_addc_u32 s17, s17, 0
	s_add_u32 s18, s18, 1
	s_addc_u32 s19, s19, 0
	v_or_b32_e32 v10, v4, v10
	s_cmp_lg_u32 s10, s16
	v_or_b32_e32 v11, v5, v11
	s_cbranch_scc1 .LBB9_1614
.LBB9_1615:                             ;   in Loop: Header=BB9_1611 Depth=1
	s_mov_b32 s15, 0
	s_andn2_b64 vcc, exec, s[0:1]
	s_mov_b64 s[0:1], s[2:3]
	s_cbranch_vccz .LBB9_1617
	s_branch .LBB9_1618
.LBB9_1616:                             ;   in Loop: Header=BB9_1611 Depth=1
                                        ; implicit-def: $vgpr10_vgpr11
                                        ; implicit-def: $sgpr15
	s_mov_b64 s[0:1], s[2:3]
.LBB9_1617:                             ;   in Loop: Header=BB9_1611 Depth=1
	global_load_dwordx2 v[10:11], v31, s[2:3]
	s_add_i32 s15, s6, -8
	s_add_u32 s0, s2, 8
	s_addc_u32 s1, s3, 0
.LBB9_1618:                             ;   in Loop: Header=BB9_1611 Depth=1
	s_cmp_gt_u32 s15, 7
	s_cbranch_scc1 .LBB9_1622
; %bb.1619:                             ;   in Loop: Header=BB9_1611 Depth=1
	s_cmp_eq_u32 s15, 0
	s_cbranch_scc1 .LBB9_1623
; %bb.1620:                             ;   in Loop: Header=BB9_1611 Depth=1
	s_mov_b64 s[10:11], 0
	v_mov_b64_e32 v[12:13], 0
	s_mov_b64 s[16:17], 0
.LBB9_1621:                             ;   Parent Loop BB9_1611 Depth=1
                                        ; =>  This Inner Loop Header: Depth=2
	s_add_u32 s18, s0, s16
	s_addc_u32 s19, s1, s17
	global_load_ubyte v4, v31, s[18:19]
	s_add_u32 s16, s16, 1
	s_addc_u32 s17, s17, 0
	s_waitcnt vmcnt(0)
	v_and_b32_e32 v30, 0xffff, v4
	v_lshlrev_b64 v[4:5], s10, v[30:31]
	s_add_u32 s10, s10, 8
	s_addc_u32 s11, s11, 0
	v_or_b32_e32 v12, v4, v12
	s_cmp_lg_u32 s15, s16
	v_or_b32_e32 v13, v5, v13
	s_cbranch_scc1 .LBB9_1621
	s_branch .LBB9_1624
.LBB9_1622:                             ;   in Loop: Header=BB9_1611 Depth=1
                                        ; implicit-def: $vgpr12_vgpr13
                                        ; implicit-def: $sgpr18
	s_branch .LBB9_1625
.LBB9_1623:                             ;   in Loop: Header=BB9_1611 Depth=1
	v_mov_b64_e32 v[12:13], 0
.LBB9_1624:                             ;   in Loop: Header=BB9_1611 Depth=1
	s_mov_b32 s18, 0
	s_cbranch_execnz .LBB9_1626
.LBB9_1625:                             ;   in Loop: Header=BB9_1611 Depth=1
	global_load_dwordx2 v[12:13], v31, s[0:1]
	s_add_i32 s18, s15, -8
	s_add_u32 s0, s0, 8
	s_addc_u32 s1, s1, 0
.LBB9_1626:                             ;   in Loop: Header=BB9_1611 Depth=1
	s_cmp_gt_u32 s18, 7
	s_cbranch_scc1 .LBB9_1630
; %bb.1627:                             ;   in Loop: Header=BB9_1611 Depth=1
	s_cmp_eq_u32 s18, 0
	s_cbranch_scc1 .LBB9_1631
; %bb.1628:                             ;   in Loop: Header=BB9_1611 Depth=1
	s_mov_b64 s[10:11], 0
	v_mov_b64_e32 v[14:15], 0
	s_mov_b64 s[16:17], 0
.LBB9_1629:                             ;   Parent Loop BB9_1611 Depth=1
                                        ; =>  This Inner Loop Header: Depth=2
	s_add_u32 s20, s0, s16
	s_addc_u32 s21, s1, s17
	global_load_ubyte v4, v31, s[20:21]
	s_add_u32 s16, s16, 1
	s_addc_u32 s17, s17, 0
	s_waitcnt vmcnt(0)
	v_and_b32_e32 v30, 0xffff, v4
	v_lshlrev_b64 v[4:5], s10, v[30:31]
	s_add_u32 s10, s10, 8
	s_addc_u32 s11, s11, 0
	v_or_b32_e32 v14, v4, v14
	s_cmp_lg_u32 s18, s16
	v_or_b32_e32 v15, v5, v15
	s_cbranch_scc1 .LBB9_1629
	s_branch .LBB9_1632
.LBB9_1630:                             ;   in Loop: Header=BB9_1611 Depth=1
                                        ; implicit-def: $sgpr15
	s_branch .LBB9_1633
.LBB9_1631:                             ;   in Loop: Header=BB9_1611 Depth=1
	v_mov_b64_e32 v[14:15], 0
.LBB9_1632:                             ;   in Loop: Header=BB9_1611 Depth=1
	s_mov_b32 s15, 0
	s_cbranch_execnz .LBB9_1634
.LBB9_1633:                             ;   in Loop: Header=BB9_1611 Depth=1
	global_load_dwordx2 v[14:15], v31, s[0:1]
	s_add_i32 s15, s18, -8
	s_add_u32 s0, s0, 8
	s_addc_u32 s1, s1, 0
.LBB9_1634:                             ;   in Loop: Header=BB9_1611 Depth=1
	s_cmp_gt_u32 s15, 7
	s_cbranch_scc1 .LBB9_1638
; %bb.1635:                             ;   in Loop: Header=BB9_1611 Depth=1
	s_cmp_eq_u32 s15, 0
	s_cbranch_scc1 .LBB9_1639
; %bb.1636:                             ;   in Loop: Header=BB9_1611 Depth=1
	s_mov_b64 s[10:11], 0
	v_mov_b64_e32 v[16:17], 0
	s_mov_b64 s[16:17], 0
.LBB9_1637:                             ;   Parent Loop BB9_1611 Depth=1
                                        ; =>  This Inner Loop Header: Depth=2
	s_add_u32 s18, s0, s16
	s_addc_u32 s19, s1, s17
	global_load_ubyte v4, v31, s[18:19]
	s_add_u32 s16, s16, 1
	s_addc_u32 s17, s17, 0
	s_waitcnt vmcnt(0)
	v_and_b32_e32 v30, 0xffff, v4
	v_lshlrev_b64 v[4:5], s10, v[30:31]
	s_add_u32 s10, s10, 8
	s_addc_u32 s11, s11, 0
	v_or_b32_e32 v16, v4, v16
	s_cmp_lg_u32 s15, s16
	v_or_b32_e32 v17, v5, v17
	s_cbranch_scc1 .LBB9_1637
	s_branch .LBB9_1640
.LBB9_1638:                             ;   in Loop: Header=BB9_1611 Depth=1
                                        ; implicit-def: $vgpr16_vgpr17
                                        ; implicit-def: $sgpr18
	s_branch .LBB9_1641
.LBB9_1639:                             ;   in Loop: Header=BB9_1611 Depth=1
	v_mov_b64_e32 v[16:17], 0
.LBB9_1640:                             ;   in Loop: Header=BB9_1611 Depth=1
	s_mov_b32 s18, 0
	s_cbranch_execnz .LBB9_1642
.LBB9_1641:                             ;   in Loop: Header=BB9_1611 Depth=1
	global_load_dwordx2 v[16:17], v31, s[0:1]
	s_add_i32 s18, s15, -8
	s_add_u32 s0, s0, 8
	s_addc_u32 s1, s1, 0
.LBB9_1642:                             ;   in Loop: Header=BB9_1611 Depth=1
	s_cmp_gt_u32 s18, 7
	s_cbranch_scc1 .LBB9_1646
; %bb.1643:                             ;   in Loop: Header=BB9_1611 Depth=1
	s_cmp_eq_u32 s18, 0
	s_cbranch_scc1 .LBB9_1647
; %bb.1644:                             ;   in Loop: Header=BB9_1611 Depth=1
	s_mov_b64 s[10:11], 0
	v_mov_b64_e32 v[18:19], 0
	s_mov_b64 s[16:17], 0
.LBB9_1645:                             ;   Parent Loop BB9_1611 Depth=1
                                        ; =>  This Inner Loop Header: Depth=2
	s_add_u32 s20, s0, s16
	s_addc_u32 s21, s1, s17
	global_load_ubyte v4, v31, s[20:21]
	s_add_u32 s16, s16, 1
	s_addc_u32 s17, s17, 0
	s_waitcnt vmcnt(0)
	v_and_b32_e32 v30, 0xffff, v4
	v_lshlrev_b64 v[4:5], s10, v[30:31]
	s_add_u32 s10, s10, 8
	s_addc_u32 s11, s11, 0
	v_or_b32_e32 v18, v4, v18
	s_cmp_lg_u32 s18, s16
	v_or_b32_e32 v19, v5, v19
	s_cbranch_scc1 .LBB9_1645
	s_branch .LBB9_1648
.LBB9_1646:                             ;   in Loop: Header=BB9_1611 Depth=1
                                        ; implicit-def: $sgpr15
	s_branch .LBB9_1649
.LBB9_1647:                             ;   in Loop: Header=BB9_1611 Depth=1
	v_mov_b64_e32 v[18:19], 0
.LBB9_1648:                             ;   in Loop: Header=BB9_1611 Depth=1
	s_mov_b32 s15, 0
	s_cbranch_execnz .LBB9_1650
.LBB9_1649:                             ;   in Loop: Header=BB9_1611 Depth=1
	global_load_dwordx2 v[18:19], v31, s[0:1]
	s_add_i32 s15, s18, -8
	s_add_u32 s0, s0, 8
	s_addc_u32 s1, s1, 0
.LBB9_1650:                             ;   in Loop: Header=BB9_1611 Depth=1
	s_cmp_gt_u32 s15, 7
	s_cbranch_scc1 .LBB9_1654
; %bb.1651:                             ;   in Loop: Header=BB9_1611 Depth=1
	s_cmp_eq_u32 s15, 0
	s_cbranch_scc1 .LBB9_1655
; %bb.1652:                             ;   in Loop: Header=BB9_1611 Depth=1
	s_mov_b64 s[10:11], 0
	v_mov_b64_e32 v[20:21], 0
	s_mov_b64 s[16:17], 0
.LBB9_1653:                             ;   Parent Loop BB9_1611 Depth=1
                                        ; =>  This Inner Loop Header: Depth=2
	s_add_u32 s18, s0, s16
	s_addc_u32 s19, s1, s17
	global_load_ubyte v4, v31, s[18:19]
	s_add_u32 s16, s16, 1
	s_addc_u32 s17, s17, 0
	s_waitcnt vmcnt(0)
	v_and_b32_e32 v30, 0xffff, v4
	v_lshlrev_b64 v[4:5], s10, v[30:31]
	s_add_u32 s10, s10, 8
	s_addc_u32 s11, s11, 0
	v_or_b32_e32 v20, v4, v20
	s_cmp_lg_u32 s15, s16
	v_or_b32_e32 v21, v5, v21
	s_cbranch_scc1 .LBB9_1653
	s_branch .LBB9_1656
.LBB9_1654:                             ;   in Loop: Header=BB9_1611 Depth=1
                                        ; implicit-def: $vgpr20_vgpr21
                                        ; implicit-def: $sgpr18
	s_branch .LBB9_1657
.LBB9_1655:                             ;   in Loop: Header=BB9_1611 Depth=1
	v_mov_b64_e32 v[20:21], 0
.LBB9_1656:                             ;   in Loop: Header=BB9_1611 Depth=1
	s_mov_b32 s18, 0
	s_cbranch_execnz .LBB9_1658
.LBB9_1657:                             ;   in Loop: Header=BB9_1611 Depth=1
	global_load_dwordx2 v[20:21], v31, s[0:1]
	s_add_i32 s18, s15, -8
	s_add_u32 s0, s0, 8
	s_addc_u32 s1, s1, 0
.LBB9_1658:                             ;   in Loop: Header=BB9_1611 Depth=1
	s_cmp_gt_u32 s18, 7
	s_cbranch_scc1 .LBB9_1662
; %bb.1659:                             ;   in Loop: Header=BB9_1611 Depth=1
	s_cmp_eq_u32 s18, 0
	s_cbranch_scc1 .LBB9_1663
; %bb.1660:                             ;   in Loop: Header=BB9_1611 Depth=1
	s_mov_b64 s[10:11], 0
	v_mov_b64_e32 v[22:23], 0
	s_mov_b64 s[16:17], s[0:1]
.LBB9_1661:                             ;   Parent Loop BB9_1611 Depth=1
                                        ; =>  This Inner Loop Header: Depth=2
	global_load_ubyte v4, v31, s[16:17]
	s_add_i32 s18, s18, -1
	s_waitcnt vmcnt(0)
	v_and_b32_e32 v30, 0xffff, v4
	v_lshlrev_b64 v[4:5], s10, v[30:31]
	s_add_u32 s10, s10, 8
	s_addc_u32 s11, s11, 0
	s_add_u32 s16, s16, 1
	s_addc_u32 s17, s17, 0
	v_or_b32_e32 v22, v4, v22
	s_cmp_lg_u32 s18, 0
	v_or_b32_e32 v23, v5, v23
	s_cbranch_scc1 .LBB9_1661
	s_branch .LBB9_1664
.LBB9_1662:                             ;   in Loop: Header=BB9_1611 Depth=1
	s_branch .LBB9_1665
.LBB9_1663:                             ;   in Loop: Header=BB9_1611 Depth=1
	v_mov_b64_e32 v[22:23], 0
.LBB9_1664:                             ;   in Loop: Header=BB9_1611 Depth=1
	s_cbranch_execnz .LBB9_1666
.LBB9_1665:                             ;   in Loop: Header=BB9_1611 Depth=1
	global_load_dwordx2 v[22:23], v31, s[0:1]
.LBB9_1666:                             ;   in Loop: Header=BB9_1611 Depth=1
	v_readfirstlane_b32 s0, v47
	s_waitcnt vmcnt(0)
	v_mov_b64_e32 v[4:5], 0
	v_cmp_eq_u32_e64 s[0:1], s0, v47
	s_and_saveexec_b64 s[10:11], s[0:1]
	s_cbranch_execz .LBB9_1672
; %bb.1667:                             ;   in Loop: Header=BB9_1611 Depth=1
	global_load_dwordx2 v[26:27], v31, s[42:43] offset:24 sc0 sc1
	s_waitcnt vmcnt(0)
	buffer_inv sc0 sc1
	global_load_dwordx2 v[4:5], v31, s[42:43] offset:40
	global_load_dwordx2 v[8:9], v31, s[42:43]
	s_waitcnt vmcnt(1)
	v_and_b32_e32 v4, v4, v26
	v_and_b32_e32 v5, v5, v27
	v_mul_lo_u32 v5, v5, 24
	v_mul_hi_u32 v24, v4, 24
	v_add_u32_e32 v5, v24, v5
	v_mul_lo_u32 v4, v4, 24
	s_waitcnt vmcnt(0)
	v_lshl_add_u64 v[4:5], v[8:9], 0, v[4:5]
	global_load_dwordx2 v[24:25], v[4:5], off sc0 sc1
	s_waitcnt vmcnt(0)
	global_atomic_cmpswap_x2 v[4:5], v31, v[24:27], s[42:43] offset:24 sc0 sc1
	s_waitcnt vmcnt(0)
	buffer_inv sc0 sc1
	v_cmp_ne_u64_e32 vcc, v[4:5], v[26:27]
	s_and_saveexec_b64 s[16:17], vcc
	s_cbranch_execz .LBB9_1671
; %bb.1668:                             ;   in Loop: Header=BB9_1611 Depth=1
	s_mov_b64 s[18:19], 0
.LBB9_1669:                             ;   Parent Loop BB9_1611 Depth=1
                                        ; =>  This Inner Loop Header: Depth=2
	s_sleep 1
	global_load_dwordx2 v[8:9], v31, s[42:43] offset:40
	global_load_dwordx2 v[24:25], v31, s[42:43]
	v_mov_b64_e32 v[26:27], v[4:5]
	s_waitcnt vmcnt(1)
	v_and_b32_e32 v4, v8, v26
	s_waitcnt vmcnt(0)
	v_mad_u64_u32 v[4:5], s[20:21], v4, 24, v[24:25]
	v_and_b32_e32 v9, v9, v27
	v_mov_b32_e32 v8, v5
	v_mad_u64_u32 v[8:9], s[20:21], v9, 24, v[8:9]
	v_mov_b32_e32 v5, v8
	global_load_dwordx2 v[24:25], v[4:5], off sc0 sc1
	s_waitcnt vmcnt(0)
	global_atomic_cmpswap_x2 v[4:5], v31, v[24:27], s[42:43] offset:24 sc0 sc1
	s_waitcnt vmcnt(0)
	buffer_inv sc0 sc1
	v_cmp_eq_u64_e32 vcc, v[4:5], v[26:27]
	s_or_b64 s[18:19], vcc, s[18:19]
	s_andn2_b64 exec, exec, s[18:19]
	s_cbranch_execnz .LBB9_1669
; %bb.1670:                             ;   in Loop: Header=BB9_1611 Depth=1
	s_or_b64 exec, exec, s[18:19]
.LBB9_1671:                             ;   in Loop: Header=BB9_1611 Depth=1
	s_or_b64 exec, exec, s[16:17]
.LBB9_1672:                             ;   in Loop: Header=BB9_1611 Depth=1
	s_or_b64 exec, exec, s[10:11]
	global_load_dwordx2 v[8:9], v31, s[42:43] offset:40
	global_load_dwordx4 v[24:27], v31, s[42:43]
	v_readfirstlane_b32 s10, v4
	v_readfirstlane_b32 s11, v5
	s_mov_b64 s[16:17], exec
	s_waitcnt vmcnt(1)
	v_readfirstlane_b32 s18, v8
	v_readfirstlane_b32 s19, v9
	s_and_b64 s[18:19], s[10:11], s[18:19]
	s_mul_i32 s15, s19, 24
	s_mul_hi_u32 s20, s18, 24
	s_add_i32 s21, s20, s15
	s_mul_i32 s20, s18, 24
	s_waitcnt vmcnt(0)
	v_lshl_add_u64 v[32:33], v[24:25], 0, s[20:21]
	s_and_saveexec_b64 s[20:21], s[0:1]
	s_cbranch_execz .LBB9_1674
; %bb.1673:                             ;   in Loop: Header=BB9_1611 Depth=1
	v_mov_b64_e32 v[4:5], s[16:17]
	global_store_dwordx4 v[32:33], v[4:7], off offset:8
.LBB9_1674:                             ;   in Loop: Header=BB9_1611 Depth=1
	s_or_b64 exec, exec, s[20:21]
	s_nop 0
	v_or_b32_e32 v5, v2, v28
	v_cmp_gt_u64_e64 vcc, s[4:5], 56
	s_lshl_b32 s15, s6, 2
	s_lshl_b64 s[16:17], s[18:19], 12
	v_cndmask_b32_e32 v2, v5, v2, vcc
	s_add_i32 s15, s15, 28
	v_lshl_add_u64 v[26:27], v[26:27], 0, s[16:17]
	v_or_b32_e32 v4, 0, v3
	s_and_b32 s15, s15, 0x1e0
	v_and_b32_e32 v2, 0xffffff1f, v2
	v_cndmask_b32_e32 v9, v4, v3, vcc
	v_or_b32_e32 v8, s15, v2
	v_readfirstlane_b32 s16, v26
	v_readfirstlane_b32 s17, v27
	s_nop 4
	global_store_dwordx4 v36, v[8:11], s[16:17]
	global_store_dwordx4 v36, v[12:15], s[16:17] offset:16
	global_store_dwordx4 v36, v[16:19], s[16:17] offset:32
	;; [unrolled: 1-line block ×3, first 2 shown]
	s_and_saveexec_b64 s[16:17], s[0:1]
	s_cbranch_execz .LBB9_1682
; %bb.1675:                             ;   in Loop: Header=BB9_1611 Depth=1
	global_load_dwordx2 v[12:13], v31, s[42:43] offset:32 sc0 sc1
	global_load_dwordx2 v[2:3], v31, s[42:43] offset:40
	v_mov_b32_e32 v10, s10
	v_mov_b32_e32 v11, s11
	s_waitcnt vmcnt(0)
	v_readfirstlane_b32 s18, v2
	v_readfirstlane_b32 s19, v3
	s_and_b64 s[18:19], s[18:19], s[10:11]
	s_mul_i32 s15, s19, 24
	s_mul_hi_u32 s19, s18, 24
	s_mul_i32 s18, s18, 24
	s_add_i32 s19, s19, s15
	v_lshl_add_u64 v[8:9], v[24:25], 0, s[18:19]
	global_store_dwordx2 v[8:9], v[12:13], off
	buffer_wbl2 sc0 sc1
	s_waitcnt vmcnt(0)
	global_atomic_cmpswap_x2 v[4:5], v31, v[10:13], s[42:43] offset:32 sc0 sc1
	s_waitcnt vmcnt(0)
	v_cmp_ne_u64_e32 vcc, v[4:5], v[12:13]
	s_and_saveexec_b64 s[18:19], vcc
	s_cbranch_execz .LBB9_1678
; %bb.1676:                             ;   in Loop: Header=BB9_1611 Depth=1
	s_mov_b64 s[20:21], 0
.LBB9_1677:                             ;   Parent Loop BB9_1611 Depth=1
                                        ; =>  This Inner Loop Header: Depth=2
	s_sleep 1
	global_store_dwordx2 v[8:9], v[4:5], off
	v_mov_b32_e32 v2, s10
	v_mov_b32_e32 v3, s11
	buffer_wbl2 sc0 sc1
	s_waitcnt vmcnt(0)
	global_atomic_cmpswap_x2 v[2:3], v31, v[2:5], s[42:43] offset:32 sc0 sc1
	s_waitcnt vmcnt(0)
	v_cmp_eq_u64_e32 vcc, v[2:3], v[4:5]
	s_or_b64 s[20:21], vcc, s[20:21]
	v_mov_b64_e32 v[4:5], v[2:3]
	s_andn2_b64 exec, exec, s[20:21]
	s_cbranch_execnz .LBB9_1677
.LBB9_1678:                             ;   in Loop: Header=BB9_1611 Depth=1
	s_or_b64 exec, exec, s[18:19]
	global_load_dwordx2 v[2:3], v31, s[42:43] offset:16
	s_mov_b64 s[20:21], exec
	v_mbcnt_lo_u32_b32 v4, s20, 0
	v_mbcnt_hi_u32_b32 v4, s21, v4
	v_cmp_eq_u32_e32 vcc, 0, v4
	s_and_saveexec_b64 s[18:19], vcc
	s_cbranch_execz .LBB9_1680
; %bb.1679:                             ;   in Loop: Header=BB9_1611 Depth=1
	s_bcnt1_i32_b64 s15, s[20:21]
	v_mov_b32_e32 v30, s15
	buffer_wbl2 sc0 sc1
	s_waitcnt vmcnt(0)
	global_atomic_add_x2 v[2:3], v[30:31], off offset:8 sc1
.LBB9_1680:                             ;   in Loop: Header=BB9_1611 Depth=1
	s_or_b64 exec, exec, s[18:19]
	s_waitcnt vmcnt(0)
	global_load_dwordx2 v[4:5], v[2:3], off offset:16
	s_waitcnt vmcnt(0)
	v_cmp_eq_u64_e32 vcc, 0, v[4:5]
	s_cbranch_vccnz .LBB9_1682
; %bb.1681:                             ;   in Loop: Header=BB9_1611 Depth=1
	global_load_dword v30, v[2:3], off offset:24
	s_waitcnt vmcnt(0)
	v_and_b32_e32 v2, 0xffffff, v30
	s_nop 0
	v_readfirstlane_b32 m0, v2
	buffer_wbl2 sc0 sc1
	global_store_dwordx2 v[4:5], v[30:31], off sc0 sc1
	s_sendmsg sendmsg(MSG_INTERRUPT)
.LBB9_1682:                             ;   in Loop: Header=BB9_1611 Depth=1
	s_or_b64 exec, exec, s[16:17]
	v_mov_b32_e32 v37, v31
	v_lshl_add_u64 v[2:3], v[26:27], 0, v[36:37]
	s_branch .LBB9_1686
.LBB9_1683:                             ;   in Loop: Header=BB9_1686 Depth=2
	s_or_b64 exec, exec, s[16:17]
	v_readfirstlane_b32 s15, v4
	s_cmp_eq_u32 s15, 0
	s_cbranch_scc1 .LBB9_1685
; %bb.1684:                             ;   in Loop: Header=BB9_1686 Depth=2
	s_sleep 1
	s_cbranch_execnz .LBB9_1686
	s_branch .LBB9_1688
.LBB9_1685:                             ;   in Loop: Header=BB9_1611 Depth=1
	s_branch .LBB9_1688
.LBB9_1686:                             ;   Parent Loop BB9_1611 Depth=1
                                        ; =>  This Inner Loop Header: Depth=2
	v_mov_b32_e32 v4, 1
	s_and_saveexec_b64 s[16:17], s[0:1]
	s_cbranch_execz .LBB9_1683
; %bb.1687:                             ;   in Loop: Header=BB9_1686 Depth=2
	global_load_dword v4, v[32:33], off offset:20 sc0 sc1
	s_waitcnt vmcnt(0)
	buffer_inv sc0 sc1
	v_and_b32_e32 v4, 1, v4
	s_branch .LBB9_1683
.LBB9_1688:                             ;   in Loop: Header=BB9_1611 Depth=1
	global_load_dwordx4 v[2:5], v[2:3], off
	s_and_saveexec_b64 s[16:17], s[0:1]
	s_cbranch_execz .LBB9_1610
; %bb.1689:                             ;   in Loop: Header=BB9_1611 Depth=1
	global_load_dwordx2 v[4:5], v31, s[42:43] offset:40
	global_load_dwordx2 v[12:13], v31, s[42:43] offset:24 sc0 sc1
	global_load_dwordx2 v[14:15], v31, s[42:43]
	s_waitcnt vmcnt(2)
	v_lshl_add_u64 v[8:9], v[4:5], 0, 1
	v_lshl_add_u64 v[16:17], v[8:9], 0, s[10:11]
	v_cmp_eq_u64_e32 vcc, 0, v[16:17]
	s_waitcnt vmcnt(1)
	v_mov_b32_e32 v10, v12
	v_cndmask_b32_e32 v9, v17, v9, vcc
	v_cndmask_b32_e32 v8, v16, v8, vcc
	v_and_b32_e32 v5, v9, v5
	v_and_b32_e32 v4, v8, v4
	v_mul_lo_u32 v5, v5, 24
	v_mul_hi_u32 v11, v4, 24
	v_mul_lo_u32 v4, v4, 24
	v_add_u32_e32 v5, v11, v5
	s_waitcnt vmcnt(0)
	v_lshl_add_u64 v[4:5], v[14:15], 0, v[4:5]
	global_store_dwordx2 v[4:5], v[12:13], off
	v_mov_b32_e32 v11, v13
	buffer_wbl2 sc0 sc1
	s_waitcnt vmcnt(0)
	global_atomic_cmpswap_x2 v[10:11], v31, v[8:11], s[42:43] offset:24 sc0 sc1
	s_waitcnt vmcnt(0)
	v_cmp_ne_u64_e32 vcc, v[10:11], v[12:13]
	s_and_b64 exec, exec, vcc
	s_cbranch_execz .LBB9_1610
; %bb.1690:                             ;   in Loop: Header=BB9_1611 Depth=1
	s_mov_b64 s[0:1], 0
.LBB9_1691:                             ;   Parent Loop BB9_1611 Depth=1
                                        ; =>  This Inner Loop Header: Depth=2
	s_sleep 1
	global_store_dwordx2 v[4:5], v[10:11], off
	buffer_wbl2 sc0 sc1
	s_waitcnt vmcnt(0)
	global_atomic_cmpswap_x2 v[12:13], v31, v[8:11], s[42:43] offset:24 sc0 sc1
	s_waitcnt vmcnt(0)
	v_cmp_eq_u64_e32 vcc, v[12:13], v[10:11]
	s_or_b64 s[0:1], vcc, s[0:1]
	v_mov_b64_e32 v[10:11], v[12:13]
	s_andn2_b64 exec, exec, s[0:1]
	s_cbranch_execnz .LBB9_1691
	s_branch .LBB9_1610
.LBB9_1692:
	s_branch .LBB9_1720
.LBB9_1693:
                                        ; implicit-def: $vgpr2_vgpr3
	s_cbranch_execz .LBB9_1720
; %bb.1694:
	v_readfirstlane_b32 s0, v47
	s_waitcnt vmcnt(0)
	v_mov_b64_e32 v[2:3], 0
	v_cmp_eq_u32_e64 s[0:1], s0, v47
	s_and_saveexec_b64 s[2:3], s[0:1]
	s_cbranch_execz .LBB9_1700
; %bb.1695:
	v_mov_b32_e32 v4, 0
	global_load_dwordx2 v[8:9], v4, s[42:43] offset:24 sc0 sc1
	s_waitcnt vmcnt(0)
	buffer_inv sc0 sc1
	global_load_dwordx2 v[2:3], v4, s[42:43] offset:40
	global_load_dwordx2 v[6:7], v4, s[42:43]
	s_waitcnt vmcnt(1)
	v_and_b32_e32 v2, v2, v8
	v_and_b32_e32 v3, v3, v9
	v_mul_lo_u32 v3, v3, 24
	v_mul_hi_u32 v5, v2, 24
	v_add_u32_e32 v3, v5, v3
	v_mul_lo_u32 v2, v2, 24
	s_waitcnt vmcnt(0)
	v_lshl_add_u64 v[2:3], v[6:7], 0, v[2:3]
	global_load_dwordx2 v[6:7], v[2:3], off sc0 sc1
	s_waitcnt vmcnt(0)
	global_atomic_cmpswap_x2 v[2:3], v4, v[6:9], s[42:43] offset:24 sc0 sc1
	s_waitcnt vmcnt(0)
	buffer_inv sc0 sc1
	v_cmp_ne_u64_e32 vcc, v[2:3], v[8:9]
	s_and_saveexec_b64 s[4:5], vcc
	s_cbranch_execz .LBB9_1699
; %bb.1696:
	s_mov_b64 s[6:7], 0
.LBB9_1697:                             ; =>This Inner Loop Header: Depth=1
	s_sleep 1
	global_load_dwordx2 v[6:7], v4, s[42:43] offset:40
	global_load_dwordx2 v[10:11], v4, s[42:43]
	v_mov_b64_e32 v[8:9], v[2:3]
	s_waitcnt vmcnt(1)
	v_and_b32_e32 v2, v6, v8
	s_waitcnt vmcnt(0)
	v_mad_u64_u32 v[2:3], s[10:11], v2, 24, v[10:11]
	v_and_b32_e32 v5, v7, v9
	v_mov_b32_e32 v6, v3
	v_mad_u64_u32 v[6:7], s[10:11], v5, 24, v[6:7]
	v_mov_b32_e32 v3, v6
	global_load_dwordx2 v[6:7], v[2:3], off sc0 sc1
	s_waitcnt vmcnt(0)
	global_atomic_cmpswap_x2 v[2:3], v4, v[6:9], s[42:43] offset:24 sc0 sc1
	s_waitcnt vmcnt(0)
	buffer_inv sc0 sc1
	v_cmp_eq_u64_e32 vcc, v[2:3], v[8:9]
	s_or_b64 s[6:7], vcc, s[6:7]
	s_andn2_b64 exec, exec, s[6:7]
	s_cbranch_execnz .LBB9_1697
; %bb.1698:
	s_or_b64 exec, exec, s[6:7]
.LBB9_1699:
	s_or_b64 exec, exec, s[4:5]
.LBB9_1700:
	s_or_b64 exec, exec, s[2:3]
	v_mov_b32_e32 v37, 0
	global_load_dwordx2 v[8:9], v37, s[42:43] offset:40
	global_load_dwordx4 v[4:7], v37, s[42:43]
	v_readfirstlane_b32 s2, v2
	v_readfirstlane_b32 s3, v3
	s_mov_b64 s[4:5], exec
	s_waitcnt vmcnt(1)
	v_readfirstlane_b32 s6, v8
	v_readfirstlane_b32 s7, v9
	s_and_b64 s[6:7], s[2:3], s[6:7]
	s_mul_i32 s10, s7, 24
	s_mul_hi_u32 s11, s6, 24
	s_add_i32 s11, s11, s10
	s_mul_i32 s10, s6, 24
	s_waitcnt vmcnt(0)
	v_lshl_add_u64 v[8:9], v[4:5], 0, s[10:11]
	s_and_saveexec_b64 s[10:11], s[0:1]
	s_cbranch_execz .LBB9_1702
; %bb.1701:
	v_mov_b64_e32 v[10:11], s[4:5]
	v_mov_b32_e32 v12, 2
	v_mov_b32_e32 v13, 1
	global_store_dwordx4 v[8:9], v[10:13], off offset:8
.LBB9_1702:
	s_or_b64 exec, exec, s[10:11]
	s_lshl_b64 s[4:5], s[6:7], 12
	v_lshl_add_u64 v[6:7], v[6:7], 0, s[4:5]
	s_movk_i32 s4, 0xff1f
	v_and_or_b32 v0, v0, s4, 32
	s_mov_b32 s4, 0
	v_mov_b32_e32 v2, v37
	v_mov_b32_e32 v3, v37
	v_readfirstlane_b32 s10, v6
	v_readfirstlane_b32 s11, v7
	s_mov_b32 s5, s4
	s_mov_b32 s6, s4
	;; [unrolled: 1-line block ×3, first 2 shown]
	s_nop 1
	global_store_dwordx4 v36, v[0:3], s[10:11]
	s_nop 1
	v_mov_b64_e32 v[0:1], s[4:5]
	v_mov_b64_e32 v[2:3], s[6:7]
	global_store_dwordx4 v36, v[0:3], s[10:11] offset:16
	global_store_dwordx4 v36, v[0:3], s[10:11] offset:32
	;; [unrolled: 1-line block ×3, first 2 shown]
	s_and_saveexec_b64 s[4:5], s[0:1]
	s_cbranch_execz .LBB9_1710
; %bb.1703:
	v_mov_b32_e32 v10, 0
	global_load_dwordx2 v[14:15], v10, s[42:43] offset:32 sc0 sc1
	global_load_dwordx2 v[0:1], v10, s[42:43] offset:40
	v_mov_b32_e32 v12, s2
	v_mov_b32_e32 v13, s3
	s_waitcnt vmcnt(0)
	v_readfirstlane_b32 s6, v0
	v_readfirstlane_b32 s7, v1
	s_and_b64 s[6:7], s[6:7], s[2:3]
	s_mul_i32 s7, s7, 24
	s_mul_hi_u32 s10, s6, 24
	s_mul_i32 s6, s6, 24
	s_add_i32 s7, s10, s7
	v_lshl_add_u64 v[4:5], v[4:5], 0, s[6:7]
	global_store_dwordx2 v[4:5], v[14:15], off
	buffer_wbl2 sc0 sc1
	s_waitcnt vmcnt(0)
	global_atomic_cmpswap_x2 v[2:3], v10, v[12:15], s[42:43] offset:32 sc0 sc1
	s_waitcnt vmcnt(0)
	v_cmp_ne_u64_e32 vcc, v[2:3], v[14:15]
	s_and_saveexec_b64 s[6:7], vcc
	s_cbranch_execz .LBB9_1706
; %bb.1704:
	s_mov_b64 s[10:11], 0
.LBB9_1705:                             ; =>This Inner Loop Header: Depth=1
	s_sleep 1
	global_store_dwordx2 v[4:5], v[2:3], off
	v_mov_b32_e32 v0, s2
	v_mov_b32_e32 v1, s3
	buffer_wbl2 sc0 sc1
	s_waitcnt vmcnt(0)
	global_atomic_cmpswap_x2 v[0:1], v10, v[0:3], s[42:43] offset:32 sc0 sc1
	s_waitcnt vmcnt(0)
	v_cmp_eq_u64_e32 vcc, v[0:1], v[2:3]
	s_or_b64 s[10:11], vcc, s[10:11]
	v_mov_b64_e32 v[2:3], v[0:1]
	s_andn2_b64 exec, exec, s[10:11]
	s_cbranch_execnz .LBB9_1705
.LBB9_1706:
	s_or_b64 exec, exec, s[6:7]
	v_mov_b32_e32 v3, 0
	global_load_dwordx2 v[0:1], v3, s[42:43] offset:16
	s_mov_b64 s[6:7], exec
	v_mbcnt_lo_u32_b32 v2, s6, 0
	v_mbcnt_hi_u32_b32 v2, s7, v2
	v_cmp_eq_u32_e32 vcc, 0, v2
	s_and_saveexec_b64 s[10:11], vcc
	s_cbranch_execz .LBB9_1708
; %bb.1707:
	s_bcnt1_i32_b64 s6, s[6:7]
	v_mov_b32_e32 v2, s6
	buffer_wbl2 sc0 sc1
	s_waitcnt vmcnt(0)
	global_atomic_add_x2 v[0:1], v[2:3], off offset:8 sc1
.LBB9_1708:
	s_or_b64 exec, exec, s[10:11]
	s_waitcnt vmcnt(0)
	global_load_dwordx2 v[2:3], v[0:1], off offset:16
	s_waitcnt vmcnt(0)
	v_cmp_eq_u64_e32 vcc, 0, v[2:3]
	s_cbranch_vccnz .LBB9_1710
; %bb.1709:
	global_load_dword v0, v[0:1], off offset:24
	v_mov_b32_e32 v1, 0
	buffer_wbl2 sc0 sc1
	s_waitcnt vmcnt(0)
	global_store_dwordx2 v[2:3], v[0:1], off sc0 sc1
	v_and_b32_e32 v0, 0xffffff, v0
	s_nop 0
	v_readfirstlane_b32 m0, v0
	s_sendmsg sendmsg(MSG_INTERRUPT)
.LBB9_1710:
	s_or_b64 exec, exec, s[4:5]
	v_lshl_add_u64 v[0:1], v[6:7], 0, v[36:37]
	s_branch .LBB9_1714
.LBB9_1711:                             ;   in Loop: Header=BB9_1714 Depth=1
	s_or_b64 exec, exec, s[4:5]
	v_readfirstlane_b32 s4, v2
	s_cmp_eq_u32 s4, 0
	s_cbranch_scc1 .LBB9_1713
; %bb.1712:                             ;   in Loop: Header=BB9_1714 Depth=1
	s_sleep 1
	s_cbranch_execnz .LBB9_1714
	s_branch .LBB9_1716
.LBB9_1713:
	s_branch .LBB9_1716
.LBB9_1714:                             ; =>This Inner Loop Header: Depth=1
	v_mov_b32_e32 v2, 1
	s_and_saveexec_b64 s[4:5], s[0:1]
	s_cbranch_execz .LBB9_1711
; %bb.1715:                             ;   in Loop: Header=BB9_1714 Depth=1
	global_load_dword v2, v[8:9], off offset:20 sc0 sc1
	s_waitcnt vmcnt(0)
	buffer_inv sc0 sc1
	v_and_b32_e32 v2, 1, v2
	s_branch .LBB9_1711
.LBB9_1716:
	global_load_dwordx2 v[2:3], v[0:1], off
	s_and_saveexec_b64 s[4:5], s[0:1]
	s_cbranch_execz .LBB9_1719
; %bb.1717:
	v_mov_b32_e32 v8, 0
	global_load_dwordx2 v[0:1], v8, s[42:43] offset:40
	global_load_dwordx2 v[10:11], v8, s[42:43] offset:24 sc0 sc1
	global_load_dwordx2 v[12:13], v8, s[42:43]
	s_mov_b64 s[0:1], 0
	s_waitcnt vmcnt(2)
	v_lshl_add_u64 v[4:5], v[0:1], 0, 1
	v_lshl_add_u64 v[14:15], v[4:5], 0, s[2:3]
	v_cmp_eq_u64_e32 vcc, 0, v[14:15]
	s_waitcnt vmcnt(1)
	v_mov_b32_e32 v6, v10
	v_cndmask_b32_e32 v5, v15, v5, vcc
	v_cndmask_b32_e32 v4, v14, v4, vcc
	v_and_b32_e32 v1, v5, v1
	v_and_b32_e32 v0, v4, v0
	v_mul_lo_u32 v1, v1, 24
	v_mul_hi_u32 v7, v0, 24
	v_mul_lo_u32 v0, v0, 24
	v_add_u32_e32 v1, v7, v1
	s_waitcnt vmcnt(0)
	v_lshl_add_u64 v[0:1], v[12:13], 0, v[0:1]
	global_store_dwordx2 v[0:1], v[10:11], off
	v_mov_b32_e32 v7, v11
	buffer_wbl2 sc0 sc1
	s_waitcnt vmcnt(0)
	global_atomic_cmpswap_x2 v[6:7], v8, v[4:7], s[42:43] offset:24 sc0 sc1
	s_waitcnt vmcnt(0)
	v_cmp_ne_u64_e32 vcc, v[6:7], v[10:11]
	s_and_b64 exec, exec, vcc
	s_cbranch_execz .LBB9_1719
.LBB9_1718:                             ; =>This Inner Loop Header: Depth=1
	s_sleep 1
	global_store_dwordx2 v[0:1], v[6:7], off
	buffer_wbl2 sc0 sc1
	s_waitcnt vmcnt(0)
	global_atomic_cmpswap_x2 v[10:11], v8, v[4:7], s[42:43] offset:24 sc0 sc1
	s_waitcnt vmcnt(0)
	v_cmp_eq_u64_e32 vcc, v[10:11], v[6:7]
	s_or_b64 s[0:1], vcc, s[0:1]
	v_mov_b64_e32 v[6:7], v[10:11]
	s_andn2_b64 exec, exec, s[0:1]
	s_cbranch_execnz .LBB9_1718
.LBB9_1719:
	s_or_b64 exec, exec, s[4:5]
.LBB9_1720:
	v_readfirstlane_b32 s0, v47
	s_waitcnt vmcnt(0)
	v_mov_b64_e32 v[0:1], 0
	v_cmp_eq_u32_e64 s[0:1], s0, v47
	s_and_saveexec_b64 s[2:3], s[0:1]
	s_cbranch_execz .LBB9_1726
; %bb.1721:
	v_mov_b32_e32 v4, 0
	global_load_dwordx2 v[8:9], v4, s[42:43] offset:24 sc0 sc1
	s_waitcnt vmcnt(0)
	buffer_inv sc0 sc1
	global_load_dwordx2 v[0:1], v4, s[42:43] offset:40
	global_load_dwordx2 v[6:7], v4, s[42:43]
	s_waitcnt vmcnt(1)
	v_and_b32_e32 v0, v0, v8
	v_and_b32_e32 v1, v1, v9
	v_mul_lo_u32 v1, v1, 24
	v_mul_hi_u32 v5, v0, 24
	v_add_u32_e32 v1, v5, v1
	v_mul_lo_u32 v0, v0, 24
	s_waitcnt vmcnt(0)
	v_lshl_add_u64 v[0:1], v[6:7], 0, v[0:1]
	global_load_dwordx2 v[6:7], v[0:1], off sc0 sc1
	s_waitcnt vmcnt(0)
	global_atomic_cmpswap_x2 v[0:1], v4, v[6:9], s[42:43] offset:24 sc0 sc1
	s_waitcnt vmcnt(0)
	buffer_inv sc0 sc1
	v_cmp_ne_u64_e32 vcc, v[0:1], v[8:9]
	s_and_saveexec_b64 s[4:5], vcc
	s_cbranch_execz .LBB9_1725
; %bb.1722:
	s_mov_b64 s[6:7], 0
.LBB9_1723:                             ; =>This Inner Loop Header: Depth=1
	s_sleep 1
	global_load_dwordx2 v[6:7], v4, s[42:43] offset:40
	global_load_dwordx2 v[10:11], v4, s[42:43]
	v_mov_b64_e32 v[8:9], v[0:1]
	s_waitcnt vmcnt(1)
	v_and_b32_e32 v0, v6, v8
	s_waitcnt vmcnt(0)
	v_mad_u64_u32 v[0:1], s[10:11], v0, 24, v[10:11]
	v_and_b32_e32 v5, v7, v9
	v_mov_b32_e32 v6, v1
	v_mad_u64_u32 v[6:7], s[10:11], v5, 24, v[6:7]
	v_mov_b32_e32 v1, v6
	global_load_dwordx2 v[6:7], v[0:1], off sc0 sc1
	s_waitcnt vmcnt(0)
	global_atomic_cmpswap_x2 v[0:1], v4, v[6:9], s[42:43] offset:24 sc0 sc1
	s_waitcnt vmcnt(0)
	buffer_inv sc0 sc1
	v_cmp_eq_u64_e32 vcc, v[0:1], v[8:9]
	s_or_b64 s[6:7], vcc, s[6:7]
	s_andn2_b64 exec, exec, s[6:7]
	s_cbranch_execnz .LBB9_1723
; %bb.1724:
	s_or_b64 exec, exec, s[6:7]
.LBB9_1725:
	s_or_b64 exec, exec, s[4:5]
.LBB9_1726:
	s_or_b64 exec, exec, s[2:3]
	v_mov_b32_e32 v5, 0
	global_load_dwordx2 v[10:11], v5, s[42:43] offset:40
	global_load_dwordx4 v[6:9], v5, s[42:43]
	v_readfirstlane_b32 s2, v0
	v_readfirstlane_b32 s3, v1
	s_mov_b64 s[4:5], exec
	s_waitcnt vmcnt(1)
	v_readfirstlane_b32 s6, v10
	v_readfirstlane_b32 s7, v11
	s_and_b64 s[6:7], s[2:3], s[6:7]
	s_mul_i32 s10, s7, 24
	s_mul_hi_u32 s11, s6, 24
	s_add_i32 s11, s11, s10
	s_mul_i32 s10, s6, 24
	s_waitcnt vmcnt(0)
	v_lshl_add_u64 v[10:11], v[6:7], 0, s[10:11]
	s_and_saveexec_b64 s[10:11], s[0:1]
	s_cbranch_execz .LBB9_1728
; %bb.1727:
	v_mov_b64_e32 v[12:13], s[4:5]
	v_mov_b32_e32 v14, 2
	v_mov_b32_e32 v15, 1
	global_store_dwordx4 v[10:11], v[12:15], off offset:8
.LBB9_1728:
	s_or_b64 exec, exec, s[10:11]
	s_lshl_b64 s[4:5], s[6:7], 12
	v_lshl_add_u64 v[0:1], v[8:9], 0, s[4:5]
	s_movk_i32 s4, 0xff1d
	v_and_or_b32 v2, v2, s4, 34
	s_mov_b32 s4, 0
	v_mov_b32_e32 v4, 10
	v_readfirstlane_b32 s10, v0
	v_readfirstlane_b32 s11, v1
	s_mov_b32 s5, s4
	s_mov_b32 s6, s4
	;; [unrolled: 1-line block ×3, first 2 shown]
	s_nop 1
	global_store_dwordx4 v36, v[2:5], s[10:11]
	v_mov_b64_e32 v[0:1], s[4:5]
	s_nop 0
	v_mov_b64_e32 v[2:3], s[6:7]
	global_store_dwordx4 v36, v[0:3], s[10:11] offset:16
	global_store_dwordx4 v36, v[0:3], s[10:11] offset:32
	;; [unrolled: 1-line block ×3, first 2 shown]
	s_and_saveexec_b64 s[4:5], s[0:1]
	s_cbranch_execz .LBB9_1736
; %bb.1729:
	v_mov_b32_e32 v8, 0
	global_load_dwordx2 v[14:15], v8, s[42:43] offset:32 sc0 sc1
	global_load_dwordx2 v[0:1], v8, s[42:43] offset:40
	v_mov_b32_e32 v12, s2
	v_mov_b32_e32 v13, s3
	s_waitcnt vmcnt(0)
	v_readfirstlane_b32 s6, v0
	v_readfirstlane_b32 s7, v1
	s_and_b64 s[6:7], s[6:7], s[2:3]
	s_mul_i32 s7, s7, 24
	s_mul_hi_u32 s10, s6, 24
	s_mul_i32 s6, s6, 24
	s_add_i32 s7, s10, s7
	v_lshl_add_u64 v[4:5], v[6:7], 0, s[6:7]
	global_store_dwordx2 v[4:5], v[14:15], off
	buffer_wbl2 sc0 sc1
	s_waitcnt vmcnt(0)
	global_atomic_cmpswap_x2 v[2:3], v8, v[12:15], s[42:43] offset:32 sc0 sc1
	s_waitcnt vmcnt(0)
	v_cmp_ne_u64_e32 vcc, v[2:3], v[14:15]
	s_and_saveexec_b64 s[6:7], vcc
	s_cbranch_execz .LBB9_1732
; %bb.1730:
	s_mov_b64 s[10:11], 0
.LBB9_1731:                             ; =>This Inner Loop Header: Depth=1
	s_sleep 1
	global_store_dwordx2 v[4:5], v[2:3], off
	v_mov_b32_e32 v0, s2
	v_mov_b32_e32 v1, s3
	buffer_wbl2 sc0 sc1
	s_waitcnt vmcnt(0)
	global_atomic_cmpswap_x2 v[0:1], v8, v[0:3], s[42:43] offset:32 sc0 sc1
	s_waitcnt vmcnt(0)
	v_cmp_eq_u64_e32 vcc, v[0:1], v[2:3]
	s_or_b64 s[10:11], vcc, s[10:11]
	v_mov_b64_e32 v[2:3], v[0:1]
	s_andn2_b64 exec, exec, s[10:11]
	s_cbranch_execnz .LBB9_1731
.LBB9_1732:
	s_or_b64 exec, exec, s[6:7]
	v_mov_b32_e32 v3, 0
	global_load_dwordx2 v[0:1], v3, s[42:43] offset:16
	s_mov_b64 s[6:7], exec
	v_mbcnt_lo_u32_b32 v2, s6, 0
	v_mbcnt_hi_u32_b32 v2, s7, v2
	v_cmp_eq_u32_e32 vcc, 0, v2
	s_and_saveexec_b64 s[10:11], vcc
	s_cbranch_execz .LBB9_1734
; %bb.1733:
	s_bcnt1_i32_b64 s6, s[6:7]
	v_mov_b32_e32 v2, s6
	buffer_wbl2 sc0 sc1
	s_waitcnt vmcnt(0)
	global_atomic_add_x2 v[0:1], v[2:3], off offset:8 sc1
.LBB9_1734:
	s_or_b64 exec, exec, s[10:11]
	s_waitcnt vmcnt(0)
	global_load_dwordx2 v[2:3], v[0:1], off offset:16
	s_waitcnt vmcnt(0)
	v_cmp_eq_u64_e32 vcc, 0, v[2:3]
	s_cbranch_vccnz .LBB9_1736
; %bb.1735:
	global_load_dword v0, v[0:1], off offset:24
	v_mov_b32_e32 v1, 0
	buffer_wbl2 sc0 sc1
	s_waitcnt vmcnt(0)
	global_store_dwordx2 v[2:3], v[0:1], off sc0 sc1
	v_and_b32_e32 v0, 0xffffff, v0
	s_nop 0
	v_readfirstlane_b32 m0, v0
	s_sendmsg sendmsg(MSG_INTERRUPT)
.LBB9_1736:
	s_or_b64 exec, exec, s[4:5]
	s_branch .LBB9_1740
.LBB9_1737:                             ;   in Loop: Header=BB9_1740 Depth=1
	s_or_b64 exec, exec, s[4:5]
	v_readfirstlane_b32 s4, v0
	s_cmp_eq_u32 s4, 0
	s_cbranch_scc1 .LBB9_1739
; %bb.1738:                             ;   in Loop: Header=BB9_1740 Depth=1
	s_sleep 1
	s_cbranch_execnz .LBB9_1740
	s_branch .LBB9_1742
.LBB9_1739:
	s_branch .LBB9_1742
.LBB9_1740:                             ; =>This Inner Loop Header: Depth=1
	v_mov_b32_e32 v0, 1
	s_and_saveexec_b64 s[4:5], s[0:1]
	s_cbranch_execz .LBB9_1737
; %bb.1741:                             ;   in Loop: Header=BB9_1740 Depth=1
	global_load_dword v0, v[10:11], off offset:20 sc0 sc1
	s_waitcnt vmcnt(0)
	buffer_inv sc0 sc1
	v_and_b32_e32 v0, 1, v0
	s_branch .LBB9_1737
.LBB9_1742:
	s_and_saveexec_b64 s[4:5], s[0:1]
	s_cbranch_execz .LBB9_1745
; %bb.1743:
	v_mov_b32_e32 v6, 0
	global_load_dwordx2 v[4:5], v6, s[42:43] offset:40
	global_load_dwordx2 v[8:9], v6, s[42:43] offset:24 sc0 sc1
	global_load_dwordx2 v[10:11], v6, s[42:43]
	s_mov_b64 s[0:1], 0
	s_waitcnt vmcnt(2)
	v_lshl_add_u64 v[0:1], v[4:5], 0, 1
	v_lshl_add_u64 v[12:13], v[0:1], 0, s[2:3]
	v_cmp_eq_u64_e32 vcc, 0, v[12:13]
	s_waitcnt vmcnt(1)
	v_mov_b32_e32 v2, v8
	v_cndmask_b32_e32 v1, v13, v1, vcc
	v_cndmask_b32_e32 v0, v12, v0, vcc
	v_and_b32_e32 v3, v1, v5
	v_and_b32_e32 v4, v0, v4
	v_mul_lo_u32 v3, v3, 24
	v_mul_hi_u32 v5, v4, 24
	v_mul_lo_u32 v4, v4, 24
	v_add_u32_e32 v5, v5, v3
	s_waitcnt vmcnt(0)
	v_lshl_add_u64 v[4:5], v[10:11], 0, v[4:5]
	global_store_dwordx2 v[4:5], v[8:9], off
	v_mov_b32_e32 v3, v9
	buffer_wbl2 sc0 sc1
	s_waitcnt vmcnt(0)
	global_atomic_cmpswap_x2 v[2:3], v6, v[0:3], s[42:43] offset:24 sc0 sc1
	s_waitcnt vmcnt(0)
	v_cmp_ne_u64_e32 vcc, v[2:3], v[8:9]
	s_and_b64 exec, exec, vcc
	s_cbranch_execz .LBB9_1745
.LBB9_1744:                             ; =>This Inner Loop Header: Depth=1
	s_sleep 1
	global_store_dwordx2 v[4:5], v[2:3], off
	buffer_wbl2 sc0 sc1
	s_waitcnt vmcnt(0)
	global_atomic_cmpswap_x2 v[8:9], v6, v[0:3], s[42:43] offset:24 sc0 sc1
	s_waitcnt vmcnt(0)
	v_cmp_eq_u64_e32 vcc, v[8:9], v[2:3]
	s_or_b64 s[0:1], vcc, s[0:1]
	v_mov_b64_e32 v[2:3], v[8:9]
	s_andn2_b64 exec, exec, s[0:1]
	s_cbranch_execnz .LBB9_1744
.LBB9_1745:
	s_or_b64 exec, exec, s[4:5]
	flat_load_dwordx2 v[0:1], v[34:35]
	s_waitcnt vmcnt(0) lgkmcnt(0)
	flat_load_dword v2, v[0:1]
	s_waitcnt vmcnt(0) lgkmcnt(0)
	v_add_u32_e32 v2, 1, v2
	flat_store_dword v[0:1], v2
.LBB9_1746:
	s_or_b64 exec, exec, s[40:41]
	s_getpc_b64 s[0:1]
	s_add_u32 s0, s0, _ZN8migraphx4test4failEv@rel32@lo+4
	s_addc_u32 s1, s1, _ZN8migraphx4test4failEv@rel32@hi+12
	s_swappc_b64 s[30:31], s[0:1]
	; divergent unreachable
.LBB9_1747:
	s_andn2_saveexec_b64 s[0:1], s[38:39]
	s_or_b64 exec, exec, s[0:1]
	v_readlane_b32 s30, v62, 0
	v_readlane_b32 s31, v62, 1
	;; [unrolled: 1-line block ×3, first 2 shown]
	s_or_saveexec_b64 s[2:3], -1
	scratch_load_dword v62, off, s33 offset:80 ; 4-byte Folded Reload
	s_mov_b64 exec, s[2:3]
	s_addk_i32 s32, 0xffa0
	s_mov_b32 s33, s0
	s_waitcnt vmcnt(0)
	s_setpc_b64 s[30:31]
.Lfunc_end9:
	.size	_ZL24merge_all_equal_elementsRN8migraphx4test12test_managerE, .Lfunc_end9-_ZL24merge_all_equal_elementsRN8migraphx4test12test_managerE
                                        ; -- End function
	.section	.AMDGPU.csdata,"",@progbits
; Function info:
; codeLenInByte = 59856
; NumSgprs: 58
; NumVgprs: 63
; NumAgprs: 3
; TotalNumVgprs: 67
; ScratchSize: 112
; MemoryBound: 0
	.text
	.p2align	2                               ; -- Begin function _ZN8migraphx4testlsIKNS_13basic_printerIZNS_4coutEvEUlT_E_EEEERS3_S7_RKNS0_10expressionINS0_14lhs_expressionIRNS_5arrayIiLj2EEENS0_3nopEEESC_NS0_5equalEEE
	.type	_ZN8migraphx4testlsIKNS_13basic_printerIZNS_4coutEvEUlT_E_EEEERS3_S7_RKNS0_10expressionINS0_14lhs_expressionIRNS_5arrayIiLj2EEENS0_3nopEEESC_NS0_5equalEEE,@function
_ZN8migraphx4testlsIKNS_13basic_printerIZNS_4coutEvEUlT_E_EEEERS3_S7_RKNS0_10expressionINS0_14lhs_expressionIRNS_5arrayIiLj2EEENS0_3nopEEESC_NS0_5equalEEE: ; @_ZN8migraphx4testlsIKNS_13basic_printerIZNS_4coutEvEUlT_E_EEEERS3_S7_RKNS0_10expressionINS0_14lhs_expressionIRNS_5arrayIiLj2EEENS0_3nopEEESC_NS0_5equalEEE
; %bb.0:
	s_waitcnt vmcnt(0) expcnt(0) lgkmcnt(0)
	s_mov_b32 s0, s33
	s_mov_b32 s33, s32
	s_xor_saveexec_b64 s[2:3], -1
	scratch_store_dword off, v37, s33       ; 4-byte Folded Spill
	s_mov_b64 exec, s[2:3]
	v_writelane_b32 v37, s0, 2
	v_writelane_b32 v37, s30, 0
	s_add_i32 s32, s32, 16
	s_nop 0
	v_writelane_b32 v37, s31, 1
	v_mov_b32_e32 v39, v1
	v_mov_b32_e32 v38, v0
	flat_load_dwordx2 v[56:57], v[38:39]
	s_getpc_b64 s[2:3]
	s_add_u32 s2, s2, .str.7@rel32@lo+4
	s_addc_u32 s3, s3, .str.7@rel32@hi+12
	v_mbcnt_lo_u32_b32 v0, -1, 0
	s_cmp_lg_u64 s[2:3], 0
	s_mov_b32 s20, 0
	v_mov_b32_e32 v55, 0
	v_mbcnt_hi_u32_b32 v46, -1, v0
	s_mov_b64 s[18:19], s[8:9]
	s_mov_b64 s[0:1], 0
	s_mov_b64 s[28:29], -1
	s_cselect_b64 s[26:27], -1, 0
	v_mov_b32_e32 v50, 2
	v_lshlrev_b32_e32 v44, 6, v46
	v_mov_b32_e32 v40, 33
	s_mov_b32 s21, s20
	s_mov_b32 s22, s20
	;; [unrolled: 1-line block ×3, first 2 shown]
	s_movk_i32 s36, 0xff1f
	s_movk_i32 s37, 0xff1d
	v_mov_b32_e32 v51, 1
	v_mov_b32_e32 v41, v55
	;; [unrolled: 1-line block ×4, first 2 shown]
	s_mov_b64 s[34:35], 0
	s_branch .LBB10_2
.LBB10_1:                               ;   in Loop: Header=BB10_2 Depth=1
	s_or_b64 exec, exec, s[6:7]
	s_mov_b64 s[34:35], 1
	s_mov_b64 s[28:29], 0
	s_andn2_b64 vcc, exec, s[2:3]
	s_mov_b64 s[0:1], -1
	s_cbranch_vccz .LBB10_169
.LBB10_2:                               ; =>This Loop Header: Depth=1
                                        ;     Child Loop BB10_7 Depth 2
                                        ;     Child Loop BB10_15 Depth 2
	;; [unrolled: 1-line block ×9, first 2 shown]
                                        ;       Child Loop BB10_36 Depth 3
                                        ;       Child Loop BB10_43 Depth 3
	;; [unrolled: 1-line block ×11, first 2 shown]
                                        ;     Child Loop BB10_146 Depth 2
                                        ;     Child Loop BB10_154 Depth 2
	;; [unrolled: 1-line block ×4, first 2 shown]
	s_andn2_b64 vcc, exec, s[0:1]
	s_cbranch_vccnz .LBB10_4
; %bb.3:                                ;   in Loop: Header=BB10_2 Depth=1
	s_getpc_b64 s[0:1]
	s_add_u32 s0, s0, .str.11@rel32@lo+4
	s_addc_u32 s1, s1, .str.11@rel32@hi+12
	s_mov_b64 s[8:9], s[18:19]
	v_mov_b32_e32 v0, s0
	v_mov_b32_e32 v1, s1
	s_getpc_b64 s[2:3]
	s_add_u32 s2, s2, _ZNK8migraphx13basic_printerIZNS_4coutEvEUlT_E_ElsEPKc@rel32@lo+4
	s_addc_u32 s3, s3, _ZNK8migraphx13basic_printerIZNS_4coutEvEUlT_E_ElsEPKc@rel32@hi+12
	s_swappc_b64 s[30:31], s[2:3]
.LBB10_4:                               ;   in Loop: Header=BB10_2 Depth=1
	s_waitcnt vmcnt(0) lgkmcnt(0)
	v_lshl_add_u64 v[0:1], s[34:35], 2, v[56:57]
	flat_load_dword v21, v[0:1]
	s_load_dwordx2 s[24:25], s[18:19], 0x50
	v_readfirstlane_b32 s0, v46
	v_mov_b64_e32 v[4:5], 0
	s_nop 0
	v_cmp_eq_u32_e64 s[0:1], s0, v46
	s_and_saveexec_b64 s[2:3], s[0:1]
	s_cbranch_execz .LBB10_10
; %bb.5:                                ;   in Loop: Header=BB10_2 Depth=1
	s_waitcnt lgkmcnt(0)
	global_load_dwordx2 v[2:3], v55, s[24:25] offset:24 sc0 sc1
	s_waitcnt vmcnt(0)
	buffer_inv sc0 sc1
	global_load_dwordx2 v[0:1], v55, s[24:25] offset:40
	global_load_dwordx2 v[4:5], v55, s[24:25]
	s_waitcnt vmcnt(1)
	v_and_b32_e32 v0, v0, v2
	v_and_b32_e32 v1, v1, v3
	v_mul_lo_u32 v1, v1, 24
	v_mul_hi_u32 v6, v0, 24
	v_add_u32_e32 v1, v6, v1
	v_mul_lo_u32 v0, v0, 24
	s_waitcnt vmcnt(0)
	v_lshl_add_u64 v[0:1], v[4:5], 0, v[0:1]
	global_load_dwordx2 v[0:1], v[0:1], off sc0 sc1
	s_waitcnt vmcnt(0)
	global_atomic_cmpswap_x2 v[4:5], v55, v[0:3], s[24:25] offset:24 sc0 sc1
	s_waitcnt vmcnt(0)
	buffer_inv sc0 sc1
	v_cmp_ne_u64_e32 vcc, v[4:5], v[2:3]
	s_and_saveexec_b64 s[4:5], vcc
	s_cbranch_execz .LBB10_9
; %bb.6:                                ;   in Loop: Header=BB10_2 Depth=1
	s_mov_b64 s[6:7], 0
.LBB10_7:                               ;   Parent Loop BB10_2 Depth=1
                                        ; =>  This Inner Loop Header: Depth=2
	s_sleep 1
	global_load_dwordx2 v[0:1], v55, s[24:25] offset:40
	global_load_dwordx2 v[6:7], v55, s[24:25]
	v_mov_b64_e32 v[2:3], v[4:5]
	s_waitcnt vmcnt(1)
	v_and_b32_e32 v0, v0, v2
	v_and_b32_e32 v5, v1, v3
	s_waitcnt vmcnt(0)
	v_mad_u64_u32 v[0:1], s[8:9], v0, 24, v[6:7]
	v_mov_b32_e32 v4, v1
	v_mad_u64_u32 v[4:5], s[8:9], v5, 24, v[4:5]
	v_mov_b32_e32 v1, v4
	global_load_dwordx2 v[0:1], v[0:1], off sc0 sc1
	s_waitcnt vmcnt(0)
	global_atomic_cmpswap_x2 v[4:5], v55, v[0:3], s[24:25] offset:24 sc0 sc1
	s_waitcnt vmcnt(0)
	buffer_inv sc0 sc1
	v_cmp_eq_u64_e32 vcc, v[4:5], v[2:3]
	s_or_b64 s[6:7], vcc, s[6:7]
	s_andn2_b64 exec, exec, s[6:7]
	s_cbranch_execnz .LBB10_7
; %bb.8:                                ;   in Loop: Header=BB10_2 Depth=1
	s_or_b64 exec, exec, s[6:7]
.LBB10_9:                               ;   in Loop: Header=BB10_2 Depth=1
	s_or_b64 exec, exec, s[4:5]
.LBB10_10:                              ;   in Loop: Header=BB10_2 Depth=1
	s_or_b64 exec, exec, s[2:3]
	s_waitcnt lgkmcnt(0)
	global_load_dwordx2 v[6:7], v55, s[24:25] offset:40
	global_load_dwordx4 v[0:3], v55, s[24:25]
	v_readfirstlane_b32 s4, v4
	v_readfirstlane_b32 s5, v5
	s_mov_b64 s[2:3], exec
	s_waitcnt vmcnt(0)
	v_readfirstlane_b32 s6, v6
	v_readfirstlane_b32 s7, v7
	s_and_b64 s[6:7], s[4:5], s[6:7]
	s_mul_i32 s8, s7, 24
	s_mul_hi_u32 s9, s6, 24
	s_add_i32 s9, s9, s8
	s_mul_i32 s8, s6, 24
	v_lshl_add_u64 v[4:5], v[0:1], 0, s[8:9]
	s_and_saveexec_b64 s[8:9], s[0:1]
	s_cbranch_execz .LBB10_12
; %bb.11:                               ;   in Loop: Header=BB10_2 Depth=1
	v_mov_b64_e32 v[48:49], s[2:3]
	global_store_dwordx4 v[4:5], v[48:51], off offset:8
.LBB10_12:                              ;   in Loop: Header=BB10_2 Depth=1
	s_or_b64 exec, exec, s[8:9]
	s_lshl_b64 s[2:3], s[6:7], 12
	v_lshl_add_u64 v[6:7], v[2:3], 0, s[2:3]
	v_mov_b64_e32 v[8:9], s[20:21]
	v_readfirstlane_b32 s2, v6
	v_readfirstlane_b32 s3, v7
	v_mov_b64_e32 v[10:11], s[22:23]
	s_nop 3
	global_store_dwordx4 v44, v[40:43], s[2:3]
	global_store_dwordx4 v44, v[8:11], s[2:3] offset:16
	global_store_dwordx4 v44, v[8:11], s[2:3] offset:32
	;; [unrolled: 1-line block ×3, first 2 shown]
	s_and_saveexec_b64 s[2:3], s[0:1]
	s_cbranch_execz .LBB10_20
; %bb.13:                               ;   in Loop: Header=BB10_2 Depth=1
	global_load_dwordx2 v[12:13], v55, s[24:25] offset:32 sc0 sc1
	global_load_dwordx2 v[2:3], v55, s[24:25] offset:40
	v_mov_b32_e32 v10, s4
	v_mov_b32_e32 v11, s5
	s_waitcnt vmcnt(0)
	v_and_b32_e32 v2, s4, v2
	v_and_b32_e32 v3, s5, v3
	v_mul_lo_u32 v3, v3, 24
	v_mul_hi_u32 v8, v2, 24
	v_mul_lo_u32 v2, v2, 24
	v_add_u32_e32 v3, v8, v3
	v_lshl_add_u64 v[8:9], v[0:1], 0, v[2:3]
	global_store_dwordx2 v[8:9], v[12:13], off
	buffer_wbl2 sc0 sc1
	s_waitcnt vmcnt(0)
	global_atomic_cmpswap_x2 v[2:3], v55, v[10:13], s[24:25] offset:32 sc0 sc1
	s_waitcnt vmcnt(0)
	v_cmp_ne_u64_e32 vcc, v[2:3], v[12:13]
	s_and_saveexec_b64 s[6:7], vcc
	s_cbranch_execz .LBB10_16
; %bb.14:                               ;   in Loop: Header=BB10_2 Depth=1
	s_mov_b64 s[8:9], 0
.LBB10_15:                              ;   Parent Loop BB10_2 Depth=1
                                        ; =>  This Inner Loop Header: Depth=2
	s_sleep 1
	global_store_dwordx2 v[8:9], v[2:3], off
	v_mov_b32_e32 v0, s4
	v_mov_b32_e32 v1, s5
	buffer_wbl2 sc0 sc1
	s_waitcnt vmcnt(0)
	global_atomic_cmpswap_x2 v[0:1], v55, v[0:3], s[24:25] offset:32 sc0 sc1
	s_waitcnt vmcnt(0)
	v_cmp_eq_u64_e32 vcc, v[0:1], v[2:3]
	s_or_b64 s[8:9], vcc, s[8:9]
	v_mov_b64_e32 v[2:3], v[0:1]
	s_andn2_b64 exec, exec, s[8:9]
	s_cbranch_execnz .LBB10_15
.LBB10_16:                              ;   in Loop: Header=BB10_2 Depth=1
	s_or_b64 exec, exec, s[6:7]
	global_load_dwordx2 v[0:1], v55, s[24:25] offset:16
	s_mov_b64 s[8:9], exec
	v_mbcnt_lo_u32_b32 v2, s8, 0
	v_mbcnt_hi_u32_b32 v2, s9, v2
	v_cmp_eq_u32_e32 vcc, 0, v2
	s_and_saveexec_b64 s[6:7], vcc
	s_cbranch_execz .LBB10_18
; %bb.17:                               ;   in Loop: Header=BB10_2 Depth=1
	s_bcnt1_i32_b64 s8, s[8:9]
	v_mov_b32_e32 v54, s8
	buffer_wbl2 sc0 sc1
	s_waitcnt vmcnt(0)
	global_atomic_add_x2 v[0:1], v[54:55], off offset:8 sc1
.LBB10_18:                              ;   in Loop: Header=BB10_2 Depth=1
	s_or_b64 exec, exec, s[6:7]
	s_waitcnt vmcnt(0)
	global_load_dwordx2 v[2:3], v[0:1], off offset:16
	s_waitcnt vmcnt(0)
	v_cmp_eq_u64_e32 vcc, 0, v[2:3]
	s_cbranch_vccnz .LBB10_20
; %bb.19:                               ;   in Loop: Header=BB10_2 Depth=1
	global_load_dword v54, v[0:1], off offset:24
	s_waitcnt vmcnt(0)
	v_and_b32_e32 v0, 0xffffff, v54
	s_nop 0
	v_readfirstlane_b32 m0, v0
	buffer_wbl2 sc0 sc1
	global_store_dwordx2 v[2:3], v[54:55], off sc0 sc1
	s_sendmsg sendmsg(MSG_INTERRUPT)
.LBB10_20:                              ;   in Loop: Header=BB10_2 Depth=1
	s_or_b64 exec, exec, s[2:3]
	v_mov_b32_e32 v45, v55
	s_xor_b64 s[2:3], s[28:29], -1
	v_lshl_add_u64 v[0:1], v[6:7], 0, v[44:45]
	s_branch .LBB10_24
.LBB10_21:                              ;   in Loop: Header=BB10_24 Depth=2
	s_or_b64 exec, exec, s[6:7]
	v_readfirstlane_b32 s6, v2
	s_cmp_eq_u32 s6, 0
	s_cbranch_scc1 .LBB10_23
; %bb.22:                               ;   in Loop: Header=BB10_24 Depth=2
	s_sleep 1
	s_cbranch_execnz .LBB10_24
	s_branch .LBB10_26
.LBB10_23:                              ;   in Loop: Header=BB10_2 Depth=1
	s_branch .LBB10_26
.LBB10_24:                              ;   Parent Loop BB10_2 Depth=1
                                        ; =>  This Inner Loop Header: Depth=2
	v_mov_b32_e32 v2, 1
	s_and_saveexec_b64 s[6:7], s[0:1]
	s_cbranch_execz .LBB10_21
; %bb.25:                               ;   in Loop: Header=BB10_24 Depth=2
	global_load_dword v2, v[4:5], off offset:20 sc0 sc1
	s_waitcnt vmcnt(0)
	buffer_inv sc0 sc1
	v_and_b32_e32 v2, 1, v2
	s_branch .LBB10_21
.LBB10_26:                              ;   in Loop: Header=BB10_2 Depth=1
	global_load_dwordx2 v[52:53], v[0:1], off
	s_and_saveexec_b64 s[6:7], s[0:1]
	s_cbranch_execz .LBB10_30
; %bb.27:                               ;   in Loop: Header=BB10_2 Depth=1
	global_load_dwordx2 v[4:5], v55, s[24:25] offset:40
	global_load_dwordx2 v[6:7], v55, s[24:25] offset:24 sc0 sc1
	global_load_dwordx2 v[8:9], v55, s[24:25]
	s_waitcnt vmcnt(2)
	v_lshl_add_u64 v[0:1], v[4:5], 0, 1
	v_lshl_add_u64 v[10:11], v[0:1], 0, s[4:5]
	v_cmp_eq_u64_e32 vcc, 0, v[10:11]
	s_waitcnt vmcnt(1)
	v_mov_b32_e32 v2, v6
	v_cndmask_b32_e32 v1, v11, v1, vcc
	v_cndmask_b32_e32 v0, v10, v0, vcc
	v_and_b32_e32 v3, v1, v5
	v_and_b32_e32 v4, v0, v4
	v_mul_lo_u32 v3, v3, 24
	v_mul_hi_u32 v5, v4, 24
	v_mul_lo_u32 v4, v4, 24
	v_add_u32_e32 v5, v5, v3
	s_waitcnt vmcnt(0)
	v_lshl_add_u64 v[4:5], v[8:9], 0, v[4:5]
	global_store_dwordx2 v[4:5], v[6:7], off
	v_mov_b32_e32 v3, v7
	buffer_wbl2 sc0 sc1
	s_waitcnt vmcnt(0)
	global_atomic_cmpswap_x2 v[2:3], v55, v[0:3], s[24:25] offset:24 sc0 sc1
	s_waitcnt vmcnt(0)
	v_cmp_ne_u64_e32 vcc, v[2:3], v[6:7]
	s_and_b64 exec, exec, vcc
	s_cbranch_execz .LBB10_30
; %bb.28:                               ;   in Loop: Header=BB10_2 Depth=1
	s_mov_b64 s[0:1], 0
.LBB10_29:                              ;   Parent Loop BB10_2 Depth=1
                                        ; =>  This Inner Loop Header: Depth=2
	s_sleep 1
	global_store_dwordx2 v[4:5], v[2:3], off
	buffer_wbl2 sc0 sc1
	s_waitcnt vmcnt(0)
	global_atomic_cmpswap_x2 v[6:7], v55, v[0:3], s[24:25] offset:24 sc0 sc1
	s_waitcnt vmcnt(0)
	v_cmp_eq_u64_e32 vcc, v[6:7], v[2:3]
	s_or_b64 s[0:1], vcc, s[0:1]
	v_mov_b64_e32 v[2:3], v[6:7]
	s_andn2_b64 exec, exec, s[0:1]
	s_cbranch_execnz .LBB10_29
.LBB10_30:                              ;   in Loop: Header=BB10_2 Depth=1
	s_or_b64 exec, exec, s[6:7]
	s_and_b64 vcc, exec, s[26:27]
	s_cbranch_vccz .LBB10_115
; %bb.31:                               ;   in Loop: Header=BB10_2 Depth=1
	s_waitcnt vmcnt(0)
	v_and_b32_e32 v20, 2, v52
	v_and_b32_e32 v0, -3, v52
	v_mov_b32_e32 v1, v53
	s_mov_b64 s[6:7], 4
	s_getpc_b64 s[4:5]
	s_add_u32 s4, s4, .str.7@rel32@lo+4
	s_addc_u32 s5, s5, .str.7@rel32@hi+12
	s_branch .LBB10_33
.LBB10_32:                              ;   in Loop: Header=BB10_33 Depth=2
	s_or_b64 exec, exec, s[12:13]
	s_sub_u32 s6, s6, s8
	s_subb_u32 s7, s7, s9
	s_add_u32 s4, s4, s8
	s_addc_u32 s5, s5, s9
	s_cmp_lg_u64 s[6:7], 0
	s_cbranch_scc0 .LBB10_114
.LBB10_33:                              ;   Parent Loop BB10_2 Depth=1
                                        ; =>  This Loop Header: Depth=2
                                        ;       Child Loop BB10_36 Depth 3
                                        ;       Child Loop BB10_43 Depth 3
	;; [unrolled: 1-line block ×11, first 2 shown]
	v_cmp_lt_u64_e64 s[0:1], s[6:7], 56
	s_and_b64 s[0:1], s[0:1], exec
	v_cmp_gt_u64_e64 s[0:1], s[6:7], 7
	s_cselect_b32 s9, s7, 0
	s_cselect_b32 s8, s6, 56
	s_and_b64 vcc, exec, s[0:1]
	s_cbranch_vccnz .LBB10_38
; %bb.34:                               ;   in Loop: Header=BB10_33 Depth=2
	s_mov_b64 s[0:1], 0
	s_cmp_eq_u64 s[6:7], 0
	s_waitcnt vmcnt(0)
	v_mov_b64_e32 v[2:3], 0
	s_cbranch_scc1 .LBB10_37
; %bb.35:                               ;   in Loop: Header=BB10_33 Depth=2
	s_lshl_b64 s[10:11], s[8:9], 3
	s_mov_b64 s[12:13], 0
	v_mov_b64_e32 v[2:3], 0
	s_mov_b64 s[14:15], s[4:5]
.LBB10_36:                              ;   Parent Loop BB10_2 Depth=1
                                        ;     Parent Loop BB10_33 Depth=2
                                        ; =>    This Inner Loop Header: Depth=3
	global_load_ubyte v4, v55, s[14:15]
	s_waitcnt vmcnt(0)
	v_and_b32_e32 v54, 0xffff, v4
	v_lshlrev_b64 v[4:5], s12, v[54:55]
	s_add_u32 s12, s12, 8
	s_addc_u32 s13, s13, 0
	s_add_u32 s14, s14, 1
	s_addc_u32 s15, s15, 0
	v_or_b32_e32 v2, v4, v2
	s_cmp_lg_u32 s10, s12
	v_or_b32_e32 v3, v5, v3
	s_cbranch_scc1 .LBB10_36
.LBB10_37:                              ;   in Loop: Header=BB10_33 Depth=2
	s_mov_b32 s14, 0
	s_andn2_b64 vcc, exec, s[0:1]
	s_mov_b64 s[0:1], s[4:5]
	s_cbranch_vccz .LBB10_39
	s_branch .LBB10_40
.LBB10_38:                              ;   in Loop: Header=BB10_33 Depth=2
                                        ; implicit-def: $vgpr2_vgpr3
                                        ; implicit-def: $sgpr14
	s_mov_b64 s[0:1], s[4:5]
.LBB10_39:                              ;   in Loop: Header=BB10_33 Depth=2
	global_load_dwordx2 v[2:3], v55, s[4:5]
	s_add_i32 s14, s8, -8
	s_add_u32 s0, s4, 8
	s_addc_u32 s1, s5, 0
.LBB10_40:                              ;   in Loop: Header=BB10_33 Depth=2
	s_cmp_gt_u32 s14, 7
	s_cbranch_scc1 .LBB10_44
; %bb.41:                               ;   in Loop: Header=BB10_33 Depth=2
	s_cmp_eq_u32 s14, 0
	s_cbranch_scc1 .LBB10_45
; %bb.42:                               ;   in Loop: Header=BB10_33 Depth=2
	s_mov_b64 s[10:11], 0
	v_mov_b64_e32 v[4:5], 0
	s_mov_b64 s[12:13], 0
.LBB10_43:                              ;   Parent Loop BB10_2 Depth=1
                                        ;     Parent Loop BB10_33 Depth=2
                                        ; =>    This Inner Loop Header: Depth=3
	s_add_u32 s16, s0, s12
	s_addc_u32 s17, s1, s13
	global_load_ubyte v6, v55, s[16:17]
	s_add_u32 s12, s12, 1
	s_addc_u32 s13, s13, 0
	s_waitcnt vmcnt(0)
	v_and_b32_e32 v54, 0xffff, v6
	v_lshlrev_b64 v[6:7], s10, v[54:55]
	s_add_u32 s10, s10, 8
	s_addc_u32 s11, s11, 0
	v_or_b32_e32 v4, v6, v4
	s_cmp_lg_u32 s14, s12
	v_or_b32_e32 v5, v7, v5
	s_cbranch_scc1 .LBB10_43
	s_branch .LBB10_46
.LBB10_44:                              ;   in Loop: Header=BB10_33 Depth=2
                                        ; implicit-def: $vgpr4_vgpr5
                                        ; implicit-def: $sgpr15
	s_branch .LBB10_47
.LBB10_45:                              ;   in Loop: Header=BB10_33 Depth=2
	v_mov_b64_e32 v[4:5], 0
.LBB10_46:                              ;   in Loop: Header=BB10_33 Depth=2
	s_mov_b32 s15, 0
	s_cbranch_execnz .LBB10_48
.LBB10_47:                              ;   in Loop: Header=BB10_33 Depth=2
	global_load_dwordx2 v[4:5], v55, s[0:1]
	s_add_i32 s15, s14, -8
	s_add_u32 s0, s0, 8
	s_addc_u32 s1, s1, 0
.LBB10_48:                              ;   in Loop: Header=BB10_33 Depth=2
	s_cmp_gt_u32 s15, 7
	s_cbranch_scc1 .LBB10_52
; %bb.49:                               ;   in Loop: Header=BB10_33 Depth=2
	s_cmp_eq_u32 s15, 0
	s_cbranch_scc1 .LBB10_53
; %bb.50:                               ;   in Loop: Header=BB10_33 Depth=2
	s_mov_b64 s[10:11], 0
	v_mov_b64_e32 v[6:7], 0
	s_mov_b64 s[12:13], 0
.LBB10_51:                              ;   Parent Loop BB10_2 Depth=1
                                        ;     Parent Loop BB10_33 Depth=2
                                        ; =>    This Inner Loop Header: Depth=3
	s_add_u32 s16, s0, s12
	s_addc_u32 s17, s1, s13
	global_load_ubyte v8, v55, s[16:17]
	s_add_u32 s12, s12, 1
	s_addc_u32 s13, s13, 0
	s_waitcnt vmcnt(0)
	v_and_b32_e32 v54, 0xffff, v8
	v_lshlrev_b64 v[8:9], s10, v[54:55]
	s_add_u32 s10, s10, 8
	s_addc_u32 s11, s11, 0
	v_or_b32_e32 v6, v8, v6
	s_cmp_lg_u32 s15, s12
	v_or_b32_e32 v7, v9, v7
	s_cbranch_scc1 .LBB10_51
	s_branch .LBB10_54
.LBB10_52:                              ;   in Loop: Header=BB10_33 Depth=2
                                        ; implicit-def: $sgpr14
	s_branch .LBB10_55
.LBB10_53:                              ;   in Loop: Header=BB10_33 Depth=2
	v_mov_b64_e32 v[6:7], 0
.LBB10_54:                              ;   in Loop: Header=BB10_33 Depth=2
	s_mov_b32 s14, 0
	s_cbranch_execnz .LBB10_56
.LBB10_55:                              ;   in Loop: Header=BB10_33 Depth=2
	global_load_dwordx2 v[6:7], v55, s[0:1]
	s_add_i32 s14, s15, -8
	s_add_u32 s0, s0, 8
	s_addc_u32 s1, s1, 0
.LBB10_56:                              ;   in Loop: Header=BB10_33 Depth=2
	s_cmp_gt_u32 s14, 7
	s_cbranch_scc1 .LBB10_60
; %bb.57:                               ;   in Loop: Header=BB10_33 Depth=2
	s_cmp_eq_u32 s14, 0
	s_cbranch_scc1 .LBB10_61
; %bb.58:                               ;   in Loop: Header=BB10_33 Depth=2
	s_mov_b64 s[10:11], 0
	v_mov_b64_e32 v[8:9], 0
	s_mov_b64 s[12:13], 0
.LBB10_59:                              ;   Parent Loop BB10_2 Depth=1
                                        ;     Parent Loop BB10_33 Depth=2
                                        ; =>    This Inner Loop Header: Depth=3
	s_add_u32 s16, s0, s12
	s_addc_u32 s17, s1, s13
	global_load_ubyte v10, v55, s[16:17]
	s_add_u32 s12, s12, 1
	s_addc_u32 s13, s13, 0
	s_waitcnt vmcnt(0)
	v_and_b32_e32 v54, 0xffff, v10
	v_lshlrev_b64 v[10:11], s10, v[54:55]
	s_add_u32 s10, s10, 8
	s_addc_u32 s11, s11, 0
	v_or_b32_e32 v8, v10, v8
	s_cmp_lg_u32 s14, s12
	v_or_b32_e32 v9, v11, v9
	s_cbranch_scc1 .LBB10_59
	s_branch .LBB10_62
.LBB10_60:                              ;   in Loop: Header=BB10_33 Depth=2
                                        ; implicit-def: $vgpr8_vgpr9
                                        ; implicit-def: $sgpr15
	s_branch .LBB10_63
.LBB10_61:                              ;   in Loop: Header=BB10_33 Depth=2
	v_mov_b64_e32 v[8:9], 0
.LBB10_62:                              ;   in Loop: Header=BB10_33 Depth=2
	s_mov_b32 s15, 0
	s_cbranch_execnz .LBB10_64
.LBB10_63:                              ;   in Loop: Header=BB10_33 Depth=2
	global_load_dwordx2 v[8:9], v55, s[0:1]
	s_add_i32 s15, s14, -8
	s_add_u32 s0, s0, 8
	s_addc_u32 s1, s1, 0
.LBB10_64:                              ;   in Loop: Header=BB10_33 Depth=2
	s_cmp_gt_u32 s15, 7
	s_cbranch_scc1 .LBB10_68
; %bb.65:                               ;   in Loop: Header=BB10_33 Depth=2
	s_cmp_eq_u32 s15, 0
	s_cbranch_scc1 .LBB10_69
; %bb.66:                               ;   in Loop: Header=BB10_33 Depth=2
	s_mov_b64 s[10:11], 0
	v_mov_b64_e32 v[10:11], 0
	s_mov_b64 s[12:13], 0
.LBB10_67:                              ;   Parent Loop BB10_2 Depth=1
                                        ;     Parent Loop BB10_33 Depth=2
                                        ; =>    This Inner Loop Header: Depth=3
	s_add_u32 s16, s0, s12
	s_addc_u32 s17, s1, s13
	global_load_ubyte v12, v55, s[16:17]
	s_add_u32 s12, s12, 1
	s_addc_u32 s13, s13, 0
	s_waitcnt vmcnt(0)
	v_and_b32_e32 v54, 0xffff, v12
	v_lshlrev_b64 v[12:13], s10, v[54:55]
	s_add_u32 s10, s10, 8
	s_addc_u32 s11, s11, 0
	v_or_b32_e32 v10, v12, v10
	s_cmp_lg_u32 s15, s12
	v_or_b32_e32 v11, v13, v11
	s_cbranch_scc1 .LBB10_67
	s_branch .LBB10_70
.LBB10_68:                              ;   in Loop: Header=BB10_33 Depth=2
                                        ; implicit-def: $sgpr14
	s_branch .LBB10_71
.LBB10_69:                              ;   in Loop: Header=BB10_33 Depth=2
	v_mov_b64_e32 v[10:11], 0
.LBB10_70:                              ;   in Loop: Header=BB10_33 Depth=2
	s_mov_b32 s14, 0
	s_cbranch_execnz .LBB10_72
.LBB10_71:                              ;   in Loop: Header=BB10_33 Depth=2
	global_load_dwordx2 v[10:11], v55, s[0:1]
	s_add_i32 s14, s15, -8
	s_add_u32 s0, s0, 8
	s_addc_u32 s1, s1, 0
.LBB10_72:                              ;   in Loop: Header=BB10_33 Depth=2
	s_cmp_gt_u32 s14, 7
	s_cbranch_scc1 .LBB10_76
; %bb.73:                               ;   in Loop: Header=BB10_33 Depth=2
	s_cmp_eq_u32 s14, 0
	s_cbranch_scc1 .LBB10_77
; %bb.74:                               ;   in Loop: Header=BB10_33 Depth=2
	s_mov_b64 s[10:11], 0
	v_mov_b64_e32 v[12:13], 0
	s_mov_b64 s[12:13], 0
.LBB10_75:                              ;   Parent Loop BB10_2 Depth=1
                                        ;     Parent Loop BB10_33 Depth=2
                                        ; =>    This Inner Loop Header: Depth=3
	s_add_u32 s16, s0, s12
	s_addc_u32 s17, s1, s13
	global_load_ubyte v14, v55, s[16:17]
	s_add_u32 s12, s12, 1
	s_addc_u32 s13, s13, 0
	s_waitcnt vmcnt(0)
	v_and_b32_e32 v54, 0xffff, v14
	v_lshlrev_b64 v[14:15], s10, v[54:55]
	s_add_u32 s10, s10, 8
	s_addc_u32 s11, s11, 0
	v_or_b32_e32 v12, v14, v12
	s_cmp_lg_u32 s14, s12
	v_or_b32_e32 v13, v15, v13
	s_cbranch_scc1 .LBB10_75
	s_branch .LBB10_78
.LBB10_76:                              ;   in Loop: Header=BB10_33 Depth=2
                                        ; implicit-def: $vgpr12_vgpr13
                                        ; implicit-def: $sgpr15
	s_branch .LBB10_79
.LBB10_77:                              ;   in Loop: Header=BB10_33 Depth=2
	v_mov_b64_e32 v[12:13], 0
.LBB10_78:                              ;   in Loop: Header=BB10_33 Depth=2
	s_mov_b32 s15, 0
	s_cbranch_execnz .LBB10_80
.LBB10_79:                              ;   in Loop: Header=BB10_33 Depth=2
	global_load_dwordx2 v[12:13], v55, s[0:1]
	s_add_i32 s15, s14, -8
	s_add_u32 s0, s0, 8
	s_addc_u32 s1, s1, 0
.LBB10_80:                              ;   in Loop: Header=BB10_33 Depth=2
	s_cmp_gt_u32 s15, 7
	s_cbranch_scc1 .LBB10_84
; %bb.81:                               ;   in Loop: Header=BB10_33 Depth=2
	s_cmp_eq_u32 s15, 0
	s_cbranch_scc1 .LBB10_85
; %bb.82:                               ;   in Loop: Header=BB10_33 Depth=2
	s_mov_b64 s[10:11], 0
	v_mov_b64_e32 v[14:15], 0
	s_mov_b64 s[12:13], s[0:1]
.LBB10_83:                              ;   Parent Loop BB10_2 Depth=1
                                        ;     Parent Loop BB10_33 Depth=2
                                        ; =>    This Inner Loop Header: Depth=3
	global_load_ubyte v16, v55, s[12:13]
	s_add_i32 s15, s15, -1
	s_waitcnt vmcnt(0)
	v_and_b32_e32 v54, 0xffff, v16
	v_lshlrev_b64 v[16:17], s10, v[54:55]
	s_add_u32 s10, s10, 8
	s_addc_u32 s11, s11, 0
	s_add_u32 s12, s12, 1
	s_addc_u32 s13, s13, 0
	v_or_b32_e32 v14, v16, v14
	s_cmp_lg_u32 s15, 0
	v_or_b32_e32 v15, v17, v15
	s_cbranch_scc1 .LBB10_83
	s_branch .LBB10_86
.LBB10_84:                              ;   in Loop: Header=BB10_33 Depth=2
	s_branch .LBB10_87
.LBB10_85:                              ;   in Loop: Header=BB10_33 Depth=2
	v_mov_b64_e32 v[14:15], 0
.LBB10_86:                              ;   in Loop: Header=BB10_33 Depth=2
	s_cbranch_execnz .LBB10_88
.LBB10_87:                              ;   in Loop: Header=BB10_33 Depth=2
	global_load_dwordx2 v[14:15], v55, s[0:1]
.LBB10_88:                              ;   in Loop: Header=BB10_33 Depth=2
	v_readfirstlane_b32 s0, v46
	v_mov_b64_e32 v[22:23], 0
	s_nop 0
	v_cmp_eq_u32_e64 s[0:1], s0, v46
	s_and_saveexec_b64 s[10:11], s[0:1]
	s_cbranch_execz .LBB10_94
; %bb.89:                               ;   in Loop: Header=BB10_33 Depth=2
	global_load_dwordx2 v[18:19], v55, s[24:25] offset:24 sc0 sc1
	s_waitcnt vmcnt(0)
	buffer_inv sc0 sc1
	global_load_dwordx2 v[16:17], v55, s[24:25] offset:40
	global_load_dwordx2 v[22:23], v55, s[24:25]
	s_waitcnt vmcnt(1)
	v_and_b32_e32 v16, v16, v18
	v_and_b32_e32 v17, v17, v19
	v_mul_lo_u32 v17, v17, 24
	v_mul_hi_u32 v24, v16, 24
	v_add_u32_e32 v17, v24, v17
	v_mul_lo_u32 v16, v16, 24
	s_waitcnt vmcnt(0)
	v_lshl_add_u64 v[16:17], v[22:23], 0, v[16:17]
	global_load_dwordx2 v[16:17], v[16:17], off sc0 sc1
	s_waitcnt vmcnt(0)
	global_atomic_cmpswap_x2 v[22:23], v55, v[16:19], s[24:25] offset:24 sc0 sc1
	s_waitcnt vmcnt(0)
	buffer_inv sc0 sc1
	v_cmp_ne_u64_e32 vcc, v[22:23], v[18:19]
	s_and_saveexec_b64 s[12:13], vcc
	s_cbranch_execz .LBB10_93
; %bb.90:                               ;   in Loop: Header=BB10_33 Depth=2
	s_mov_b64 s[14:15], 0
.LBB10_91:                              ;   Parent Loop BB10_2 Depth=1
                                        ;     Parent Loop BB10_33 Depth=2
                                        ; =>    This Inner Loop Header: Depth=3
	s_sleep 1
	global_load_dwordx2 v[16:17], v55, s[24:25] offset:40
	global_load_dwordx2 v[24:25], v55, s[24:25]
	v_mov_b64_e32 v[18:19], v[22:23]
	s_waitcnt vmcnt(1)
	v_and_b32_e32 v16, v16, v18
	v_and_b32_e32 v23, v17, v19
	s_waitcnt vmcnt(0)
	v_mad_u64_u32 v[16:17], s[16:17], v16, 24, v[24:25]
	v_mov_b32_e32 v22, v17
	v_mad_u64_u32 v[22:23], s[16:17], v23, 24, v[22:23]
	v_mov_b32_e32 v17, v22
	global_load_dwordx2 v[16:17], v[16:17], off sc0 sc1
	s_waitcnt vmcnt(0)
	global_atomic_cmpswap_x2 v[22:23], v55, v[16:19], s[24:25] offset:24 sc0 sc1
	s_waitcnt vmcnt(0)
	buffer_inv sc0 sc1
	v_cmp_eq_u64_e32 vcc, v[22:23], v[18:19]
	s_or_b64 s[14:15], vcc, s[14:15]
	s_andn2_b64 exec, exec, s[14:15]
	s_cbranch_execnz .LBB10_91
; %bb.92:                               ;   in Loop: Header=BB10_33 Depth=2
	s_or_b64 exec, exec, s[14:15]
.LBB10_93:                              ;   in Loop: Header=BB10_33 Depth=2
	s_or_b64 exec, exec, s[12:13]
.LBB10_94:                              ;   in Loop: Header=BB10_33 Depth=2
	s_or_b64 exec, exec, s[10:11]
	global_load_dwordx2 v[24:25], v55, s[24:25] offset:40
	global_load_dwordx4 v[16:19], v55, s[24:25]
	v_readfirstlane_b32 s10, v22
	v_readfirstlane_b32 s11, v23
	s_mov_b64 s[12:13], exec
	s_waitcnt vmcnt(1)
	v_readfirstlane_b32 s14, v24
	v_readfirstlane_b32 s15, v25
	s_and_b64 s[14:15], s[10:11], s[14:15]
	s_mul_i32 s16, s15, 24
	s_mul_hi_u32 s17, s14, 24
	s_add_i32 s17, s17, s16
	s_mul_i32 s16, s14, 24
	s_waitcnt vmcnt(0)
	v_lshl_add_u64 v[22:23], v[16:17], 0, s[16:17]
	s_and_saveexec_b64 s[16:17], s[0:1]
	s_cbranch_execz .LBB10_96
; %bb.95:                               ;   in Loop: Header=BB10_33 Depth=2
	v_mov_b64_e32 v[48:49], s[12:13]
	global_store_dwordx4 v[22:23], v[48:51], off offset:8
.LBB10_96:                              ;   in Loop: Header=BB10_33 Depth=2
	s_or_b64 exec, exec, s[16:17]
	s_lshl_b64 s[12:13], s[14:15], 12
	v_lshl_add_u64 v[18:19], v[18:19], 0, s[12:13]
	v_or_b32_e32 v25, v0, v20
	v_cmp_gt_u64_e64 vcc, s[6:7], 56
	s_lshl_b32 s12, s8, 2
	s_add_i32 s12, s12, 28
	v_cndmask_b32_e32 v0, v25, v0, vcc
	v_or_b32_e32 v24, 0, v1
	s_and_b32 s12, s12, 0x1e0
	v_and_b32_e32 v0, 0xffffff1f, v0
	v_cndmask_b32_e32 v1, v24, v1, vcc
	v_or_b32_e32 v0, s12, v0
	v_lshlrev_b32_e32 v54, 6, v46
	v_readfirstlane_b32 s12, v18
	v_readfirstlane_b32 s13, v19
	s_nop 4
	global_store_dwordx4 v54, v[0:3], s[12:13]
	global_store_dwordx4 v54, v[4:7], s[12:13] offset:16
	global_store_dwordx4 v54, v[8:11], s[12:13] offset:32
	;; [unrolled: 1-line block ×3, first 2 shown]
	s_and_saveexec_b64 s[12:13], s[0:1]
	s_cbranch_execz .LBB10_104
; %bb.97:                               ;   in Loop: Header=BB10_33 Depth=2
	global_load_dwordx2 v[8:9], v55, s[24:25] offset:32 sc0 sc1
	global_load_dwordx2 v[0:1], v55, s[24:25] offset:40
	v_mov_b32_e32 v6, s10
	v_mov_b32_e32 v7, s11
	s_waitcnt vmcnt(0)
	v_readfirstlane_b32 s14, v0
	v_readfirstlane_b32 s15, v1
	s_and_b64 s[14:15], s[14:15], s[10:11]
	s_mul_i32 s15, s15, 24
	s_mul_hi_u32 s16, s14, 24
	s_mul_i32 s14, s14, 24
	s_add_i32 s15, s16, s15
	v_lshl_add_u64 v[4:5], v[16:17], 0, s[14:15]
	global_store_dwordx2 v[4:5], v[8:9], off
	buffer_wbl2 sc0 sc1
	s_waitcnt vmcnt(0)
	global_atomic_cmpswap_x2 v[2:3], v55, v[6:9], s[24:25] offset:32 sc0 sc1
	s_waitcnt vmcnt(0)
	v_cmp_ne_u64_e32 vcc, v[2:3], v[8:9]
	s_and_saveexec_b64 s[14:15], vcc
	s_cbranch_execz .LBB10_100
; %bb.98:                               ;   in Loop: Header=BB10_33 Depth=2
	s_mov_b64 s[16:17], 0
.LBB10_99:                              ;   Parent Loop BB10_2 Depth=1
                                        ;     Parent Loop BB10_33 Depth=2
                                        ; =>    This Inner Loop Header: Depth=3
	s_sleep 1
	global_store_dwordx2 v[4:5], v[2:3], off
	v_mov_b32_e32 v0, s10
	v_mov_b32_e32 v1, s11
	buffer_wbl2 sc0 sc1
	s_waitcnt vmcnt(0)
	global_atomic_cmpswap_x2 v[0:1], v55, v[0:3], s[24:25] offset:32 sc0 sc1
	s_waitcnt vmcnt(0)
	v_cmp_eq_u64_e32 vcc, v[0:1], v[2:3]
	s_or_b64 s[16:17], vcc, s[16:17]
	v_mov_b64_e32 v[2:3], v[0:1]
	s_andn2_b64 exec, exec, s[16:17]
	s_cbranch_execnz .LBB10_99
.LBB10_100:                             ;   in Loop: Header=BB10_33 Depth=2
	s_or_b64 exec, exec, s[14:15]
	global_load_dwordx2 v[0:1], v55, s[24:25] offset:16
	s_mov_b64 s[16:17], exec
	v_mbcnt_lo_u32_b32 v2, s16, 0
	v_mbcnt_hi_u32_b32 v2, s17, v2
	v_cmp_eq_u32_e32 vcc, 0, v2
	s_and_saveexec_b64 s[14:15], vcc
	s_cbranch_execz .LBB10_102
; %bb.101:                              ;   in Loop: Header=BB10_33 Depth=2
	s_bcnt1_i32_b64 s16, s[16:17]
	v_mov_b32_e32 v2, s16
	v_mov_b32_e32 v3, v55
	buffer_wbl2 sc0 sc1
	s_waitcnt vmcnt(0)
	global_atomic_add_x2 v[0:1], v[2:3], off offset:8 sc1
.LBB10_102:                             ;   in Loop: Header=BB10_33 Depth=2
	s_or_b64 exec, exec, s[14:15]
	s_waitcnt vmcnt(0)
	global_load_dwordx2 v[2:3], v[0:1], off offset:16
	s_waitcnt vmcnt(0)
	v_cmp_eq_u64_e32 vcc, 0, v[2:3]
	s_cbranch_vccnz .LBB10_104
; %bb.103:                              ;   in Loop: Header=BB10_33 Depth=2
	global_load_dword v0, v[0:1], off offset:24
	v_mov_b32_e32 v1, v55
	buffer_wbl2 sc0 sc1
	s_waitcnt vmcnt(0)
	global_store_dwordx2 v[2:3], v[0:1], off sc0 sc1
	v_and_b32_e32 v0, 0xffffff, v0
	s_nop 0
	v_readfirstlane_b32 m0, v0
	s_sendmsg sendmsg(MSG_INTERRUPT)
.LBB10_104:                             ;   in Loop: Header=BB10_33 Depth=2
	s_or_b64 exec, exec, s[12:13]
	v_lshl_add_u64 v[0:1], v[18:19], 0, v[54:55]
	s_branch .LBB10_108
.LBB10_105:                             ;   in Loop: Header=BB10_108 Depth=3
	s_or_b64 exec, exec, s[12:13]
	v_readfirstlane_b32 s12, v2
	s_cmp_eq_u32 s12, 0
	s_cbranch_scc1 .LBB10_107
; %bb.106:                              ;   in Loop: Header=BB10_108 Depth=3
	s_sleep 1
	s_cbranch_execnz .LBB10_108
	s_branch .LBB10_110
.LBB10_107:                             ;   in Loop: Header=BB10_33 Depth=2
	s_branch .LBB10_110
.LBB10_108:                             ;   Parent Loop BB10_2 Depth=1
                                        ;     Parent Loop BB10_33 Depth=2
                                        ; =>    This Inner Loop Header: Depth=3
	v_mov_b32_e32 v2, 1
	s_and_saveexec_b64 s[12:13], s[0:1]
	s_cbranch_execz .LBB10_105
; %bb.109:                              ;   in Loop: Header=BB10_108 Depth=3
	global_load_dword v2, v[22:23], off offset:20 sc0 sc1
	s_waitcnt vmcnt(0)
	buffer_inv sc0 sc1
	v_and_b32_e32 v2, 1, v2
	s_branch .LBB10_105
.LBB10_110:                             ;   in Loop: Header=BB10_33 Depth=2
	global_load_dwordx4 v[0:3], v[0:1], off
	s_and_saveexec_b64 s[12:13], s[0:1]
	s_cbranch_execz .LBB10_32
; %bb.111:                              ;   in Loop: Header=BB10_33 Depth=2
	global_load_dwordx2 v[6:7], v55, s[24:25] offset:40
	global_load_dwordx2 v[8:9], v55, s[24:25] offset:24 sc0 sc1
	global_load_dwordx2 v[10:11], v55, s[24:25]
	s_waitcnt vmcnt(2)
	v_lshl_add_u64 v[2:3], v[6:7], 0, 1
	v_lshl_add_u64 v[12:13], v[2:3], 0, s[10:11]
	v_cmp_eq_u64_e32 vcc, 0, v[12:13]
	s_waitcnt vmcnt(1)
	v_mov_b32_e32 v4, v8
	v_cndmask_b32_e32 v3, v13, v3, vcc
	v_cndmask_b32_e32 v2, v12, v2, vcc
	v_and_b32_e32 v5, v3, v7
	v_and_b32_e32 v6, v2, v6
	v_mul_lo_u32 v5, v5, 24
	v_mul_hi_u32 v7, v6, 24
	v_mul_lo_u32 v6, v6, 24
	v_add_u32_e32 v7, v7, v5
	s_waitcnt vmcnt(0)
	v_lshl_add_u64 v[6:7], v[10:11], 0, v[6:7]
	global_store_dwordx2 v[6:7], v[8:9], off
	v_mov_b32_e32 v5, v9
	buffer_wbl2 sc0 sc1
	s_waitcnt vmcnt(0)
	global_atomic_cmpswap_x2 v[4:5], v55, v[2:5], s[24:25] offset:24 sc0 sc1
	s_waitcnt vmcnt(0)
	v_cmp_ne_u64_e32 vcc, v[4:5], v[8:9]
	s_and_b64 exec, exec, vcc
	s_cbranch_execz .LBB10_32
; %bb.112:                              ;   in Loop: Header=BB10_33 Depth=2
	s_mov_b64 s[0:1], 0
.LBB10_113:                             ;   Parent Loop BB10_2 Depth=1
                                        ;     Parent Loop BB10_33 Depth=2
                                        ; =>    This Inner Loop Header: Depth=3
	s_sleep 1
	global_store_dwordx2 v[6:7], v[4:5], off
	buffer_wbl2 sc0 sc1
	s_waitcnt vmcnt(0)
	global_atomic_cmpswap_x2 v[8:9], v55, v[2:5], s[24:25] offset:24 sc0 sc1
	s_waitcnt vmcnt(0)
	v_cmp_eq_u64_e32 vcc, v[8:9], v[4:5]
	s_or_b64 s[0:1], vcc, s[0:1]
	v_mov_b64_e32 v[4:5], v[8:9]
	s_andn2_b64 exec, exec, s[0:1]
	s_cbranch_execnz .LBB10_113
	s_branch .LBB10_32
.LBB10_114:                             ;   in Loop: Header=BB10_2 Depth=1
	s_branch .LBB10_143
.LBB10_115:                             ;   in Loop: Header=BB10_2 Depth=1
                                        ; implicit-def: $vgpr0_vgpr1
	s_cbranch_execz .LBB10_143
; %bb.116:                              ;   in Loop: Header=BB10_2 Depth=1
	v_readfirstlane_b32 s0, v46
	v_mov_b64_e32 v[4:5], 0
	s_nop 0
	v_cmp_eq_u32_e64 s[0:1], s0, v46
	s_and_saveexec_b64 s[4:5], s[0:1]
	s_cbranch_execz .LBB10_122
; %bb.117:                              ;   in Loop: Header=BB10_2 Depth=1
	global_load_dwordx2 v[2:3], v55, s[24:25] offset:24 sc0 sc1
	s_waitcnt vmcnt(0)
	buffer_inv sc0 sc1
	global_load_dwordx2 v[0:1], v55, s[24:25] offset:40
	global_load_dwordx2 v[4:5], v55, s[24:25]
	s_waitcnt vmcnt(1)
	v_and_b32_e32 v0, v0, v2
	v_and_b32_e32 v1, v1, v3
	v_mul_lo_u32 v1, v1, 24
	v_mul_hi_u32 v6, v0, 24
	v_add_u32_e32 v1, v6, v1
	v_mul_lo_u32 v0, v0, 24
	s_waitcnt vmcnt(0)
	v_lshl_add_u64 v[0:1], v[4:5], 0, v[0:1]
	global_load_dwordx2 v[0:1], v[0:1], off sc0 sc1
	s_waitcnt vmcnt(0)
	global_atomic_cmpswap_x2 v[4:5], v55, v[0:3], s[24:25] offset:24 sc0 sc1
	s_waitcnt vmcnt(0)
	buffer_inv sc0 sc1
	v_cmp_ne_u64_e32 vcc, v[4:5], v[2:3]
	s_and_saveexec_b64 s[6:7], vcc
	s_cbranch_execz .LBB10_121
; %bb.118:                              ;   in Loop: Header=BB10_2 Depth=1
	s_mov_b64 s[8:9], 0
.LBB10_119:                             ;   Parent Loop BB10_2 Depth=1
                                        ; =>  This Inner Loop Header: Depth=2
	s_sleep 1
	global_load_dwordx2 v[0:1], v55, s[24:25] offset:40
	global_load_dwordx2 v[6:7], v55, s[24:25]
	v_mov_b64_e32 v[2:3], v[4:5]
	s_waitcnt vmcnt(1)
	v_and_b32_e32 v0, v0, v2
	v_and_b32_e32 v5, v1, v3
	s_waitcnt vmcnt(0)
	v_mad_u64_u32 v[0:1], s[10:11], v0, 24, v[6:7]
	v_mov_b32_e32 v4, v1
	v_mad_u64_u32 v[4:5], s[10:11], v5, 24, v[4:5]
	v_mov_b32_e32 v1, v4
	global_load_dwordx2 v[0:1], v[0:1], off sc0 sc1
	s_waitcnt vmcnt(0)
	global_atomic_cmpswap_x2 v[4:5], v55, v[0:3], s[24:25] offset:24 sc0 sc1
	s_waitcnt vmcnt(0)
	buffer_inv sc0 sc1
	v_cmp_eq_u64_e32 vcc, v[4:5], v[2:3]
	s_or_b64 s[8:9], vcc, s[8:9]
	s_andn2_b64 exec, exec, s[8:9]
	s_cbranch_execnz .LBB10_119
; %bb.120:                              ;   in Loop: Header=BB10_2 Depth=1
	s_or_b64 exec, exec, s[8:9]
.LBB10_121:                             ;   in Loop: Header=BB10_2 Depth=1
	s_or_b64 exec, exec, s[6:7]
.LBB10_122:                             ;   in Loop: Header=BB10_2 Depth=1
	s_or_b64 exec, exec, s[4:5]
	global_load_dwordx2 v[6:7], v55, s[24:25] offset:40
	global_load_dwordx4 v[0:3], v55, s[24:25]
	v_readfirstlane_b32 s4, v4
	v_readfirstlane_b32 s5, v5
	s_mov_b64 s[6:7], exec
	s_waitcnt vmcnt(1)
	v_readfirstlane_b32 s8, v6
	v_readfirstlane_b32 s9, v7
	s_and_b64 s[8:9], s[4:5], s[8:9]
	s_mul_i32 s10, s9, 24
	s_mul_hi_u32 s11, s8, 24
	s_add_i32 s11, s11, s10
	s_mul_i32 s10, s8, 24
	s_waitcnt vmcnt(0)
	v_lshl_add_u64 v[4:5], v[0:1], 0, s[10:11]
	s_and_saveexec_b64 s[10:11], s[0:1]
	s_cbranch_execz .LBB10_124
; %bb.123:                              ;   in Loop: Header=BB10_2 Depth=1
	v_mov_b64_e32 v[48:49], s[6:7]
	global_store_dwordx4 v[4:5], v[48:51], off offset:8
.LBB10_124:                             ;   in Loop: Header=BB10_2 Depth=1
	s_or_b64 exec, exec, s[10:11]
	s_lshl_b64 s[6:7], s[8:9], 12
	v_lshl_add_u64 v[6:7], v[2:3], 0, s[6:7]
	v_mov_b64_e32 v[10:11], s[20:21]
	v_and_or_b32 v52, v52, s36, 32
	v_lshlrev_b32_e32 v8, 6, v46
	v_mov_b32_e32 v54, v55
	v_readfirstlane_b32 s6, v6
	v_readfirstlane_b32 s7, v7
	v_mov_b64_e32 v[12:13], s[22:23]
	s_nop 3
	global_store_dwordx4 v8, v[52:55], s[6:7]
	global_store_dwordx4 v8, v[10:13], s[6:7] offset:16
	global_store_dwordx4 v8, v[10:13], s[6:7] offset:32
	;; [unrolled: 1-line block ×3, first 2 shown]
	s_and_saveexec_b64 s[6:7], s[0:1]
	s_cbranch_execz .LBB10_132
; %bb.125:                              ;   in Loop: Header=BB10_2 Depth=1
	global_load_dwordx2 v[14:15], v55, s[24:25] offset:32 sc0 sc1
	global_load_dwordx2 v[2:3], v55, s[24:25] offset:40
	v_mov_b32_e32 v12, s4
	v_mov_b32_e32 v13, s5
	s_waitcnt vmcnt(0)
	v_readfirstlane_b32 s8, v2
	v_readfirstlane_b32 s9, v3
	s_and_b64 s[8:9], s[8:9], s[4:5]
	s_mul_i32 s9, s9, 24
	s_mul_hi_u32 s10, s8, 24
	s_mul_i32 s8, s8, 24
	s_add_i32 s9, s10, s9
	v_lshl_add_u64 v[10:11], v[0:1], 0, s[8:9]
	global_store_dwordx2 v[10:11], v[14:15], off
	buffer_wbl2 sc0 sc1
	s_waitcnt vmcnt(0)
	global_atomic_cmpswap_x2 v[2:3], v55, v[12:15], s[24:25] offset:32 sc0 sc1
	s_waitcnt vmcnt(0)
	v_cmp_ne_u64_e32 vcc, v[2:3], v[14:15]
	s_and_saveexec_b64 s[8:9], vcc
	s_cbranch_execz .LBB10_128
; %bb.126:                              ;   in Loop: Header=BB10_2 Depth=1
	s_mov_b64 s[10:11], 0
.LBB10_127:                             ;   Parent Loop BB10_2 Depth=1
                                        ; =>  This Inner Loop Header: Depth=2
	s_sleep 1
	global_store_dwordx2 v[10:11], v[2:3], off
	v_mov_b32_e32 v0, s4
	v_mov_b32_e32 v1, s5
	buffer_wbl2 sc0 sc1
	s_waitcnt vmcnt(0)
	global_atomic_cmpswap_x2 v[0:1], v55, v[0:3], s[24:25] offset:32 sc0 sc1
	s_waitcnt vmcnt(0)
	v_cmp_eq_u64_e32 vcc, v[0:1], v[2:3]
	s_or_b64 s[10:11], vcc, s[10:11]
	v_mov_b64_e32 v[2:3], v[0:1]
	s_andn2_b64 exec, exec, s[10:11]
	s_cbranch_execnz .LBB10_127
.LBB10_128:                             ;   in Loop: Header=BB10_2 Depth=1
	s_or_b64 exec, exec, s[8:9]
	global_load_dwordx2 v[0:1], v55, s[24:25] offset:16
	s_mov_b64 s[10:11], exec
	v_mbcnt_lo_u32_b32 v2, s10, 0
	v_mbcnt_hi_u32_b32 v2, s11, v2
	v_cmp_eq_u32_e32 vcc, 0, v2
	s_and_saveexec_b64 s[8:9], vcc
	s_cbranch_execz .LBB10_130
; %bb.129:                              ;   in Loop: Header=BB10_2 Depth=1
	s_bcnt1_i32_b64 s10, s[10:11]
	v_mov_b32_e32 v54, s10
	buffer_wbl2 sc0 sc1
	s_waitcnt vmcnt(0)
	global_atomic_add_x2 v[0:1], v[54:55], off offset:8 sc1
.LBB10_130:                             ;   in Loop: Header=BB10_2 Depth=1
	s_or_b64 exec, exec, s[8:9]
	s_waitcnt vmcnt(0)
	global_load_dwordx2 v[2:3], v[0:1], off offset:16
	s_waitcnt vmcnt(0)
	v_cmp_eq_u64_e32 vcc, 0, v[2:3]
	s_cbranch_vccnz .LBB10_132
; %bb.131:                              ;   in Loop: Header=BB10_2 Depth=1
	global_load_dword v54, v[0:1], off offset:24
	s_waitcnt vmcnt(0)
	v_and_b32_e32 v0, 0xffffff, v54
	s_nop 0
	v_readfirstlane_b32 m0, v0
	buffer_wbl2 sc0 sc1
	global_store_dwordx2 v[2:3], v[54:55], off sc0 sc1
	s_sendmsg sendmsg(MSG_INTERRUPT)
.LBB10_132:                             ;   in Loop: Header=BB10_2 Depth=1
	s_or_b64 exec, exec, s[6:7]
	v_mov_b32_e32 v9, v55
	v_lshl_add_u64 v[0:1], v[6:7], 0, v[8:9]
	s_branch .LBB10_136
.LBB10_133:                             ;   in Loop: Header=BB10_136 Depth=2
	s_or_b64 exec, exec, s[6:7]
	v_readfirstlane_b32 s6, v2
	s_cmp_eq_u32 s6, 0
	s_cbranch_scc1 .LBB10_135
; %bb.134:                              ;   in Loop: Header=BB10_136 Depth=2
	s_sleep 1
	s_cbranch_execnz .LBB10_136
	s_branch .LBB10_138
.LBB10_135:                             ;   in Loop: Header=BB10_2 Depth=1
	s_branch .LBB10_138
.LBB10_136:                             ;   Parent Loop BB10_2 Depth=1
                                        ; =>  This Inner Loop Header: Depth=2
	v_mov_b32_e32 v2, 1
	s_and_saveexec_b64 s[6:7], s[0:1]
	s_cbranch_execz .LBB10_133
; %bb.137:                              ;   in Loop: Header=BB10_136 Depth=2
	global_load_dword v2, v[4:5], off offset:20 sc0 sc1
	s_waitcnt vmcnt(0)
	buffer_inv sc0 sc1
	v_and_b32_e32 v2, 1, v2
	s_branch .LBB10_133
.LBB10_138:                             ;   in Loop: Header=BB10_2 Depth=1
	global_load_dwordx2 v[0:1], v[0:1], off
	s_and_saveexec_b64 s[6:7], s[0:1]
	s_cbranch_execz .LBB10_142
; %bb.139:                              ;   in Loop: Header=BB10_2 Depth=1
	global_load_dwordx2 v[6:7], v55, s[24:25] offset:40
	global_load_dwordx2 v[8:9], v55, s[24:25] offset:24 sc0 sc1
	global_load_dwordx2 v[10:11], v55, s[24:25]
	s_waitcnt vmcnt(2)
	v_lshl_add_u64 v[2:3], v[6:7], 0, 1
	v_lshl_add_u64 v[12:13], v[2:3], 0, s[4:5]
	v_cmp_eq_u64_e32 vcc, 0, v[12:13]
	s_waitcnt vmcnt(1)
	v_mov_b32_e32 v4, v8
	v_cndmask_b32_e32 v3, v13, v3, vcc
	v_cndmask_b32_e32 v2, v12, v2, vcc
	v_and_b32_e32 v5, v3, v7
	v_and_b32_e32 v6, v2, v6
	v_mul_lo_u32 v5, v5, 24
	v_mul_hi_u32 v7, v6, 24
	v_mul_lo_u32 v6, v6, 24
	v_add_u32_e32 v7, v7, v5
	s_waitcnt vmcnt(0)
	v_lshl_add_u64 v[6:7], v[10:11], 0, v[6:7]
	global_store_dwordx2 v[6:7], v[8:9], off
	v_mov_b32_e32 v5, v9
	buffer_wbl2 sc0 sc1
	s_waitcnt vmcnt(0)
	global_atomic_cmpswap_x2 v[4:5], v55, v[2:5], s[24:25] offset:24 sc0 sc1
	s_waitcnt vmcnt(0)
	v_cmp_ne_u64_e32 vcc, v[4:5], v[8:9]
	s_and_b64 exec, exec, vcc
	s_cbranch_execz .LBB10_142
; %bb.140:                              ;   in Loop: Header=BB10_2 Depth=1
	s_mov_b64 s[0:1], 0
.LBB10_141:                             ;   Parent Loop BB10_2 Depth=1
                                        ; =>  This Inner Loop Header: Depth=2
	s_sleep 1
	global_store_dwordx2 v[6:7], v[4:5], off
	buffer_wbl2 sc0 sc1
	s_waitcnt vmcnt(0)
	global_atomic_cmpswap_x2 v[8:9], v55, v[2:5], s[24:25] offset:24 sc0 sc1
	s_waitcnt vmcnt(0)
	v_cmp_eq_u64_e32 vcc, v[8:9], v[4:5]
	s_or_b64 s[0:1], vcc, s[0:1]
	v_mov_b64_e32 v[4:5], v[8:9]
	s_andn2_b64 exec, exec, s[0:1]
	s_cbranch_execnz .LBB10_141
.LBB10_142:                             ;   in Loop: Header=BB10_2 Depth=1
	s_or_b64 exec, exec, s[6:7]
.LBB10_143:                             ;   in Loop: Header=BB10_2 Depth=1
	v_readfirstlane_b32 s0, v46
	s_waitcnt vmcnt(0)
	v_mov_b64_e32 v[2:3], 0
	v_cmp_eq_u32_e64 s[0:1], s0, v46
	s_and_saveexec_b64 s[4:5], s[0:1]
	s_cbranch_execz .LBB10_149
; %bb.144:                              ;   in Loop: Header=BB10_2 Depth=1
	global_load_dwordx2 v[4:5], v55, s[24:25] offset:24 sc0 sc1
	s_waitcnt vmcnt(0)
	buffer_inv sc0 sc1
	global_load_dwordx2 v[2:3], v55, s[24:25] offset:40
	global_load_dwordx2 v[6:7], v55, s[24:25]
	s_waitcnt vmcnt(1)
	v_and_b32_e32 v2, v2, v4
	v_and_b32_e32 v3, v3, v5
	v_mul_lo_u32 v3, v3, 24
	v_mul_hi_u32 v8, v2, 24
	v_add_u32_e32 v3, v8, v3
	v_mul_lo_u32 v2, v2, 24
	s_waitcnt vmcnt(0)
	v_lshl_add_u64 v[2:3], v[6:7], 0, v[2:3]
	global_load_dwordx2 v[2:3], v[2:3], off sc0 sc1
	s_waitcnt vmcnt(0)
	global_atomic_cmpswap_x2 v[2:3], v55, v[2:5], s[24:25] offset:24 sc0 sc1
	s_waitcnt vmcnt(0)
	buffer_inv sc0 sc1
	v_cmp_ne_u64_e32 vcc, v[2:3], v[4:5]
	s_and_saveexec_b64 s[6:7], vcc
	s_cbranch_execz .LBB10_148
; %bb.145:                              ;   in Loop: Header=BB10_2 Depth=1
	s_mov_b64 s[8:9], 0
.LBB10_146:                             ;   Parent Loop BB10_2 Depth=1
                                        ; =>  This Inner Loop Header: Depth=2
	s_sleep 1
	global_load_dwordx2 v[6:7], v55, s[24:25] offset:40
	global_load_dwordx2 v[8:9], v55, s[24:25]
	v_mov_b64_e32 v[4:5], v[2:3]
	s_waitcnt vmcnt(1)
	v_and_b32_e32 v2, v6, v4
	s_waitcnt vmcnt(0)
	v_mad_u64_u32 v[2:3], s[10:11], v2, 24, v[8:9]
	v_and_b32_e32 v7, v7, v5
	v_mov_b32_e32 v6, v3
	v_mad_u64_u32 v[6:7], s[10:11], v7, 24, v[6:7]
	v_mov_b32_e32 v3, v6
	global_load_dwordx2 v[2:3], v[2:3], off sc0 sc1
	s_waitcnt vmcnt(0)
	global_atomic_cmpswap_x2 v[2:3], v55, v[2:5], s[24:25] offset:24 sc0 sc1
	s_waitcnt vmcnt(0)
	buffer_inv sc0 sc1
	v_cmp_eq_u64_e32 vcc, v[2:3], v[4:5]
	s_or_b64 s[8:9], vcc, s[8:9]
	s_andn2_b64 exec, exec, s[8:9]
	s_cbranch_execnz .LBB10_146
; %bb.147:                              ;   in Loop: Header=BB10_2 Depth=1
	s_or_b64 exec, exec, s[8:9]
.LBB10_148:                             ;   in Loop: Header=BB10_2 Depth=1
	s_or_b64 exec, exec, s[6:7]
.LBB10_149:                             ;   in Loop: Header=BB10_2 Depth=1
	s_or_b64 exec, exec, s[4:5]
	global_load_dwordx2 v[8:9], v55, s[24:25] offset:40
	global_load_dwordx4 v[4:7], v55, s[24:25]
	v_readfirstlane_b32 s4, v2
	v_readfirstlane_b32 s5, v3
	s_mov_b64 s[6:7], exec
	s_waitcnt vmcnt(1)
	v_readfirstlane_b32 s8, v8
	v_readfirstlane_b32 s9, v9
	s_and_b64 s[8:9], s[4:5], s[8:9]
	s_mul_i32 s10, s9, 24
	s_mul_hi_u32 s11, s8, 24
	s_add_i32 s11, s11, s10
	s_mul_i32 s10, s8, 24
	s_waitcnt vmcnt(0)
	v_lshl_add_u64 v[8:9], v[4:5], 0, s[10:11]
	s_and_saveexec_b64 s[10:11], s[0:1]
	s_cbranch_execz .LBB10_151
; %bb.150:                              ;   in Loop: Header=BB10_2 Depth=1
	v_mov_b64_e32 v[48:49], s[6:7]
	global_store_dwordx4 v[8:9], v[48:51], off offset:8
.LBB10_151:                             ;   in Loop: Header=BB10_2 Depth=1
	s_or_b64 exec, exec, s[10:11]
	s_lshl_b64 s[6:7], s[8:9], 12
	v_lshl_add_u64 v[6:7], v[6:7], 0, s[6:7]
	v_and_or_b32 v0, v0, s37, 34
	v_ashrrev_i32_e32 v3, 31, v21
	v_lshlrev_b32_e32 v10, 6, v46
	v_mov_b32_e32 v2, v21
	v_readfirstlane_b32 s6, v6
	v_readfirstlane_b32 s7, v7
	s_nop 4
	global_store_dwordx4 v10, v[0:3], s[6:7]
	s_nop 1
	v_mov_b64_e32 v[0:1], s[20:21]
	v_mov_b64_e32 v[2:3], s[22:23]
	global_store_dwordx4 v10, v[0:3], s[6:7] offset:16
	global_store_dwordx4 v10, v[0:3], s[6:7] offset:32
	;; [unrolled: 1-line block ×3, first 2 shown]
	s_and_saveexec_b64 s[6:7], s[0:1]
	s_cbranch_execz .LBB10_159
; %bb.152:                              ;   in Loop: Header=BB10_2 Depth=1
	global_load_dwordx2 v[12:13], v55, s[24:25] offset:32 sc0 sc1
	global_load_dwordx2 v[0:1], v55, s[24:25] offset:40
	v_mov_b32_e32 v10, s4
	v_mov_b32_e32 v11, s5
	s_waitcnt vmcnt(0)
	v_readfirstlane_b32 s8, v0
	v_readfirstlane_b32 s9, v1
	s_and_b64 s[8:9], s[8:9], s[4:5]
	s_mul_i32 s9, s9, 24
	s_mul_hi_u32 s10, s8, 24
	s_mul_i32 s8, s8, 24
	s_add_i32 s9, s10, s9
	v_lshl_add_u64 v[4:5], v[4:5], 0, s[8:9]
	global_store_dwordx2 v[4:5], v[12:13], off
	buffer_wbl2 sc0 sc1
	s_waitcnt vmcnt(0)
	global_atomic_cmpswap_x2 v[2:3], v55, v[10:13], s[24:25] offset:32 sc0 sc1
	s_waitcnt vmcnt(0)
	v_cmp_ne_u64_e32 vcc, v[2:3], v[12:13]
	s_and_saveexec_b64 s[8:9], vcc
	s_cbranch_execz .LBB10_155
; %bb.153:                              ;   in Loop: Header=BB10_2 Depth=1
	s_mov_b64 s[10:11], 0
.LBB10_154:                             ;   Parent Loop BB10_2 Depth=1
                                        ; =>  This Inner Loop Header: Depth=2
	s_sleep 1
	global_store_dwordx2 v[4:5], v[2:3], off
	v_mov_b32_e32 v0, s4
	v_mov_b32_e32 v1, s5
	buffer_wbl2 sc0 sc1
	s_waitcnt vmcnt(0)
	global_atomic_cmpswap_x2 v[0:1], v55, v[0:3], s[24:25] offset:32 sc0 sc1
	s_waitcnt vmcnt(0)
	v_cmp_eq_u64_e32 vcc, v[0:1], v[2:3]
	s_or_b64 s[10:11], vcc, s[10:11]
	v_mov_b64_e32 v[2:3], v[0:1]
	s_andn2_b64 exec, exec, s[10:11]
	s_cbranch_execnz .LBB10_154
.LBB10_155:                             ;   in Loop: Header=BB10_2 Depth=1
	s_or_b64 exec, exec, s[8:9]
	global_load_dwordx2 v[0:1], v55, s[24:25] offset:16
	s_mov_b64 s[10:11], exec
	v_mbcnt_lo_u32_b32 v2, s10, 0
	v_mbcnt_hi_u32_b32 v2, s11, v2
	v_cmp_eq_u32_e32 vcc, 0, v2
	s_and_saveexec_b64 s[8:9], vcc
	s_cbranch_execz .LBB10_157
; %bb.156:                              ;   in Loop: Header=BB10_2 Depth=1
	s_bcnt1_i32_b64 s10, s[10:11]
	v_mov_b32_e32 v54, s10
	buffer_wbl2 sc0 sc1
	s_waitcnt vmcnt(0)
	global_atomic_add_x2 v[0:1], v[54:55], off offset:8 sc1
.LBB10_157:                             ;   in Loop: Header=BB10_2 Depth=1
	s_or_b64 exec, exec, s[8:9]
	s_waitcnt vmcnt(0)
	global_load_dwordx2 v[2:3], v[0:1], off offset:16
	s_waitcnt vmcnt(0)
	v_cmp_eq_u64_e32 vcc, 0, v[2:3]
	s_cbranch_vccnz .LBB10_159
; %bb.158:                              ;   in Loop: Header=BB10_2 Depth=1
	global_load_dword v54, v[0:1], off offset:24
	s_waitcnt vmcnt(0)
	v_and_b32_e32 v0, 0xffffff, v54
	s_nop 0
	v_readfirstlane_b32 m0, v0
	buffer_wbl2 sc0 sc1
	global_store_dwordx2 v[2:3], v[54:55], off sc0 sc1
	s_sendmsg sendmsg(MSG_INTERRUPT)
.LBB10_159:                             ;   in Loop: Header=BB10_2 Depth=1
	s_or_b64 exec, exec, s[6:7]
	s_branch .LBB10_163
.LBB10_160:                             ;   in Loop: Header=BB10_163 Depth=2
	s_or_b64 exec, exec, s[6:7]
	v_readfirstlane_b32 s6, v0
	s_cmp_eq_u32 s6, 0
	s_cbranch_scc1 .LBB10_162
; %bb.161:                              ;   in Loop: Header=BB10_163 Depth=2
	s_sleep 1
	s_cbranch_execnz .LBB10_163
	s_branch .LBB10_165
.LBB10_162:                             ;   in Loop: Header=BB10_2 Depth=1
	s_branch .LBB10_165
.LBB10_163:                             ;   Parent Loop BB10_2 Depth=1
                                        ; =>  This Inner Loop Header: Depth=2
	v_mov_b32_e32 v0, 1
	s_and_saveexec_b64 s[6:7], s[0:1]
	s_cbranch_execz .LBB10_160
; %bb.164:                              ;   in Loop: Header=BB10_163 Depth=2
	global_load_dword v0, v[8:9], off offset:20 sc0 sc1
	s_waitcnt vmcnt(0)
	buffer_inv sc0 sc1
	v_and_b32_e32 v0, 1, v0
	s_branch .LBB10_160
.LBB10_165:                             ;   in Loop: Header=BB10_2 Depth=1
	s_and_saveexec_b64 s[6:7], s[0:1]
	s_cbranch_execz .LBB10_1
; %bb.166:                              ;   in Loop: Header=BB10_2 Depth=1
	global_load_dwordx2 v[4:5], v55, s[24:25] offset:40
	global_load_dwordx2 v[6:7], v55, s[24:25] offset:24 sc0 sc1
	global_load_dwordx2 v[8:9], v55, s[24:25]
	s_waitcnt vmcnt(2)
	v_lshl_add_u64 v[0:1], v[4:5], 0, 1
	v_lshl_add_u64 v[10:11], v[0:1], 0, s[4:5]
	v_cmp_eq_u64_e32 vcc, 0, v[10:11]
	s_waitcnt vmcnt(1)
	v_mov_b32_e32 v2, v6
	v_cndmask_b32_e32 v1, v11, v1, vcc
	v_cndmask_b32_e32 v0, v10, v0, vcc
	v_and_b32_e32 v3, v1, v5
	v_and_b32_e32 v4, v0, v4
	v_mul_lo_u32 v3, v3, 24
	v_mul_hi_u32 v5, v4, 24
	v_mul_lo_u32 v4, v4, 24
	v_add_u32_e32 v5, v5, v3
	s_waitcnt vmcnt(0)
	v_lshl_add_u64 v[4:5], v[8:9], 0, v[4:5]
	global_store_dwordx2 v[4:5], v[6:7], off
	v_mov_b32_e32 v3, v7
	buffer_wbl2 sc0 sc1
	s_waitcnt vmcnt(0)
	global_atomic_cmpswap_x2 v[2:3], v55, v[0:3], s[24:25] offset:24 sc0 sc1
	s_waitcnt vmcnt(0)
	v_cmp_ne_u64_e32 vcc, v[2:3], v[6:7]
	s_and_b64 exec, exec, vcc
	s_cbranch_execz .LBB10_1
; %bb.167:                              ;   in Loop: Header=BB10_2 Depth=1
	s_mov_b64 s[0:1], 0
.LBB10_168:                             ;   Parent Loop BB10_2 Depth=1
                                        ; =>  This Inner Loop Header: Depth=2
	s_sleep 1
	global_store_dwordx2 v[4:5], v[2:3], off
	buffer_wbl2 sc0 sc1
	s_waitcnt vmcnt(0)
	global_atomic_cmpswap_x2 v[6:7], v55, v[0:3], s[24:25] offset:24 sc0 sc1
	s_waitcnt vmcnt(0)
	v_cmp_eq_u64_e32 vcc, v[6:7], v[2:3]
	s_or_b64 s[0:1], vcc, s[0:1]
	v_mov_b64_e32 v[2:3], v[6:7]
	s_andn2_b64 exec, exec, s[0:1]
	s_cbranch_execnz .LBB10_168
	s_branch .LBB10_1
.LBB10_169:
	s_getpc_b64 s[20:21]
	s_add_u32 s20, s20, .str.8@rel32@lo+4
	s_addc_u32 s21, s21, .str.8@rel32@hi+12
	s_mov_b64 s[8:9], s[18:19]
	v_mov_b32_e32 v0, s20
	v_mov_b32_e32 v1, s21
	s_getpc_b64 s[22:23]
	s_add_u32 s22, s22, _ZNK8migraphx13basic_printerIZNS_4coutEvEUlT_E_ElsEPKc@rel32@lo+4
	s_addc_u32 s23, s23, _ZNK8migraphx13basic_printerIZNS_4coutEvEUlT_E_ElsEPKc@rel32@hi+12
	s_swappc_b64 s[30:31], s[22:23]
	s_getpc_b64 s[0:1]
	s_add_u32 s0, s0, .str.10@rel32@lo+4
	s_addc_u32 s1, s1, .str.10@rel32@hi+12
	s_mov_b64 s[8:9], s[18:19]
	v_mov_b32_e32 v0, s0
	v_mov_b32_e32 v1, s1
	s_swappc_b64 s[30:31], s[22:23]
	s_mov_b64 s[8:9], s[18:19]
	v_mov_b32_e32 v0, s20
	v_mov_b32_e32 v1, s21
	s_swappc_b64 s[30:31], s[22:23]
	flat_load_dwordx2 v[38:39], v[38:39] offset:8
	v_readfirstlane_b32 s0, v46
	v_mov_b64_e32 v[4:5], 0
	s_waitcnt vmcnt(0) lgkmcnt(0)
	flat_load_dword v29, v[38:39]
	v_cmp_eq_u32_e64 s[0:1], s0, v46
	s_and_saveexec_b64 s[2:3], s[0:1]
	s_cbranch_execz .LBB10_175
; %bb.170:
	v_mov_b32_e32 v0, 0
	global_load_dwordx2 v[6:7], v0, s[24:25] offset:24 sc0 sc1
	s_waitcnt vmcnt(0)
	buffer_inv sc0 sc1
	global_load_dwordx2 v[2:3], v0, s[24:25] offset:40
	global_load_dwordx2 v[4:5], v0, s[24:25]
	s_waitcnt vmcnt(0)
	v_and_b32_e32 v1, v2, v6
	v_and_b32_e32 v2, v3, v7
	v_mul_lo_u32 v2, v2, 24
	v_mul_hi_u32 v3, v1, 24
	v_add_u32_e32 v3, v3, v2
	v_mul_lo_u32 v2, v1, 24
	v_lshl_add_u64 v[2:3], v[4:5], 0, v[2:3]
	global_load_dwordx2 v[4:5], v[2:3], off sc0 sc1
	s_waitcnt vmcnt(0)
	global_atomic_cmpswap_x2 v[4:5], v0, v[4:7], s[24:25] offset:24 sc0 sc1
	s_waitcnt vmcnt(0)
	buffer_inv sc0 sc1
	v_cmp_ne_u64_e32 vcc, v[4:5], v[6:7]
	s_and_saveexec_b64 s[4:5], vcc
	s_cbranch_execz .LBB10_174
; %bb.171:
	s_mov_b64 s[6:7], 0
.LBB10_172:                             ; =>This Inner Loop Header: Depth=1
	s_sleep 1
	global_load_dwordx2 v[2:3], v0, s[24:25] offset:40
	global_load_dwordx2 v[8:9], v0, s[24:25]
	v_mov_b64_e32 v[6:7], v[4:5]
	s_waitcnt vmcnt(0)
	v_and_b32_e32 v2, v2, v6
	v_and_b32_e32 v1, v3, v7
	v_mad_u64_u32 v[2:3], s[8:9], v2, 24, v[8:9]
	v_mov_b32_e32 v4, v3
	v_mad_u64_u32 v[4:5], s[8:9], v1, 24, v[4:5]
	v_mov_b32_e32 v3, v4
	global_load_dwordx2 v[4:5], v[2:3], off sc0 sc1
	s_waitcnt vmcnt(0)
	global_atomic_cmpswap_x2 v[4:5], v0, v[4:7], s[24:25] offset:24 sc0 sc1
	s_waitcnt vmcnt(0)
	buffer_inv sc0 sc1
	v_cmp_eq_u64_e32 vcc, v[4:5], v[6:7]
	s_or_b64 s[6:7], vcc, s[6:7]
	s_andn2_b64 exec, exec, s[6:7]
	s_cbranch_execnz .LBB10_172
; %bb.173:
	s_or_b64 exec, exec, s[6:7]
.LBB10_174:
	s_or_b64 exec, exec, s[4:5]
.LBB10_175:
	s_or_b64 exec, exec, s[2:3]
	v_mov_b32_e32 v45, 0
	global_load_dwordx2 v[6:7], v45, s[24:25] offset:40
	global_load_dwordx4 v[0:3], v45, s[24:25]
	v_readfirstlane_b32 s2, v4
	v_readfirstlane_b32 s3, v5
	s_mov_b64 s[4:5], exec
	s_waitcnt vmcnt(0)
	v_readfirstlane_b32 s6, v6
	v_readfirstlane_b32 s7, v7
	s_and_b64 s[6:7], s[2:3], s[6:7]
	s_mul_i32 s8, s7, 24
	s_mul_hi_u32 s9, s6, 24
	s_add_i32 s9, s9, s8
	s_mul_i32 s8, s6, 24
	v_lshl_add_u64 v[4:5], v[0:1], 0, s[8:9]
	s_and_saveexec_b64 s[8:9], s[0:1]
	s_cbranch_execz .LBB10_177
; %bb.176:
	v_mov_b64_e32 v[6:7], s[4:5]
	v_mov_b32_e32 v8, 2
	v_mov_b32_e32 v9, 1
	global_store_dwordx4 v[4:5], v[6:9], off offset:8
.LBB10_177:
	s_or_b64 exec, exec, s[8:9]
	s_lshl_b64 s[4:5], s[6:7], 12
	v_lshl_add_u64 v[6:7], v[2:3], 0, s[4:5]
	s_mov_b32 s4, 0
	v_mov_b32_e32 v8, 33
	v_mov_b32_e32 v9, v45
	;; [unrolled: 1-line block ×4, first 2 shown]
	v_readfirstlane_b32 s8, v6
	v_readfirstlane_b32 s9, v7
	s_mov_b32 s6, s4
	s_mov_b32 s7, s4
	;; [unrolled: 1-line block ×3, first 2 shown]
	s_nop 1
	global_store_dwordx4 v44, v[8:11], s[8:9]
	s_nop 1
	v_mov_b64_e32 v[10:11], s[6:7]
	v_mov_b64_e32 v[8:9], s[4:5]
	global_store_dwordx4 v44, v[8:11], s[8:9] offset:16
	global_store_dwordx4 v44, v[8:11], s[8:9] offset:32
	;; [unrolled: 1-line block ×3, first 2 shown]
	s_and_saveexec_b64 s[4:5], s[0:1]
	s_cbranch_execz .LBB10_185
; %bb.178:
	v_mov_b32_e32 v10, 0
	global_load_dwordx2 v[14:15], v10, s[24:25] offset:32 sc0 sc1
	global_load_dwordx2 v[2:3], v10, s[24:25] offset:40
	v_mov_b32_e32 v12, s2
	v_mov_b32_e32 v13, s3
	s_waitcnt vmcnt(0)
	v_readfirstlane_b32 s6, v2
	v_readfirstlane_b32 s7, v3
	s_and_b64 s[6:7], s[6:7], s[2:3]
	s_mul_i32 s7, s7, 24
	s_mul_hi_u32 s8, s6, 24
	s_mul_i32 s6, s6, 24
	s_add_i32 s7, s8, s7
	v_lshl_add_u64 v[8:9], v[0:1], 0, s[6:7]
	global_store_dwordx2 v[8:9], v[14:15], off
	buffer_wbl2 sc0 sc1
	s_waitcnt vmcnt(0)
	global_atomic_cmpswap_x2 v[2:3], v10, v[12:15], s[24:25] offset:32 sc0 sc1
	s_waitcnt vmcnt(0)
	v_cmp_ne_u64_e32 vcc, v[2:3], v[14:15]
	s_and_saveexec_b64 s[6:7], vcc
	s_cbranch_execz .LBB10_181
; %bb.179:
	s_mov_b64 s[8:9], 0
.LBB10_180:                             ; =>This Inner Loop Header: Depth=1
	s_sleep 1
	global_store_dwordx2 v[8:9], v[2:3], off
	v_mov_b32_e32 v0, s2
	v_mov_b32_e32 v1, s3
	buffer_wbl2 sc0 sc1
	s_waitcnt vmcnt(0)
	global_atomic_cmpswap_x2 v[0:1], v10, v[0:3], s[24:25] offset:32 sc0 sc1
	s_waitcnt vmcnt(0)
	v_cmp_eq_u64_e32 vcc, v[0:1], v[2:3]
	s_or_b64 s[8:9], vcc, s[8:9]
	v_mov_b64_e32 v[2:3], v[0:1]
	s_andn2_b64 exec, exec, s[8:9]
	s_cbranch_execnz .LBB10_180
.LBB10_181:
	s_or_b64 exec, exec, s[6:7]
	v_mov_b32_e32 v3, 0
	global_load_dwordx2 v[0:1], v3, s[24:25] offset:16
	s_mov_b64 s[6:7], exec
	v_mbcnt_lo_u32_b32 v2, s6, 0
	v_mbcnt_hi_u32_b32 v2, s7, v2
	v_cmp_eq_u32_e32 vcc, 0, v2
	s_and_saveexec_b64 s[8:9], vcc
	s_cbranch_execz .LBB10_183
; %bb.182:
	s_bcnt1_i32_b64 s6, s[6:7]
	v_mov_b32_e32 v2, s6
	buffer_wbl2 sc0 sc1
	s_waitcnt vmcnt(0)
	global_atomic_add_x2 v[0:1], v[2:3], off offset:8 sc1
.LBB10_183:
	s_or_b64 exec, exec, s[8:9]
	s_waitcnt vmcnt(0)
	global_load_dwordx2 v[2:3], v[0:1], off offset:16
	s_waitcnt vmcnt(0)
	v_cmp_eq_u64_e32 vcc, 0, v[2:3]
	s_cbranch_vccnz .LBB10_185
; %bb.184:
	global_load_dword v0, v[0:1], off offset:24
	v_mov_b32_e32 v1, 0
	buffer_wbl2 sc0 sc1
	s_waitcnt vmcnt(0)
	global_store_dwordx2 v[2:3], v[0:1], off sc0 sc1
	v_and_b32_e32 v0, 0xffffff, v0
	s_nop 0
	v_readfirstlane_b32 m0, v0
	s_sendmsg sendmsg(MSG_INTERRUPT)
.LBB10_185:
	s_or_b64 exec, exec, s[4:5]
	v_lshl_add_u64 v[0:1], v[6:7], 0, v[44:45]
	s_branch .LBB10_189
.LBB10_186:                             ;   in Loop: Header=BB10_189 Depth=1
	s_or_b64 exec, exec, s[4:5]
	v_readfirstlane_b32 s4, v2
	s_cmp_eq_u32 s4, 0
	s_cbranch_scc1 .LBB10_188
; %bb.187:                              ;   in Loop: Header=BB10_189 Depth=1
	s_sleep 1
	s_cbranch_execnz .LBB10_189
	s_branch .LBB10_191
.LBB10_188:
	s_branch .LBB10_191
.LBB10_189:                             ; =>This Inner Loop Header: Depth=1
	v_mov_b32_e32 v2, 1
	s_and_saveexec_b64 s[4:5], s[0:1]
	s_cbranch_execz .LBB10_186
; %bb.190:                              ;   in Loop: Header=BB10_189 Depth=1
	global_load_dword v2, v[4:5], off offset:20 sc0 sc1
	s_waitcnt vmcnt(0)
	buffer_inv sc0 sc1
	v_and_b32_e32 v2, 1, v2
	s_branch .LBB10_186
.LBB10_191:
	global_load_dwordx2 v[0:1], v[0:1], off
	s_and_saveexec_b64 s[4:5], s[0:1]
	s_cbranch_execz .LBB10_194
; %bb.192:
	v_mov_b32_e32 v8, 0
	global_load_dwordx2 v[6:7], v8, s[24:25] offset:40
	global_load_dwordx2 v[10:11], v8, s[24:25] offset:24 sc0 sc1
	global_load_dwordx2 v[12:13], v8, s[24:25]
	s_mov_b64 s[0:1], 0
	s_waitcnt vmcnt(0)
	v_lshl_add_u64 v[2:3], v[6:7], 0, 1
	v_lshl_add_u64 v[14:15], v[2:3], 0, s[2:3]
	v_cmp_eq_u64_e32 vcc, 0, v[14:15]
	v_mov_b32_e32 v4, v10
	s_nop 0
	v_cndmask_b32_e32 v3, v15, v3, vcc
	v_cndmask_b32_e32 v2, v14, v2, vcc
	v_and_b32_e32 v5, v3, v7
	v_and_b32_e32 v6, v2, v6
	v_mul_lo_u32 v5, v5, 24
	v_mul_hi_u32 v7, v6, 24
	v_mul_lo_u32 v6, v6, 24
	v_add_u32_e32 v7, v7, v5
	v_lshl_add_u64 v[6:7], v[12:13], 0, v[6:7]
	global_store_dwordx2 v[6:7], v[10:11], off
	v_mov_b32_e32 v5, v11
	buffer_wbl2 sc0 sc1
	s_waitcnt vmcnt(0)
	global_atomic_cmpswap_x2 v[4:5], v8, v[2:5], s[24:25] offset:24 sc0 sc1
	s_waitcnt vmcnt(0)
	v_cmp_ne_u64_e32 vcc, v[4:5], v[10:11]
	s_and_b64 exec, exec, vcc
	s_cbranch_execz .LBB10_194
.LBB10_193:                             ; =>This Inner Loop Header: Depth=1
	s_sleep 1
	global_store_dwordx2 v[6:7], v[4:5], off
	buffer_wbl2 sc0 sc1
	s_waitcnt vmcnt(0)
	global_atomic_cmpswap_x2 v[10:11], v8, v[2:5], s[24:25] offset:24 sc0 sc1
	s_waitcnt vmcnt(0)
	v_cmp_eq_u64_e32 vcc, v[10:11], v[4:5]
	s_or_b64 s[0:1], vcc, s[0:1]
	v_mov_b64_e32 v[4:5], v[10:11]
	s_andn2_b64 exec, exec, s[0:1]
	s_cbranch_execnz .LBB10_193
.LBB10_194:
	s_or_b64 exec, exec, s[4:5]
	s_and_b64 vcc, exec, s[26:27]
	s_cbranch_vccz .LBB10_279
; %bb.195:
	s_waitcnt vmcnt(0)
	v_and_b32_e32 v28, 2, v0
	v_mov_b32_e32 v31, 0
	v_and_b32_e32 v2, -3, v0
	v_mov_b32_e32 v3, v1
	s_mov_b64 s[4:5], 4
	v_mov_b32_e32 v6, 2
	v_mov_b32_e32 v7, 1
	s_getpc_b64 s[2:3]
	s_add_u32 s2, s2, .str.7@rel32@lo+4
	s_addc_u32 s3, s3, .str.7@rel32@hi+12
	s_branch .LBB10_197
.LBB10_196:                             ;   in Loop: Header=BB10_197 Depth=1
	s_or_b64 exec, exec, s[10:11]
	s_sub_u32 s4, s4, s6
	s_subb_u32 s5, s5, s7
	s_add_u32 s2, s2, s6
	s_addc_u32 s3, s3, s7
	s_cmp_lg_u64 s[4:5], 0
	s_cbranch_scc0 .LBB10_278
.LBB10_197:                             ; =>This Loop Header: Depth=1
                                        ;     Child Loop BB10_200 Depth 2
                                        ;     Child Loop BB10_207 Depth 2
                                        ;     Child Loop BB10_215 Depth 2
                                        ;     Child Loop BB10_223 Depth 2
                                        ;     Child Loop BB10_231 Depth 2
                                        ;     Child Loop BB10_239 Depth 2
                                        ;     Child Loop BB10_247 Depth 2
                                        ;     Child Loop BB10_255 Depth 2
                                        ;     Child Loop BB10_263 Depth 2
                                        ;     Child Loop BB10_272 Depth 2
                                        ;     Child Loop BB10_277 Depth 2
	v_cmp_lt_u64_e64 s[0:1], s[4:5], 56
	s_and_b64 s[0:1], s[0:1], exec
	v_cmp_gt_u64_e64 s[0:1], s[4:5], 7
	s_cselect_b32 s7, s5, 0
	s_cselect_b32 s6, s4, 56
	s_and_b64 vcc, exec, s[0:1]
	s_cbranch_vccnz .LBB10_202
; %bb.198:                              ;   in Loop: Header=BB10_197 Depth=1
	s_mov_b64 s[0:1], 0
	s_cmp_eq_u64 s[4:5], 0
	v_mov_b64_e32 v[10:11], 0
	s_cbranch_scc1 .LBB10_201
; %bb.199:                              ;   in Loop: Header=BB10_197 Depth=1
	s_lshl_b64 s[8:9], s[6:7], 3
	s_mov_b64 s[10:11], 0
	v_mov_b64_e32 v[10:11], 0
	s_mov_b64 s[12:13], s[2:3]
.LBB10_200:                             ;   Parent Loop BB10_197 Depth=1
                                        ; =>  This Inner Loop Header: Depth=2
	global_load_ubyte v4, v31, s[12:13]
	s_waitcnt vmcnt(0)
	v_and_b32_e32 v30, 0xffff, v4
	v_lshlrev_b64 v[4:5], s10, v[30:31]
	s_add_u32 s10, s10, 8
	s_addc_u32 s11, s11, 0
	s_add_u32 s12, s12, 1
	s_addc_u32 s13, s13, 0
	v_or_b32_e32 v10, v4, v10
	s_cmp_lg_u32 s8, s10
	v_or_b32_e32 v11, v5, v11
	s_cbranch_scc1 .LBB10_200
.LBB10_201:                             ;   in Loop: Header=BB10_197 Depth=1
	s_mov_b32 s12, 0
	s_andn2_b64 vcc, exec, s[0:1]
	s_mov_b64 s[0:1], s[2:3]
	s_cbranch_vccz .LBB10_203
	s_branch .LBB10_204
.LBB10_202:                             ;   in Loop: Header=BB10_197 Depth=1
                                        ; implicit-def: $vgpr10_vgpr11
                                        ; implicit-def: $sgpr12
	s_mov_b64 s[0:1], s[2:3]
.LBB10_203:                             ;   in Loop: Header=BB10_197 Depth=1
	global_load_dwordx2 v[10:11], v31, s[2:3]
	s_add_i32 s12, s6, -8
	s_add_u32 s0, s2, 8
	s_addc_u32 s1, s3, 0
.LBB10_204:                             ;   in Loop: Header=BB10_197 Depth=1
	s_cmp_gt_u32 s12, 7
	s_cbranch_scc1 .LBB10_208
; %bb.205:                              ;   in Loop: Header=BB10_197 Depth=1
	s_cmp_eq_u32 s12, 0
	s_cbranch_scc1 .LBB10_209
; %bb.206:                              ;   in Loop: Header=BB10_197 Depth=1
	s_mov_b64 s[8:9], 0
	v_mov_b64_e32 v[12:13], 0
	s_mov_b64 s[10:11], 0
.LBB10_207:                             ;   Parent Loop BB10_197 Depth=1
                                        ; =>  This Inner Loop Header: Depth=2
	s_add_u32 s14, s0, s10
	s_addc_u32 s15, s1, s11
	global_load_ubyte v4, v31, s[14:15]
	s_add_u32 s10, s10, 1
	s_addc_u32 s11, s11, 0
	s_waitcnt vmcnt(0)
	v_and_b32_e32 v30, 0xffff, v4
	v_lshlrev_b64 v[4:5], s8, v[30:31]
	s_add_u32 s8, s8, 8
	s_addc_u32 s9, s9, 0
	v_or_b32_e32 v12, v4, v12
	s_cmp_lg_u32 s12, s10
	v_or_b32_e32 v13, v5, v13
	s_cbranch_scc1 .LBB10_207
	s_branch .LBB10_210
.LBB10_208:                             ;   in Loop: Header=BB10_197 Depth=1
                                        ; implicit-def: $vgpr12_vgpr13
                                        ; implicit-def: $sgpr13
	s_branch .LBB10_211
.LBB10_209:                             ;   in Loop: Header=BB10_197 Depth=1
	v_mov_b64_e32 v[12:13], 0
.LBB10_210:                             ;   in Loop: Header=BB10_197 Depth=1
	s_mov_b32 s13, 0
	s_cbranch_execnz .LBB10_212
.LBB10_211:                             ;   in Loop: Header=BB10_197 Depth=1
	global_load_dwordx2 v[12:13], v31, s[0:1]
	s_add_i32 s13, s12, -8
	s_add_u32 s0, s0, 8
	s_addc_u32 s1, s1, 0
.LBB10_212:                             ;   in Loop: Header=BB10_197 Depth=1
	s_cmp_gt_u32 s13, 7
	s_cbranch_scc1 .LBB10_216
; %bb.213:                              ;   in Loop: Header=BB10_197 Depth=1
	s_cmp_eq_u32 s13, 0
	s_cbranch_scc1 .LBB10_217
; %bb.214:                              ;   in Loop: Header=BB10_197 Depth=1
	s_mov_b64 s[8:9], 0
	v_mov_b64_e32 v[14:15], 0
	s_mov_b64 s[10:11], 0
.LBB10_215:                             ;   Parent Loop BB10_197 Depth=1
                                        ; =>  This Inner Loop Header: Depth=2
	s_add_u32 s14, s0, s10
	s_addc_u32 s15, s1, s11
	global_load_ubyte v4, v31, s[14:15]
	s_add_u32 s10, s10, 1
	s_addc_u32 s11, s11, 0
	s_waitcnt vmcnt(0)
	v_and_b32_e32 v30, 0xffff, v4
	v_lshlrev_b64 v[4:5], s8, v[30:31]
	s_add_u32 s8, s8, 8
	s_addc_u32 s9, s9, 0
	v_or_b32_e32 v14, v4, v14
	s_cmp_lg_u32 s13, s10
	v_or_b32_e32 v15, v5, v15
	s_cbranch_scc1 .LBB10_215
	s_branch .LBB10_218
.LBB10_216:                             ;   in Loop: Header=BB10_197 Depth=1
                                        ; implicit-def: $sgpr12
	s_branch .LBB10_219
.LBB10_217:                             ;   in Loop: Header=BB10_197 Depth=1
	v_mov_b64_e32 v[14:15], 0
.LBB10_218:                             ;   in Loop: Header=BB10_197 Depth=1
	s_mov_b32 s12, 0
	s_cbranch_execnz .LBB10_220
.LBB10_219:                             ;   in Loop: Header=BB10_197 Depth=1
	global_load_dwordx2 v[14:15], v31, s[0:1]
	s_add_i32 s12, s13, -8
	s_add_u32 s0, s0, 8
	s_addc_u32 s1, s1, 0
.LBB10_220:                             ;   in Loop: Header=BB10_197 Depth=1
	s_cmp_gt_u32 s12, 7
	s_cbranch_scc1 .LBB10_224
; %bb.221:                              ;   in Loop: Header=BB10_197 Depth=1
	s_cmp_eq_u32 s12, 0
	s_cbranch_scc1 .LBB10_225
; %bb.222:                              ;   in Loop: Header=BB10_197 Depth=1
	s_mov_b64 s[8:9], 0
	v_mov_b64_e32 v[16:17], 0
	s_mov_b64 s[10:11], 0
.LBB10_223:                             ;   Parent Loop BB10_197 Depth=1
                                        ; =>  This Inner Loop Header: Depth=2
	s_add_u32 s14, s0, s10
	s_addc_u32 s15, s1, s11
	global_load_ubyte v4, v31, s[14:15]
	s_add_u32 s10, s10, 1
	s_addc_u32 s11, s11, 0
	s_waitcnt vmcnt(0)
	v_and_b32_e32 v30, 0xffff, v4
	v_lshlrev_b64 v[4:5], s8, v[30:31]
	s_add_u32 s8, s8, 8
	s_addc_u32 s9, s9, 0
	v_or_b32_e32 v16, v4, v16
	s_cmp_lg_u32 s12, s10
	v_or_b32_e32 v17, v5, v17
	s_cbranch_scc1 .LBB10_223
	s_branch .LBB10_226
.LBB10_224:                             ;   in Loop: Header=BB10_197 Depth=1
                                        ; implicit-def: $vgpr16_vgpr17
                                        ; implicit-def: $sgpr13
	s_branch .LBB10_227
.LBB10_225:                             ;   in Loop: Header=BB10_197 Depth=1
	v_mov_b64_e32 v[16:17], 0
.LBB10_226:                             ;   in Loop: Header=BB10_197 Depth=1
	s_mov_b32 s13, 0
	s_cbranch_execnz .LBB10_228
.LBB10_227:                             ;   in Loop: Header=BB10_197 Depth=1
	global_load_dwordx2 v[16:17], v31, s[0:1]
	s_add_i32 s13, s12, -8
	s_add_u32 s0, s0, 8
	s_addc_u32 s1, s1, 0
.LBB10_228:                             ;   in Loop: Header=BB10_197 Depth=1
	s_cmp_gt_u32 s13, 7
	s_cbranch_scc1 .LBB10_232
; %bb.229:                              ;   in Loop: Header=BB10_197 Depth=1
	s_cmp_eq_u32 s13, 0
	s_cbranch_scc1 .LBB10_233
; %bb.230:                              ;   in Loop: Header=BB10_197 Depth=1
	s_mov_b64 s[8:9], 0
	v_mov_b64_e32 v[18:19], 0
	s_mov_b64 s[10:11], 0
.LBB10_231:                             ;   Parent Loop BB10_197 Depth=1
                                        ; =>  This Inner Loop Header: Depth=2
	s_add_u32 s14, s0, s10
	s_addc_u32 s15, s1, s11
	global_load_ubyte v4, v31, s[14:15]
	s_add_u32 s10, s10, 1
	s_addc_u32 s11, s11, 0
	s_waitcnt vmcnt(0)
	v_and_b32_e32 v30, 0xffff, v4
	v_lshlrev_b64 v[4:5], s8, v[30:31]
	s_add_u32 s8, s8, 8
	s_addc_u32 s9, s9, 0
	v_or_b32_e32 v18, v4, v18
	s_cmp_lg_u32 s13, s10
	v_or_b32_e32 v19, v5, v19
	s_cbranch_scc1 .LBB10_231
	s_branch .LBB10_234
.LBB10_232:                             ;   in Loop: Header=BB10_197 Depth=1
                                        ; implicit-def: $sgpr12
	s_branch .LBB10_235
.LBB10_233:                             ;   in Loop: Header=BB10_197 Depth=1
	v_mov_b64_e32 v[18:19], 0
.LBB10_234:                             ;   in Loop: Header=BB10_197 Depth=1
	s_mov_b32 s12, 0
	s_cbranch_execnz .LBB10_236
.LBB10_235:                             ;   in Loop: Header=BB10_197 Depth=1
	global_load_dwordx2 v[18:19], v31, s[0:1]
	s_add_i32 s12, s13, -8
	s_add_u32 s0, s0, 8
	s_addc_u32 s1, s1, 0
.LBB10_236:                             ;   in Loop: Header=BB10_197 Depth=1
	s_cmp_gt_u32 s12, 7
	s_cbranch_scc1 .LBB10_240
; %bb.237:                              ;   in Loop: Header=BB10_197 Depth=1
	s_cmp_eq_u32 s12, 0
	s_cbranch_scc1 .LBB10_241
; %bb.238:                              ;   in Loop: Header=BB10_197 Depth=1
	s_mov_b64 s[8:9], 0
	v_mov_b64_e32 v[20:21], 0
	s_mov_b64 s[10:11], 0
.LBB10_239:                             ;   Parent Loop BB10_197 Depth=1
                                        ; =>  This Inner Loop Header: Depth=2
	s_add_u32 s14, s0, s10
	s_addc_u32 s15, s1, s11
	global_load_ubyte v4, v31, s[14:15]
	s_add_u32 s10, s10, 1
	s_addc_u32 s11, s11, 0
	s_waitcnt vmcnt(0)
	v_and_b32_e32 v30, 0xffff, v4
	v_lshlrev_b64 v[4:5], s8, v[30:31]
	s_add_u32 s8, s8, 8
	s_addc_u32 s9, s9, 0
	v_or_b32_e32 v20, v4, v20
	s_cmp_lg_u32 s12, s10
	v_or_b32_e32 v21, v5, v21
	s_cbranch_scc1 .LBB10_239
	s_branch .LBB10_242
.LBB10_240:                             ;   in Loop: Header=BB10_197 Depth=1
                                        ; implicit-def: $vgpr20_vgpr21
                                        ; implicit-def: $sgpr13
	s_branch .LBB10_243
.LBB10_241:                             ;   in Loop: Header=BB10_197 Depth=1
	v_mov_b64_e32 v[20:21], 0
.LBB10_242:                             ;   in Loop: Header=BB10_197 Depth=1
	s_mov_b32 s13, 0
	s_cbranch_execnz .LBB10_244
.LBB10_243:                             ;   in Loop: Header=BB10_197 Depth=1
	global_load_dwordx2 v[20:21], v31, s[0:1]
	s_add_i32 s13, s12, -8
	s_add_u32 s0, s0, 8
	s_addc_u32 s1, s1, 0
.LBB10_244:                             ;   in Loop: Header=BB10_197 Depth=1
	s_cmp_gt_u32 s13, 7
	s_cbranch_scc1 .LBB10_248
; %bb.245:                              ;   in Loop: Header=BB10_197 Depth=1
	s_cmp_eq_u32 s13, 0
	s_cbranch_scc1 .LBB10_249
; %bb.246:                              ;   in Loop: Header=BB10_197 Depth=1
	s_mov_b64 s[8:9], 0
	v_mov_b64_e32 v[22:23], 0
	s_mov_b64 s[10:11], s[0:1]
.LBB10_247:                             ;   Parent Loop BB10_197 Depth=1
                                        ; =>  This Inner Loop Header: Depth=2
	global_load_ubyte v4, v31, s[10:11]
	s_add_i32 s13, s13, -1
	s_waitcnt vmcnt(0)
	v_and_b32_e32 v30, 0xffff, v4
	v_lshlrev_b64 v[4:5], s8, v[30:31]
	s_add_u32 s8, s8, 8
	s_addc_u32 s9, s9, 0
	s_add_u32 s10, s10, 1
	s_addc_u32 s11, s11, 0
	v_or_b32_e32 v22, v4, v22
	s_cmp_lg_u32 s13, 0
	v_or_b32_e32 v23, v5, v23
	s_cbranch_scc1 .LBB10_247
	s_branch .LBB10_250
.LBB10_248:                             ;   in Loop: Header=BB10_197 Depth=1
	s_branch .LBB10_251
.LBB10_249:                             ;   in Loop: Header=BB10_197 Depth=1
	v_mov_b64_e32 v[22:23], 0
.LBB10_250:                             ;   in Loop: Header=BB10_197 Depth=1
	s_cbranch_execnz .LBB10_252
.LBB10_251:                             ;   in Loop: Header=BB10_197 Depth=1
	global_load_dwordx2 v[22:23], v31, s[0:1]
.LBB10_252:                             ;   in Loop: Header=BB10_197 Depth=1
	v_readfirstlane_b32 s0, v46
	s_waitcnt vmcnt(0)
	v_mov_b64_e32 v[4:5], 0
	v_cmp_eq_u32_e64 s[0:1], s0, v46
	s_and_saveexec_b64 s[8:9], s[0:1]
	s_cbranch_execz .LBB10_258
; %bb.253:                              ;   in Loop: Header=BB10_197 Depth=1
	global_load_dwordx2 v[26:27], v31, s[24:25] offset:24 sc0 sc1
	s_waitcnt vmcnt(0)
	buffer_inv sc0 sc1
	global_load_dwordx2 v[4:5], v31, s[24:25] offset:40
	global_load_dwordx2 v[8:9], v31, s[24:25]
	s_waitcnt vmcnt(0)
	v_and_b32_e32 v4, v4, v26
	v_and_b32_e32 v5, v5, v27
	v_mul_lo_u32 v5, v5, 24
	v_mul_hi_u32 v24, v4, 24
	v_add_u32_e32 v5, v24, v5
	v_mul_lo_u32 v4, v4, 24
	v_lshl_add_u64 v[4:5], v[8:9], 0, v[4:5]
	global_load_dwordx2 v[24:25], v[4:5], off sc0 sc1
	s_waitcnt vmcnt(0)
	global_atomic_cmpswap_x2 v[4:5], v31, v[24:27], s[24:25] offset:24 sc0 sc1
	s_waitcnt vmcnt(0)
	buffer_inv sc0 sc1
	v_cmp_ne_u64_e32 vcc, v[4:5], v[26:27]
	s_and_saveexec_b64 s[10:11], vcc
	s_cbranch_execz .LBB10_257
; %bb.254:                              ;   in Loop: Header=BB10_197 Depth=1
	s_mov_b64 s[12:13], 0
.LBB10_255:                             ;   Parent Loop BB10_197 Depth=1
                                        ; =>  This Inner Loop Header: Depth=2
	s_sleep 1
	global_load_dwordx2 v[8:9], v31, s[24:25] offset:40
	global_load_dwordx2 v[24:25], v31, s[24:25]
	v_mov_b64_e32 v[26:27], v[4:5]
	s_waitcnt vmcnt(0)
	v_and_b32_e32 v4, v8, v26
	v_mad_u64_u32 v[4:5], s[14:15], v4, 24, v[24:25]
	v_and_b32_e32 v9, v9, v27
	v_mov_b32_e32 v8, v5
	v_mad_u64_u32 v[8:9], s[14:15], v9, 24, v[8:9]
	v_mov_b32_e32 v5, v8
	global_load_dwordx2 v[24:25], v[4:5], off sc0 sc1
	s_waitcnt vmcnt(0)
	global_atomic_cmpswap_x2 v[4:5], v31, v[24:27], s[24:25] offset:24 sc0 sc1
	s_waitcnt vmcnt(0)
	buffer_inv sc0 sc1
	v_cmp_eq_u64_e32 vcc, v[4:5], v[26:27]
	s_or_b64 s[12:13], vcc, s[12:13]
	s_andn2_b64 exec, exec, s[12:13]
	s_cbranch_execnz .LBB10_255
; %bb.256:                              ;   in Loop: Header=BB10_197 Depth=1
	s_or_b64 exec, exec, s[12:13]
.LBB10_257:                             ;   in Loop: Header=BB10_197 Depth=1
	s_or_b64 exec, exec, s[10:11]
.LBB10_258:                             ;   in Loop: Header=BB10_197 Depth=1
	s_or_b64 exec, exec, s[8:9]
	global_load_dwordx2 v[8:9], v31, s[24:25] offset:40
	global_load_dwordx4 v[24:27], v31, s[24:25]
	v_readfirstlane_b32 s8, v4
	v_readfirstlane_b32 s9, v5
	s_mov_b64 s[10:11], exec
	s_waitcnt vmcnt(0)
	v_readfirstlane_b32 s12, v8
	v_readfirstlane_b32 s13, v9
	s_and_b64 s[12:13], s[8:9], s[12:13]
	s_mul_i32 s14, s13, 24
	s_mul_hi_u32 s15, s12, 24
	s_add_i32 s15, s15, s14
	s_mul_i32 s14, s12, 24
	v_lshl_add_u64 v[32:33], v[24:25], 0, s[14:15]
	s_and_saveexec_b64 s[14:15], s[0:1]
	s_cbranch_execz .LBB10_260
; %bb.259:                              ;   in Loop: Header=BB10_197 Depth=1
	v_mov_b64_e32 v[4:5], s[10:11]
	global_store_dwordx4 v[32:33], v[4:7], off offset:8
.LBB10_260:                             ;   in Loop: Header=BB10_197 Depth=1
	s_or_b64 exec, exec, s[14:15]
	s_lshl_b64 s[10:11], s[12:13], 12
	v_lshl_add_u64 v[26:27], v[26:27], 0, s[10:11]
	v_or_b32_e32 v5, v2, v28
	v_cmp_gt_u64_e64 vcc, s[4:5], 56
	s_lshl_b32 s10, s6, 2
	s_add_i32 s10, s10, 28
	v_cndmask_b32_e32 v2, v5, v2, vcc
	v_or_b32_e32 v4, 0, v3
	s_and_b32 s10, s10, 0x1e0
	v_and_b32_e32 v2, 0xffffff1f, v2
	v_cndmask_b32_e32 v9, v4, v3, vcc
	v_or_b32_e32 v8, s10, v2
	v_readfirstlane_b32 s10, v26
	v_readfirstlane_b32 s11, v27
	s_nop 4
	global_store_dwordx4 v44, v[8:11], s[10:11]
	global_store_dwordx4 v44, v[12:15], s[10:11] offset:16
	global_store_dwordx4 v44, v[16:19], s[10:11] offset:32
	global_store_dwordx4 v44, v[20:23], s[10:11] offset:48
	s_and_saveexec_b64 s[10:11], s[0:1]
	s_cbranch_execz .LBB10_268
; %bb.261:                              ;   in Loop: Header=BB10_197 Depth=1
	global_load_dwordx2 v[12:13], v31, s[24:25] offset:32 sc0 sc1
	global_load_dwordx2 v[2:3], v31, s[24:25] offset:40
	v_mov_b32_e32 v10, s8
	v_mov_b32_e32 v11, s9
	s_waitcnt vmcnt(0)
	v_readfirstlane_b32 s12, v2
	v_readfirstlane_b32 s13, v3
	s_and_b64 s[12:13], s[12:13], s[8:9]
	s_mul_i32 s13, s13, 24
	s_mul_hi_u32 s14, s12, 24
	s_mul_i32 s12, s12, 24
	s_add_i32 s13, s14, s13
	v_lshl_add_u64 v[8:9], v[24:25], 0, s[12:13]
	global_store_dwordx2 v[8:9], v[12:13], off
	buffer_wbl2 sc0 sc1
	s_waitcnt vmcnt(0)
	global_atomic_cmpswap_x2 v[4:5], v31, v[10:13], s[24:25] offset:32 sc0 sc1
	s_waitcnt vmcnt(0)
	v_cmp_ne_u64_e32 vcc, v[4:5], v[12:13]
	s_and_saveexec_b64 s[12:13], vcc
	s_cbranch_execz .LBB10_264
; %bb.262:                              ;   in Loop: Header=BB10_197 Depth=1
	s_mov_b64 s[14:15], 0
.LBB10_263:                             ;   Parent Loop BB10_197 Depth=1
                                        ; =>  This Inner Loop Header: Depth=2
	s_sleep 1
	global_store_dwordx2 v[8:9], v[4:5], off
	v_mov_b32_e32 v2, s8
	v_mov_b32_e32 v3, s9
	buffer_wbl2 sc0 sc1
	s_waitcnt vmcnt(0)
	global_atomic_cmpswap_x2 v[2:3], v31, v[2:5], s[24:25] offset:32 sc0 sc1
	s_waitcnt vmcnt(0)
	v_cmp_eq_u64_e32 vcc, v[2:3], v[4:5]
	s_or_b64 s[14:15], vcc, s[14:15]
	v_mov_b64_e32 v[4:5], v[2:3]
	s_andn2_b64 exec, exec, s[14:15]
	s_cbranch_execnz .LBB10_263
.LBB10_264:                             ;   in Loop: Header=BB10_197 Depth=1
	s_or_b64 exec, exec, s[12:13]
	global_load_dwordx2 v[2:3], v31, s[24:25] offset:16
	s_mov_b64 s[14:15], exec
	v_mbcnt_lo_u32_b32 v4, s14, 0
	v_mbcnt_hi_u32_b32 v4, s15, v4
	v_cmp_eq_u32_e32 vcc, 0, v4
	s_and_saveexec_b64 s[12:13], vcc
	s_cbranch_execz .LBB10_266
; %bb.265:                              ;   in Loop: Header=BB10_197 Depth=1
	s_bcnt1_i32_b64 s14, s[14:15]
	v_mov_b32_e32 v30, s14
	buffer_wbl2 sc0 sc1
	s_waitcnt vmcnt(0)
	global_atomic_add_x2 v[2:3], v[30:31], off offset:8 sc1
.LBB10_266:                             ;   in Loop: Header=BB10_197 Depth=1
	s_or_b64 exec, exec, s[12:13]
	s_waitcnt vmcnt(0)
	global_load_dwordx2 v[4:5], v[2:3], off offset:16
	s_waitcnt vmcnt(0)
	v_cmp_eq_u64_e32 vcc, 0, v[4:5]
	s_cbranch_vccnz .LBB10_268
; %bb.267:                              ;   in Loop: Header=BB10_197 Depth=1
	global_load_dword v30, v[2:3], off offset:24
	s_waitcnt vmcnt(0)
	v_and_b32_e32 v2, 0xffffff, v30
	s_nop 0
	v_readfirstlane_b32 m0, v2
	buffer_wbl2 sc0 sc1
	global_store_dwordx2 v[4:5], v[30:31], off sc0 sc1
	s_sendmsg sendmsg(MSG_INTERRUPT)
.LBB10_268:                             ;   in Loop: Header=BB10_197 Depth=1
	s_or_b64 exec, exec, s[10:11]
	v_mov_b32_e32 v45, v31
	v_lshl_add_u64 v[2:3], v[26:27], 0, v[44:45]
	s_branch .LBB10_272
.LBB10_269:                             ;   in Loop: Header=BB10_272 Depth=2
	s_or_b64 exec, exec, s[10:11]
	v_readfirstlane_b32 s10, v4
	s_cmp_eq_u32 s10, 0
	s_cbranch_scc1 .LBB10_271
; %bb.270:                              ;   in Loop: Header=BB10_272 Depth=2
	s_sleep 1
	s_cbranch_execnz .LBB10_272
	s_branch .LBB10_274
.LBB10_271:                             ;   in Loop: Header=BB10_197 Depth=1
	s_branch .LBB10_274
.LBB10_272:                             ;   Parent Loop BB10_197 Depth=1
                                        ; =>  This Inner Loop Header: Depth=2
	v_mov_b32_e32 v4, 1
	s_and_saveexec_b64 s[10:11], s[0:1]
	s_cbranch_execz .LBB10_269
; %bb.273:                              ;   in Loop: Header=BB10_272 Depth=2
	global_load_dword v4, v[32:33], off offset:20 sc0 sc1
	s_waitcnt vmcnt(0)
	buffer_inv sc0 sc1
	v_and_b32_e32 v4, 1, v4
	s_branch .LBB10_269
.LBB10_274:                             ;   in Loop: Header=BB10_197 Depth=1
	global_load_dwordx4 v[2:5], v[2:3], off
	s_and_saveexec_b64 s[10:11], s[0:1]
	s_cbranch_execz .LBB10_196
; %bb.275:                              ;   in Loop: Header=BB10_197 Depth=1
	global_load_dwordx2 v[4:5], v31, s[24:25] offset:40
	global_load_dwordx2 v[12:13], v31, s[24:25] offset:24 sc0 sc1
	global_load_dwordx2 v[14:15], v31, s[24:25]
	s_waitcnt vmcnt(0)
	v_lshl_add_u64 v[8:9], v[4:5], 0, 1
	v_lshl_add_u64 v[16:17], v[8:9], 0, s[8:9]
	v_cmp_eq_u64_e32 vcc, 0, v[16:17]
	v_mov_b32_e32 v10, v12
	s_nop 0
	v_cndmask_b32_e32 v9, v17, v9, vcc
	v_cndmask_b32_e32 v8, v16, v8, vcc
	v_and_b32_e32 v5, v9, v5
	v_and_b32_e32 v4, v8, v4
	v_mul_lo_u32 v5, v5, 24
	v_mul_hi_u32 v11, v4, 24
	v_mul_lo_u32 v4, v4, 24
	v_add_u32_e32 v5, v11, v5
	v_lshl_add_u64 v[4:5], v[14:15], 0, v[4:5]
	global_store_dwordx2 v[4:5], v[12:13], off
	v_mov_b32_e32 v11, v13
	buffer_wbl2 sc0 sc1
	s_waitcnt vmcnt(0)
	global_atomic_cmpswap_x2 v[10:11], v31, v[8:11], s[24:25] offset:24 sc0 sc1
	s_waitcnt vmcnt(0)
	v_cmp_ne_u64_e32 vcc, v[10:11], v[12:13]
	s_and_b64 exec, exec, vcc
	s_cbranch_execz .LBB10_196
; %bb.276:                              ;   in Loop: Header=BB10_197 Depth=1
	s_mov_b64 s[0:1], 0
.LBB10_277:                             ;   Parent Loop BB10_197 Depth=1
                                        ; =>  This Inner Loop Header: Depth=2
	s_sleep 1
	global_store_dwordx2 v[4:5], v[10:11], off
	buffer_wbl2 sc0 sc1
	s_waitcnt vmcnt(0)
	global_atomic_cmpswap_x2 v[12:13], v31, v[8:11], s[24:25] offset:24 sc0 sc1
	s_waitcnt vmcnt(0)
	v_cmp_eq_u64_e32 vcc, v[12:13], v[10:11]
	s_or_b64 s[0:1], vcc, s[0:1]
	v_mov_b64_e32 v[10:11], v[12:13]
	s_andn2_b64 exec, exec, s[0:1]
	s_cbranch_execnz .LBB10_277
	s_branch .LBB10_196
.LBB10_278:
	s_branch .LBB10_306
.LBB10_279:
                                        ; implicit-def: $vgpr2_vgpr3
	s_cbranch_execz .LBB10_306
; %bb.280:
	v_readfirstlane_b32 s0, v46
	s_waitcnt vmcnt(0)
	v_mov_b64_e32 v[2:3], 0
	v_cmp_eq_u32_e64 s[0:1], s0, v46
	s_and_saveexec_b64 s[2:3], s[0:1]
	s_cbranch_execz .LBB10_286
; %bb.281:
	v_mov_b32_e32 v4, 0
	global_load_dwordx2 v[8:9], v4, s[24:25] offset:24 sc0 sc1
	s_waitcnt vmcnt(0)
	buffer_inv sc0 sc1
	global_load_dwordx2 v[2:3], v4, s[24:25] offset:40
	global_load_dwordx2 v[6:7], v4, s[24:25]
	s_waitcnt vmcnt(0)
	v_and_b32_e32 v2, v2, v8
	v_and_b32_e32 v3, v3, v9
	v_mul_lo_u32 v3, v3, 24
	v_mul_hi_u32 v5, v2, 24
	v_add_u32_e32 v3, v5, v3
	v_mul_lo_u32 v2, v2, 24
	v_lshl_add_u64 v[2:3], v[6:7], 0, v[2:3]
	global_load_dwordx2 v[6:7], v[2:3], off sc0 sc1
	s_waitcnt vmcnt(0)
	global_atomic_cmpswap_x2 v[2:3], v4, v[6:9], s[24:25] offset:24 sc0 sc1
	s_waitcnt vmcnt(0)
	buffer_inv sc0 sc1
	v_cmp_ne_u64_e32 vcc, v[2:3], v[8:9]
	s_and_saveexec_b64 s[4:5], vcc
	s_cbranch_execz .LBB10_285
; %bb.282:
	s_mov_b64 s[6:7], 0
.LBB10_283:                             ; =>This Inner Loop Header: Depth=1
	s_sleep 1
	global_load_dwordx2 v[6:7], v4, s[24:25] offset:40
	global_load_dwordx2 v[10:11], v4, s[24:25]
	v_mov_b64_e32 v[8:9], v[2:3]
	s_waitcnt vmcnt(0)
	v_and_b32_e32 v2, v6, v8
	v_mad_u64_u32 v[2:3], s[8:9], v2, 24, v[10:11]
	v_and_b32_e32 v5, v7, v9
	v_mov_b32_e32 v6, v3
	v_mad_u64_u32 v[6:7], s[8:9], v5, 24, v[6:7]
	v_mov_b32_e32 v3, v6
	global_load_dwordx2 v[6:7], v[2:3], off sc0 sc1
	s_waitcnt vmcnt(0)
	global_atomic_cmpswap_x2 v[2:3], v4, v[6:9], s[24:25] offset:24 sc0 sc1
	s_waitcnt vmcnt(0)
	buffer_inv sc0 sc1
	v_cmp_eq_u64_e32 vcc, v[2:3], v[8:9]
	s_or_b64 s[6:7], vcc, s[6:7]
	s_andn2_b64 exec, exec, s[6:7]
	s_cbranch_execnz .LBB10_283
; %bb.284:
	s_or_b64 exec, exec, s[6:7]
.LBB10_285:
	s_or_b64 exec, exec, s[4:5]
.LBB10_286:
	s_or_b64 exec, exec, s[2:3]
	v_mov_b32_e32 v45, 0
	global_load_dwordx2 v[8:9], v45, s[24:25] offset:40
	global_load_dwordx4 v[4:7], v45, s[24:25]
	v_readfirstlane_b32 s2, v2
	v_readfirstlane_b32 s3, v3
	s_mov_b64 s[4:5], exec
	s_waitcnt vmcnt(0)
	v_readfirstlane_b32 s6, v8
	v_readfirstlane_b32 s7, v9
	s_and_b64 s[6:7], s[2:3], s[6:7]
	s_mul_i32 s8, s7, 24
	s_mul_hi_u32 s9, s6, 24
	s_add_i32 s9, s9, s8
	s_mul_i32 s8, s6, 24
	v_lshl_add_u64 v[8:9], v[4:5], 0, s[8:9]
	s_and_saveexec_b64 s[8:9], s[0:1]
	s_cbranch_execz .LBB10_288
; %bb.287:
	v_mov_b64_e32 v[10:11], s[4:5]
	v_mov_b32_e32 v12, 2
	v_mov_b32_e32 v13, 1
	global_store_dwordx4 v[8:9], v[10:13], off offset:8
.LBB10_288:
	s_or_b64 exec, exec, s[8:9]
	s_lshl_b64 s[4:5], s[6:7], 12
	v_lshl_add_u64 v[6:7], v[6:7], 0, s[4:5]
	s_movk_i32 s4, 0xff1f
	v_and_or_b32 v0, v0, s4, 32
	s_mov_b32 s4, 0
	v_mov_b32_e32 v2, v45
	v_mov_b32_e32 v3, v45
	v_readfirstlane_b32 s8, v6
	v_readfirstlane_b32 s9, v7
	s_mov_b32 s5, s4
	s_mov_b32 s6, s4
	;; [unrolled: 1-line block ×3, first 2 shown]
	s_nop 1
	global_store_dwordx4 v44, v[0:3], s[8:9]
	s_nop 1
	v_mov_b64_e32 v[0:1], s[4:5]
	v_mov_b64_e32 v[2:3], s[6:7]
	global_store_dwordx4 v44, v[0:3], s[8:9] offset:16
	global_store_dwordx4 v44, v[0:3], s[8:9] offset:32
	;; [unrolled: 1-line block ×3, first 2 shown]
	s_and_saveexec_b64 s[4:5], s[0:1]
	s_cbranch_execz .LBB10_296
; %bb.289:
	v_mov_b32_e32 v10, 0
	global_load_dwordx2 v[14:15], v10, s[24:25] offset:32 sc0 sc1
	global_load_dwordx2 v[0:1], v10, s[24:25] offset:40
	v_mov_b32_e32 v12, s2
	v_mov_b32_e32 v13, s3
	s_waitcnt vmcnt(0)
	v_readfirstlane_b32 s6, v0
	v_readfirstlane_b32 s7, v1
	s_and_b64 s[6:7], s[6:7], s[2:3]
	s_mul_i32 s7, s7, 24
	s_mul_hi_u32 s8, s6, 24
	s_mul_i32 s6, s6, 24
	s_add_i32 s7, s8, s7
	v_lshl_add_u64 v[4:5], v[4:5], 0, s[6:7]
	global_store_dwordx2 v[4:5], v[14:15], off
	buffer_wbl2 sc0 sc1
	s_waitcnt vmcnt(0)
	global_atomic_cmpswap_x2 v[2:3], v10, v[12:15], s[24:25] offset:32 sc0 sc1
	s_waitcnt vmcnt(0)
	v_cmp_ne_u64_e32 vcc, v[2:3], v[14:15]
	s_and_saveexec_b64 s[6:7], vcc
	s_cbranch_execz .LBB10_292
; %bb.290:
	s_mov_b64 s[8:9], 0
.LBB10_291:                             ; =>This Inner Loop Header: Depth=1
	s_sleep 1
	global_store_dwordx2 v[4:5], v[2:3], off
	v_mov_b32_e32 v0, s2
	v_mov_b32_e32 v1, s3
	buffer_wbl2 sc0 sc1
	s_waitcnt vmcnt(0)
	global_atomic_cmpswap_x2 v[0:1], v10, v[0:3], s[24:25] offset:32 sc0 sc1
	s_waitcnt vmcnt(0)
	v_cmp_eq_u64_e32 vcc, v[0:1], v[2:3]
	s_or_b64 s[8:9], vcc, s[8:9]
	v_mov_b64_e32 v[2:3], v[0:1]
	s_andn2_b64 exec, exec, s[8:9]
	s_cbranch_execnz .LBB10_291
.LBB10_292:
	s_or_b64 exec, exec, s[6:7]
	v_mov_b32_e32 v3, 0
	global_load_dwordx2 v[0:1], v3, s[24:25] offset:16
	s_mov_b64 s[6:7], exec
	v_mbcnt_lo_u32_b32 v2, s6, 0
	v_mbcnt_hi_u32_b32 v2, s7, v2
	v_cmp_eq_u32_e32 vcc, 0, v2
	s_and_saveexec_b64 s[8:9], vcc
	s_cbranch_execz .LBB10_294
; %bb.293:
	s_bcnt1_i32_b64 s6, s[6:7]
	v_mov_b32_e32 v2, s6
	buffer_wbl2 sc0 sc1
	s_waitcnt vmcnt(0)
	global_atomic_add_x2 v[0:1], v[2:3], off offset:8 sc1
.LBB10_294:
	s_or_b64 exec, exec, s[8:9]
	s_waitcnt vmcnt(0)
	global_load_dwordx2 v[2:3], v[0:1], off offset:16
	s_waitcnt vmcnt(0)
	v_cmp_eq_u64_e32 vcc, 0, v[2:3]
	s_cbranch_vccnz .LBB10_296
; %bb.295:
	global_load_dword v0, v[0:1], off offset:24
	v_mov_b32_e32 v1, 0
	buffer_wbl2 sc0 sc1
	s_waitcnt vmcnt(0)
	global_store_dwordx2 v[2:3], v[0:1], off sc0 sc1
	v_and_b32_e32 v0, 0xffffff, v0
	s_nop 0
	v_readfirstlane_b32 m0, v0
	s_sendmsg sendmsg(MSG_INTERRUPT)
.LBB10_296:
	s_or_b64 exec, exec, s[4:5]
	v_lshl_add_u64 v[0:1], v[6:7], 0, v[44:45]
	s_branch .LBB10_300
.LBB10_297:                             ;   in Loop: Header=BB10_300 Depth=1
	s_or_b64 exec, exec, s[4:5]
	v_readfirstlane_b32 s4, v2
	s_cmp_eq_u32 s4, 0
	s_cbranch_scc1 .LBB10_299
; %bb.298:                              ;   in Loop: Header=BB10_300 Depth=1
	s_sleep 1
	s_cbranch_execnz .LBB10_300
	s_branch .LBB10_302
.LBB10_299:
	s_branch .LBB10_302
.LBB10_300:                             ; =>This Inner Loop Header: Depth=1
	v_mov_b32_e32 v2, 1
	s_and_saveexec_b64 s[4:5], s[0:1]
	s_cbranch_execz .LBB10_297
; %bb.301:                              ;   in Loop: Header=BB10_300 Depth=1
	global_load_dword v2, v[8:9], off offset:20 sc0 sc1
	s_waitcnt vmcnt(0)
	buffer_inv sc0 sc1
	v_and_b32_e32 v2, 1, v2
	s_branch .LBB10_297
.LBB10_302:
	global_load_dwordx2 v[2:3], v[0:1], off
	s_and_saveexec_b64 s[4:5], s[0:1]
	s_cbranch_execz .LBB10_305
; %bb.303:
	v_mov_b32_e32 v8, 0
	global_load_dwordx2 v[0:1], v8, s[24:25] offset:40
	global_load_dwordx2 v[10:11], v8, s[24:25] offset:24 sc0 sc1
	global_load_dwordx2 v[12:13], v8, s[24:25]
	s_mov_b64 s[0:1], 0
	s_waitcnt vmcnt(0)
	v_lshl_add_u64 v[4:5], v[0:1], 0, 1
	v_lshl_add_u64 v[14:15], v[4:5], 0, s[2:3]
	v_cmp_eq_u64_e32 vcc, 0, v[14:15]
	v_mov_b32_e32 v6, v10
	s_nop 0
	v_cndmask_b32_e32 v5, v15, v5, vcc
	v_cndmask_b32_e32 v4, v14, v4, vcc
	v_and_b32_e32 v1, v5, v1
	v_and_b32_e32 v0, v4, v0
	v_mul_lo_u32 v1, v1, 24
	v_mul_hi_u32 v7, v0, 24
	v_mul_lo_u32 v0, v0, 24
	v_add_u32_e32 v1, v7, v1
	v_lshl_add_u64 v[0:1], v[12:13], 0, v[0:1]
	global_store_dwordx2 v[0:1], v[10:11], off
	v_mov_b32_e32 v7, v11
	buffer_wbl2 sc0 sc1
	s_waitcnt vmcnt(0)
	global_atomic_cmpswap_x2 v[6:7], v8, v[4:7], s[24:25] offset:24 sc0 sc1
	s_waitcnt vmcnt(0)
	v_cmp_ne_u64_e32 vcc, v[6:7], v[10:11]
	s_and_b64 exec, exec, vcc
	s_cbranch_execz .LBB10_305
.LBB10_304:                             ; =>This Inner Loop Header: Depth=1
	s_sleep 1
	global_store_dwordx2 v[0:1], v[6:7], off
	buffer_wbl2 sc0 sc1
	s_waitcnt vmcnt(0)
	global_atomic_cmpswap_x2 v[10:11], v8, v[4:7], s[24:25] offset:24 sc0 sc1
	s_waitcnt vmcnt(0)
	v_cmp_eq_u64_e32 vcc, v[10:11], v[6:7]
	s_or_b64 s[0:1], vcc, s[0:1]
	v_mov_b64_e32 v[6:7], v[10:11]
	s_andn2_b64 exec, exec, s[0:1]
	s_cbranch_execnz .LBB10_304
.LBB10_305:
	s_or_b64 exec, exec, s[4:5]
.LBB10_306:
	v_readfirstlane_b32 s0, v46
	s_waitcnt vmcnt(0)
	v_mov_b64_e32 v[0:1], 0
	v_cmp_eq_u32_e64 s[0:1], s0, v46
	s_and_saveexec_b64 s[2:3], s[0:1]
	s_cbranch_execz .LBB10_312
; %bb.307:
	v_mov_b32_e32 v4, 0
	global_load_dwordx2 v[8:9], v4, s[24:25] offset:24 sc0 sc1
	s_waitcnt vmcnt(0)
	buffer_inv sc0 sc1
	global_load_dwordx2 v[0:1], v4, s[24:25] offset:40
	global_load_dwordx2 v[6:7], v4, s[24:25]
	s_waitcnt vmcnt(0)
	v_and_b32_e32 v0, v0, v8
	v_and_b32_e32 v1, v1, v9
	v_mul_lo_u32 v1, v1, 24
	v_mul_hi_u32 v5, v0, 24
	v_add_u32_e32 v1, v5, v1
	v_mul_lo_u32 v0, v0, 24
	v_lshl_add_u64 v[0:1], v[6:7], 0, v[0:1]
	global_load_dwordx2 v[6:7], v[0:1], off sc0 sc1
	s_waitcnt vmcnt(0)
	global_atomic_cmpswap_x2 v[0:1], v4, v[6:9], s[24:25] offset:24 sc0 sc1
	s_waitcnt vmcnt(0)
	buffer_inv sc0 sc1
	v_cmp_ne_u64_e32 vcc, v[0:1], v[8:9]
	s_and_saveexec_b64 s[4:5], vcc
	s_cbranch_execz .LBB10_311
; %bb.308:
	s_mov_b64 s[6:7], 0
.LBB10_309:                             ; =>This Inner Loop Header: Depth=1
	s_sleep 1
	global_load_dwordx2 v[6:7], v4, s[24:25] offset:40
	global_load_dwordx2 v[10:11], v4, s[24:25]
	v_mov_b64_e32 v[8:9], v[0:1]
	s_waitcnt vmcnt(0)
	v_and_b32_e32 v0, v6, v8
	v_mad_u64_u32 v[0:1], s[8:9], v0, 24, v[10:11]
	v_and_b32_e32 v5, v7, v9
	v_mov_b32_e32 v6, v1
	v_mad_u64_u32 v[6:7], s[8:9], v5, 24, v[6:7]
	v_mov_b32_e32 v1, v6
	global_load_dwordx2 v[6:7], v[0:1], off sc0 sc1
	s_waitcnt vmcnt(0)
	global_atomic_cmpswap_x2 v[0:1], v4, v[6:9], s[24:25] offset:24 sc0 sc1
	s_waitcnt vmcnt(0)
	buffer_inv sc0 sc1
	v_cmp_eq_u64_e32 vcc, v[0:1], v[8:9]
	s_or_b64 s[6:7], vcc, s[6:7]
	s_andn2_b64 exec, exec, s[6:7]
	s_cbranch_execnz .LBB10_309
; %bb.310:
	s_or_b64 exec, exec, s[6:7]
.LBB10_311:
	s_or_b64 exec, exec, s[4:5]
.LBB10_312:
	s_or_b64 exec, exec, s[2:3]
	v_mov_b32_e32 v10, 0
	global_load_dwordx2 v[4:5], v10, s[24:25] offset:40
	global_load_dwordx4 v[6:9], v10, s[24:25]
	v_readfirstlane_b32 s2, v0
	v_readfirstlane_b32 s3, v1
	s_mov_b64 s[4:5], exec
	s_waitcnt vmcnt(0)
	v_readfirstlane_b32 s6, v4
	v_readfirstlane_b32 s7, v5
	s_and_b64 s[6:7], s[2:3], s[6:7]
	s_mul_i32 s8, s7, 24
	s_mul_hi_u32 s9, s6, 24
	s_add_i32 s9, s9, s8
	s_mul_i32 s8, s6, 24
	v_lshl_add_u64 v[10:11], v[6:7], 0, s[8:9]
	s_and_saveexec_b64 s[8:9], s[0:1]
	s_cbranch_execz .LBB10_314
; %bb.313:
	v_mov_b64_e32 v[12:13], s[4:5]
	v_mov_b32_e32 v14, 2
	v_mov_b32_e32 v15, 1
	global_store_dwordx4 v[10:11], v[12:15], off offset:8
.LBB10_314:
	s_or_b64 exec, exec, s[8:9]
	s_lshl_b64 s[4:5], s[6:7], 12
	v_lshl_add_u64 v[0:1], v[8:9], 0, s[4:5]
	s_movk_i32 s4, 0xff1d
	v_and_or_b32 v2, v2, s4, 34
	s_mov_b32 s4, 0
	s_waitcnt lgkmcnt(0)
	v_ashrrev_i32_e32 v5, 31, v29
	v_mov_b32_e32 v4, v29
	v_readfirstlane_b32 s8, v0
	v_readfirstlane_b32 s9, v1
	s_mov_b32 s5, s4
	s_mov_b32 s6, s4
	;; [unrolled: 1-line block ×3, first 2 shown]
	s_nop 1
	global_store_dwordx4 v44, v[2:5], s[8:9]
	v_mov_b64_e32 v[0:1], s[4:5]
	s_nop 0
	v_mov_b64_e32 v[2:3], s[6:7]
	global_store_dwordx4 v44, v[0:3], s[8:9] offset:16
	global_store_dwordx4 v44, v[0:3], s[8:9] offset:32
	;; [unrolled: 1-line block ×3, first 2 shown]
	s_and_saveexec_b64 s[4:5], s[0:1]
	s_cbranch_execz .LBB10_322
; %bb.315:
	v_mov_b32_e32 v8, 0
	global_load_dwordx2 v[14:15], v8, s[24:25] offset:32 sc0 sc1
	global_load_dwordx2 v[0:1], v8, s[24:25] offset:40
	v_mov_b32_e32 v12, s2
	v_mov_b32_e32 v13, s3
	s_waitcnt vmcnt(0)
	v_readfirstlane_b32 s6, v0
	v_readfirstlane_b32 s7, v1
	s_and_b64 s[6:7], s[6:7], s[2:3]
	s_mul_i32 s7, s7, 24
	s_mul_hi_u32 s8, s6, 24
	s_mul_i32 s6, s6, 24
	s_add_i32 s7, s8, s7
	v_lshl_add_u64 v[4:5], v[6:7], 0, s[6:7]
	global_store_dwordx2 v[4:5], v[14:15], off
	buffer_wbl2 sc0 sc1
	s_waitcnt vmcnt(0)
	global_atomic_cmpswap_x2 v[2:3], v8, v[12:15], s[24:25] offset:32 sc0 sc1
	s_waitcnt vmcnt(0)
	v_cmp_ne_u64_e32 vcc, v[2:3], v[14:15]
	s_and_saveexec_b64 s[6:7], vcc
	s_cbranch_execz .LBB10_318
; %bb.316:
	s_mov_b64 s[8:9], 0
.LBB10_317:                             ; =>This Inner Loop Header: Depth=1
	s_sleep 1
	global_store_dwordx2 v[4:5], v[2:3], off
	v_mov_b32_e32 v0, s2
	v_mov_b32_e32 v1, s3
	buffer_wbl2 sc0 sc1
	s_waitcnt vmcnt(0)
	global_atomic_cmpswap_x2 v[0:1], v8, v[0:3], s[24:25] offset:32 sc0 sc1
	s_waitcnt vmcnt(0)
	v_cmp_eq_u64_e32 vcc, v[0:1], v[2:3]
	s_or_b64 s[8:9], vcc, s[8:9]
	v_mov_b64_e32 v[2:3], v[0:1]
	s_andn2_b64 exec, exec, s[8:9]
	s_cbranch_execnz .LBB10_317
.LBB10_318:
	s_or_b64 exec, exec, s[6:7]
	v_mov_b32_e32 v3, 0
	global_load_dwordx2 v[0:1], v3, s[24:25] offset:16
	s_mov_b64 s[6:7], exec
	v_mbcnt_lo_u32_b32 v2, s6, 0
	v_mbcnt_hi_u32_b32 v2, s7, v2
	v_cmp_eq_u32_e32 vcc, 0, v2
	s_and_saveexec_b64 s[8:9], vcc
	s_cbranch_execz .LBB10_320
; %bb.319:
	s_bcnt1_i32_b64 s6, s[6:7]
	v_mov_b32_e32 v2, s6
	buffer_wbl2 sc0 sc1
	s_waitcnt vmcnt(0)
	global_atomic_add_x2 v[0:1], v[2:3], off offset:8 sc1
.LBB10_320:
	s_or_b64 exec, exec, s[8:9]
	s_waitcnt vmcnt(0)
	global_load_dwordx2 v[2:3], v[0:1], off offset:16
	s_waitcnt vmcnt(0)
	v_cmp_eq_u64_e32 vcc, 0, v[2:3]
	s_cbranch_vccnz .LBB10_322
; %bb.321:
	global_load_dword v0, v[0:1], off offset:24
	v_mov_b32_e32 v1, 0
	buffer_wbl2 sc0 sc1
	s_waitcnt vmcnt(0)
	global_store_dwordx2 v[2:3], v[0:1], off sc0 sc1
	v_and_b32_e32 v0, 0xffffff, v0
	s_nop 0
	v_readfirstlane_b32 m0, v0
	s_sendmsg sendmsg(MSG_INTERRUPT)
.LBB10_322:
	s_or_b64 exec, exec, s[4:5]
	s_branch .LBB10_326
.LBB10_323:                             ;   in Loop: Header=BB10_326 Depth=1
	s_or_b64 exec, exec, s[4:5]
	v_readfirstlane_b32 s4, v0
	s_cmp_eq_u32 s4, 0
	s_cbranch_scc1 .LBB10_325
; %bb.324:                              ;   in Loop: Header=BB10_326 Depth=1
	s_sleep 1
	s_cbranch_execnz .LBB10_326
	s_branch .LBB10_328
.LBB10_325:
	s_branch .LBB10_328
.LBB10_326:                             ; =>This Inner Loop Header: Depth=1
	v_mov_b32_e32 v0, 1
	s_and_saveexec_b64 s[4:5], s[0:1]
	s_cbranch_execz .LBB10_323
; %bb.327:                              ;   in Loop: Header=BB10_326 Depth=1
	global_load_dword v0, v[10:11], off offset:20 sc0 sc1
	s_waitcnt vmcnt(0)
	buffer_inv sc0 sc1
	v_and_b32_e32 v0, 1, v0
	s_branch .LBB10_323
.LBB10_328:
	s_and_saveexec_b64 s[4:5], s[0:1]
	s_cbranch_execz .LBB10_331
; %bb.329:
	v_mov_b32_e32 v6, 0
	global_load_dwordx2 v[4:5], v6, s[24:25] offset:40
	global_load_dwordx2 v[8:9], v6, s[24:25] offset:24 sc0 sc1
	global_load_dwordx2 v[10:11], v6, s[24:25]
	s_mov_b64 s[0:1], 0
	s_waitcnt vmcnt(2)
	v_lshl_add_u64 v[0:1], v[4:5], 0, 1
	v_lshl_add_u64 v[12:13], v[0:1], 0, s[2:3]
	v_cmp_eq_u64_e32 vcc, 0, v[12:13]
	s_waitcnt vmcnt(1)
	v_mov_b32_e32 v2, v8
	v_cndmask_b32_e32 v1, v13, v1, vcc
	v_cndmask_b32_e32 v0, v12, v0, vcc
	v_and_b32_e32 v3, v1, v5
	v_and_b32_e32 v4, v0, v4
	v_mul_lo_u32 v3, v3, 24
	v_mul_hi_u32 v5, v4, 24
	v_mul_lo_u32 v4, v4, 24
	v_add_u32_e32 v5, v5, v3
	s_waitcnt vmcnt(0)
	v_lshl_add_u64 v[4:5], v[10:11], 0, v[4:5]
	global_store_dwordx2 v[4:5], v[8:9], off
	v_mov_b32_e32 v3, v9
	buffer_wbl2 sc0 sc1
	s_waitcnt vmcnt(0)
	global_atomic_cmpswap_x2 v[2:3], v6, v[0:3], s[24:25] offset:24 sc0 sc1
	s_waitcnt vmcnt(0)
	v_cmp_ne_u64_e32 vcc, v[2:3], v[8:9]
	s_and_b64 exec, exec, vcc
	s_cbranch_execz .LBB10_331
.LBB10_330:                             ; =>This Inner Loop Header: Depth=1
	s_sleep 1
	global_store_dwordx2 v[4:5], v[2:3], off
	buffer_wbl2 sc0 sc1
	s_waitcnt vmcnt(0)
	global_atomic_cmpswap_x2 v[8:9], v6, v[0:3], s[24:25] offset:24 sc0 sc1
	s_waitcnt vmcnt(0)
	v_cmp_eq_u64_e32 vcc, v[8:9], v[2:3]
	s_or_b64 s[0:1], vcc, s[0:1]
	v_mov_b64_e32 v[2:3], v[8:9]
	s_andn2_b64 exec, exec, s[0:1]
	s_cbranch_execnz .LBB10_330
.LBB10_331:
	s_or_b64 exec, exec, s[4:5]
	s_getpc_b64 s[0:1]
	s_add_u32 s0, s0, .str.11@rel32@lo+4
	s_addc_u32 s1, s1, .str.11@rel32@hi+12
	s_mov_b64 s[8:9], s[18:19]
	v_mov_b32_e32 v0, s0
	v_mov_b32_e32 v1, s1
	s_getpc_b64 s[2:3]
	s_add_u32 s2, s2, _ZNK8migraphx13basic_printerIZNS_4coutEvEUlT_E_ElsEPKc@rel32@lo+4
	s_addc_u32 s3, s3, _ZNK8migraphx13basic_printerIZNS_4coutEvEUlT_E_ElsEPKc@rel32@hi+12
	s_swappc_b64 s[30:31], s[2:3]
	flat_load_dword v29, v[38:39] offset:4
	v_readfirstlane_b32 s0, v46
	v_mov_b64_e32 v[4:5], 0
	s_nop 0
	v_cmp_eq_u32_e64 s[0:1], s0, v46
	s_and_saveexec_b64 s[2:3], s[0:1]
	s_cbranch_execz .LBB10_337
; %bb.332:
	v_mov_b32_e32 v0, 0
	global_load_dwordx2 v[6:7], v0, s[24:25] offset:24 sc0 sc1
	s_waitcnt vmcnt(0)
	buffer_inv sc0 sc1
	global_load_dwordx2 v[2:3], v0, s[24:25] offset:40
	global_load_dwordx2 v[4:5], v0, s[24:25]
	s_waitcnt vmcnt(0)
	v_and_b32_e32 v1, v2, v6
	v_and_b32_e32 v2, v3, v7
	v_mul_lo_u32 v2, v2, 24
	v_mul_hi_u32 v3, v1, 24
	v_add_u32_e32 v3, v3, v2
	v_mul_lo_u32 v2, v1, 24
	v_lshl_add_u64 v[2:3], v[4:5], 0, v[2:3]
	global_load_dwordx2 v[4:5], v[2:3], off sc0 sc1
	s_waitcnt vmcnt(0)
	global_atomic_cmpswap_x2 v[4:5], v0, v[4:7], s[24:25] offset:24 sc0 sc1
	s_waitcnt vmcnt(0)
	buffer_inv sc0 sc1
	v_cmp_ne_u64_e32 vcc, v[4:5], v[6:7]
	s_and_saveexec_b64 s[4:5], vcc
	s_cbranch_execz .LBB10_336
; %bb.333:
	s_mov_b64 s[6:7], 0
.LBB10_334:                             ; =>This Inner Loop Header: Depth=1
	s_sleep 1
	global_load_dwordx2 v[2:3], v0, s[24:25] offset:40
	global_load_dwordx2 v[8:9], v0, s[24:25]
	v_mov_b64_e32 v[6:7], v[4:5]
	s_waitcnt vmcnt(0)
	v_and_b32_e32 v2, v2, v6
	v_and_b32_e32 v1, v3, v7
	v_mad_u64_u32 v[2:3], s[8:9], v2, 24, v[8:9]
	v_mov_b32_e32 v4, v3
	v_mad_u64_u32 v[4:5], s[8:9], v1, 24, v[4:5]
	v_mov_b32_e32 v3, v4
	global_load_dwordx2 v[4:5], v[2:3], off sc0 sc1
	s_waitcnt vmcnt(0)
	global_atomic_cmpswap_x2 v[4:5], v0, v[4:7], s[24:25] offset:24 sc0 sc1
	s_waitcnt vmcnt(0)
	buffer_inv sc0 sc1
	v_cmp_eq_u64_e32 vcc, v[4:5], v[6:7]
	s_or_b64 s[6:7], vcc, s[6:7]
	s_andn2_b64 exec, exec, s[6:7]
	s_cbranch_execnz .LBB10_334
; %bb.335:
	s_or_b64 exec, exec, s[6:7]
.LBB10_336:
	s_or_b64 exec, exec, s[4:5]
.LBB10_337:
	s_or_b64 exec, exec, s[2:3]
	v_mov_b32_e32 v45, 0
	global_load_dwordx2 v[6:7], v45, s[24:25] offset:40
	global_load_dwordx4 v[0:3], v45, s[24:25]
	v_readfirstlane_b32 s2, v4
	v_readfirstlane_b32 s3, v5
	s_mov_b64 s[4:5], exec
	s_waitcnt vmcnt(0)
	v_readfirstlane_b32 s6, v6
	v_readfirstlane_b32 s7, v7
	s_and_b64 s[6:7], s[2:3], s[6:7]
	s_mul_i32 s8, s7, 24
	s_mul_hi_u32 s9, s6, 24
	s_add_i32 s9, s9, s8
	s_mul_i32 s8, s6, 24
	v_lshl_add_u64 v[4:5], v[0:1], 0, s[8:9]
	s_and_saveexec_b64 s[8:9], s[0:1]
	s_cbranch_execz .LBB10_339
; %bb.338:
	v_mov_b64_e32 v[6:7], s[4:5]
	v_mov_b32_e32 v8, 2
	v_mov_b32_e32 v9, 1
	global_store_dwordx4 v[4:5], v[6:9], off offset:8
.LBB10_339:
	s_or_b64 exec, exec, s[8:9]
	s_lshl_b64 s[4:5], s[6:7], 12
	v_lshl_add_u64 v[6:7], v[2:3], 0, s[4:5]
	s_mov_b32 s4, 0
	v_mov_b32_e32 v8, 33
	v_mov_b32_e32 v9, v45
	;; [unrolled: 1-line block ×4, first 2 shown]
	v_readfirstlane_b32 s8, v6
	v_readfirstlane_b32 s9, v7
	s_mov_b32 s6, s4
	s_mov_b32 s7, s4
	;; [unrolled: 1-line block ×3, first 2 shown]
	s_nop 1
	global_store_dwordx4 v44, v[8:11], s[8:9]
	s_nop 1
	v_mov_b64_e32 v[10:11], s[6:7]
	v_mov_b64_e32 v[8:9], s[4:5]
	global_store_dwordx4 v44, v[8:11], s[8:9] offset:16
	global_store_dwordx4 v44, v[8:11], s[8:9] offset:32
	;; [unrolled: 1-line block ×3, first 2 shown]
	s_and_saveexec_b64 s[4:5], s[0:1]
	s_cbranch_execz .LBB10_347
; %bb.340:
	v_mov_b32_e32 v10, 0
	global_load_dwordx2 v[14:15], v10, s[24:25] offset:32 sc0 sc1
	global_load_dwordx2 v[2:3], v10, s[24:25] offset:40
	v_mov_b32_e32 v12, s2
	v_mov_b32_e32 v13, s3
	s_waitcnt vmcnt(0)
	v_readfirstlane_b32 s6, v2
	v_readfirstlane_b32 s7, v3
	s_and_b64 s[6:7], s[6:7], s[2:3]
	s_mul_i32 s7, s7, 24
	s_mul_hi_u32 s8, s6, 24
	s_mul_i32 s6, s6, 24
	s_add_i32 s7, s8, s7
	v_lshl_add_u64 v[8:9], v[0:1], 0, s[6:7]
	global_store_dwordx2 v[8:9], v[14:15], off
	buffer_wbl2 sc0 sc1
	s_waitcnt vmcnt(0)
	global_atomic_cmpswap_x2 v[2:3], v10, v[12:15], s[24:25] offset:32 sc0 sc1
	s_waitcnt vmcnt(0)
	v_cmp_ne_u64_e32 vcc, v[2:3], v[14:15]
	s_and_saveexec_b64 s[6:7], vcc
	s_cbranch_execz .LBB10_343
; %bb.341:
	s_mov_b64 s[8:9], 0
.LBB10_342:                             ; =>This Inner Loop Header: Depth=1
	s_sleep 1
	global_store_dwordx2 v[8:9], v[2:3], off
	v_mov_b32_e32 v0, s2
	v_mov_b32_e32 v1, s3
	buffer_wbl2 sc0 sc1
	s_waitcnt vmcnt(0)
	global_atomic_cmpswap_x2 v[0:1], v10, v[0:3], s[24:25] offset:32 sc0 sc1
	s_waitcnt vmcnt(0)
	v_cmp_eq_u64_e32 vcc, v[0:1], v[2:3]
	s_or_b64 s[8:9], vcc, s[8:9]
	v_mov_b64_e32 v[2:3], v[0:1]
	s_andn2_b64 exec, exec, s[8:9]
	s_cbranch_execnz .LBB10_342
.LBB10_343:
	s_or_b64 exec, exec, s[6:7]
	v_mov_b32_e32 v3, 0
	global_load_dwordx2 v[0:1], v3, s[24:25] offset:16
	s_mov_b64 s[6:7], exec
	v_mbcnt_lo_u32_b32 v2, s6, 0
	v_mbcnt_hi_u32_b32 v2, s7, v2
	v_cmp_eq_u32_e32 vcc, 0, v2
	s_and_saveexec_b64 s[8:9], vcc
	s_cbranch_execz .LBB10_345
; %bb.344:
	s_bcnt1_i32_b64 s6, s[6:7]
	v_mov_b32_e32 v2, s6
	buffer_wbl2 sc0 sc1
	s_waitcnt vmcnt(0)
	global_atomic_add_x2 v[0:1], v[2:3], off offset:8 sc1
.LBB10_345:
	s_or_b64 exec, exec, s[8:9]
	s_waitcnt vmcnt(0)
	global_load_dwordx2 v[2:3], v[0:1], off offset:16
	s_waitcnt vmcnt(0)
	v_cmp_eq_u64_e32 vcc, 0, v[2:3]
	s_cbranch_vccnz .LBB10_347
; %bb.346:
	global_load_dword v0, v[0:1], off offset:24
	v_mov_b32_e32 v1, 0
	buffer_wbl2 sc0 sc1
	s_waitcnt vmcnt(0)
	global_store_dwordx2 v[2:3], v[0:1], off sc0 sc1
	v_and_b32_e32 v0, 0xffffff, v0
	s_nop 0
	v_readfirstlane_b32 m0, v0
	s_sendmsg sendmsg(MSG_INTERRUPT)
.LBB10_347:
	s_or_b64 exec, exec, s[4:5]
	v_lshl_add_u64 v[0:1], v[6:7], 0, v[44:45]
	s_branch .LBB10_351
.LBB10_348:                             ;   in Loop: Header=BB10_351 Depth=1
	s_or_b64 exec, exec, s[4:5]
	v_readfirstlane_b32 s4, v2
	s_cmp_eq_u32 s4, 0
	s_cbranch_scc1 .LBB10_350
; %bb.349:                              ;   in Loop: Header=BB10_351 Depth=1
	s_sleep 1
	s_cbranch_execnz .LBB10_351
	s_branch .LBB10_353
.LBB10_350:
	s_branch .LBB10_353
.LBB10_351:                             ; =>This Inner Loop Header: Depth=1
	v_mov_b32_e32 v2, 1
	s_and_saveexec_b64 s[4:5], s[0:1]
	s_cbranch_execz .LBB10_348
; %bb.352:                              ;   in Loop: Header=BB10_351 Depth=1
	global_load_dword v2, v[4:5], off offset:20 sc0 sc1
	s_waitcnt vmcnt(0)
	buffer_inv sc0 sc1
	v_and_b32_e32 v2, 1, v2
	s_branch .LBB10_348
.LBB10_353:
	global_load_dwordx2 v[0:1], v[0:1], off
	s_and_saveexec_b64 s[4:5], s[0:1]
	s_cbranch_execz .LBB10_356
; %bb.354:
	v_mov_b32_e32 v8, 0
	global_load_dwordx2 v[6:7], v8, s[24:25] offset:40
	global_load_dwordx2 v[10:11], v8, s[24:25] offset:24 sc0 sc1
	global_load_dwordx2 v[12:13], v8, s[24:25]
	s_mov_b64 s[0:1], 0
	s_waitcnt vmcnt(0)
	v_lshl_add_u64 v[2:3], v[6:7], 0, 1
	v_lshl_add_u64 v[14:15], v[2:3], 0, s[2:3]
	v_cmp_eq_u64_e32 vcc, 0, v[14:15]
	v_mov_b32_e32 v4, v10
	s_nop 0
	v_cndmask_b32_e32 v3, v15, v3, vcc
	v_cndmask_b32_e32 v2, v14, v2, vcc
	v_and_b32_e32 v5, v3, v7
	v_and_b32_e32 v6, v2, v6
	v_mul_lo_u32 v5, v5, 24
	v_mul_hi_u32 v7, v6, 24
	v_mul_lo_u32 v6, v6, 24
	v_add_u32_e32 v7, v7, v5
	v_lshl_add_u64 v[6:7], v[12:13], 0, v[6:7]
	global_store_dwordx2 v[6:7], v[10:11], off
	v_mov_b32_e32 v5, v11
	buffer_wbl2 sc0 sc1
	s_waitcnt vmcnt(0)
	global_atomic_cmpswap_x2 v[4:5], v8, v[2:5], s[24:25] offset:24 sc0 sc1
	s_waitcnt vmcnt(0)
	v_cmp_ne_u64_e32 vcc, v[4:5], v[10:11]
	s_and_b64 exec, exec, vcc
	s_cbranch_execz .LBB10_356
.LBB10_355:                             ; =>This Inner Loop Header: Depth=1
	s_sleep 1
	global_store_dwordx2 v[6:7], v[4:5], off
	buffer_wbl2 sc0 sc1
	s_waitcnt vmcnt(0)
	global_atomic_cmpswap_x2 v[10:11], v8, v[2:5], s[24:25] offset:24 sc0 sc1
	s_waitcnt vmcnt(0)
	v_cmp_eq_u64_e32 vcc, v[10:11], v[4:5]
	s_or_b64 s[0:1], vcc, s[0:1]
	v_mov_b64_e32 v[4:5], v[10:11]
	s_andn2_b64 exec, exec, s[0:1]
	s_cbranch_execnz .LBB10_355
.LBB10_356:
	s_or_b64 exec, exec, s[4:5]
	s_andn2_b64 vcc, exec, s[26:27]
	s_cbranch_vccnz .LBB10_441
; %bb.357:
	s_waitcnt vmcnt(0)
	v_and_b32_e32 v28, 2, v0
	v_mov_b32_e32 v31, 0
	v_and_b32_e32 v2, -3, v0
	v_mov_b32_e32 v3, v1
	s_mov_b64 s[4:5], 4
	v_mov_b32_e32 v6, 2
	v_mov_b32_e32 v7, 1
	s_getpc_b64 s[2:3]
	s_add_u32 s2, s2, .str.7@rel32@lo+4
	s_addc_u32 s3, s3, .str.7@rel32@hi+12
	s_branch .LBB10_359
.LBB10_358:                             ;   in Loop: Header=BB10_359 Depth=1
	s_or_b64 exec, exec, s[10:11]
	s_sub_u32 s4, s4, s6
	s_subb_u32 s5, s5, s7
	s_add_u32 s2, s2, s6
	s_addc_u32 s3, s3, s7
	s_cmp_eq_u64 s[4:5], 0
	s_cbranch_scc1 .LBB10_440
.LBB10_359:                             ; =>This Loop Header: Depth=1
                                        ;     Child Loop BB10_362 Depth 2
                                        ;     Child Loop BB10_369 Depth 2
	;; [unrolled: 1-line block ×11, first 2 shown]
	v_cmp_lt_u64_e64 s[0:1], s[4:5], 56
	s_and_b64 s[0:1], s[0:1], exec
	v_cmp_gt_u64_e64 s[0:1], s[4:5], 7
	s_cselect_b32 s7, s5, 0
	s_cselect_b32 s6, s4, 56
	s_and_b64 vcc, exec, s[0:1]
	s_cbranch_vccnz .LBB10_364
; %bb.360:                              ;   in Loop: Header=BB10_359 Depth=1
	s_mov_b64 s[0:1], 0
	s_cmp_eq_u64 s[4:5], 0
	v_mov_b64_e32 v[10:11], 0
	s_cbranch_scc1 .LBB10_363
; %bb.361:                              ;   in Loop: Header=BB10_359 Depth=1
	s_lshl_b64 s[8:9], s[6:7], 3
	s_mov_b64 s[10:11], 0
	v_mov_b64_e32 v[10:11], 0
	s_mov_b64 s[12:13], s[2:3]
.LBB10_362:                             ;   Parent Loop BB10_359 Depth=1
                                        ; =>  This Inner Loop Header: Depth=2
	global_load_ubyte v4, v31, s[12:13]
	s_waitcnt vmcnt(0)
	v_and_b32_e32 v30, 0xffff, v4
	v_lshlrev_b64 v[4:5], s10, v[30:31]
	s_add_u32 s10, s10, 8
	s_addc_u32 s11, s11, 0
	s_add_u32 s12, s12, 1
	s_addc_u32 s13, s13, 0
	v_or_b32_e32 v10, v4, v10
	s_cmp_eq_u32 s8, s10
	v_or_b32_e32 v11, v5, v11
	s_cbranch_scc0 .LBB10_362
.LBB10_363:                             ;   in Loop: Header=BB10_359 Depth=1
	s_mov_b32 s12, 0
	s_andn2_b64 vcc, exec, s[0:1]
	s_mov_b64 s[0:1], s[2:3]
	s_cbranch_vccz .LBB10_365
	s_branch .LBB10_366
.LBB10_364:                             ;   in Loop: Header=BB10_359 Depth=1
                                        ; implicit-def: $vgpr10_vgpr11
                                        ; implicit-def: $sgpr12
	s_mov_b64 s[0:1], s[2:3]
.LBB10_365:                             ;   in Loop: Header=BB10_359 Depth=1
	global_load_dwordx2 v[10:11], v31, s[2:3]
	s_add_i32 s12, s6, -8
	s_add_u32 s0, s2, 8
	s_addc_u32 s1, s3, 0
.LBB10_366:                             ;   in Loop: Header=BB10_359 Depth=1
	s_cmp_gt_u32 s12, 7
	s_cbranch_scc1 .LBB10_370
; %bb.367:                              ;   in Loop: Header=BB10_359 Depth=1
	s_cmp_eq_u32 s12, 0
	s_cbranch_scc1 .LBB10_371
; %bb.368:                              ;   in Loop: Header=BB10_359 Depth=1
	s_mov_b64 s[8:9], 0
	v_mov_b64_e32 v[12:13], 0
	s_mov_b64 s[10:11], 0
.LBB10_369:                             ;   Parent Loop BB10_359 Depth=1
                                        ; =>  This Inner Loop Header: Depth=2
	s_add_u32 s14, s0, s10
	s_addc_u32 s15, s1, s11
	global_load_ubyte v4, v31, s[14:15]
	s_add_u32 s10, s10, 1
	s_addc_u32 s11, s11, 0
	s_waitcnt vmcnt(0)
	v_and_b32_e32 v30, 0xffff, v4
	v_lshlrev_b64 v[4:5], s8, v[30:31]
	s_add_u32 s8, s8, 8
	s_addc_u32 s9, s9, 0
	v_or_b32_e32 v12, v4, v12
	s_cmp_eq_u32 s12, s10
	v_or_b32_e32 v13, v5, v13
	s_cbranch_scc0 .LBB10_369
	s_branch .LBB10_372
.LBB10_370:                             ;   in Loop: Header=BB10_359 Depth=1
                                        ; implicit-def: $vgpr12_vgpr13
                                        ; implicit-def: $sgpr13
	s_branch .LBB10_373
.LBB10_371:                             ;   in Loop: Header=BB10_359 Depth=1
	v_mov_b64_e32 v[12:13], 0
.LBB10_372:                             ;   in Loop: Header=BB10_359 Depth=1
	s_mov_b32 s13, 0
	s_cbranch_execnz .LBB10_374
.LBB10_373:                             ;   in Loop: Header=BB10_359 Depth=1
	global_load_dwordx2 v[12:13], v31, s[0:1]
	s_add_i32 s13, s12, -8
	s_add_u32 s0, s0, 8
	s_addc_u32 s1, s1, 0
.LBB10_374:                             ;   in Loop: Header=BB10_359 Depth=1
	s_cmp_gt_u32 s13, 7
	s_cbranch_scc1 .LBB10_378
; %bb.375:                              ;   in Loop: Header=BB10_359 Depth=1
	s_cmp_eq_u32 s13, 0
	s_cbranch_scc1 .LBB10_379
; %bb.376:                              ;   in Loop: Header=BB10_359 Depth=1
	s_mov_b64 s[8:9], 0
	v_mov_b64_e32 v[14:15], 0
	s_mov_b64 s[10:11], 0
.LBB10_377:                             ;   Parent Loop BB10_359 Depth=1
                                        ; =>  This Inner Loop Header: Depth=2
	s_add_u32 s14, s0, s10
	s_addc_u32 s15, s1, s11
	global_load_ubyte v4, v31, s[14:15]
	s_add_u32 s10, s10, 1
	s_addc_u32 s11, s11, 0
	s_waitcnt vmcnt(0)
	v_and_b32_e32 v30, 0xffff, v4
	v_lshlrev_b64 v[4:5], s8, v[30:31]
	s_add_u32 s8, s8, 8
	s_addc_u32 s9, s9, 0
	v_or_b32_e32 v14, v4, v14
	s_cmp_eq_u32 s13, s10
	v_or_b32_e32 v15, v5, v15
	s_cbranch_scc0 .LBB10_377
	s_branch .LBB10_380
.LBB10_378:                             ;   in Loop: Header=BB10_359 Depth=1
                                        ; implicit-def: $sgpr12
	s_branch .LBB10_381
.LBB10_379:                             ;   in Loop: Header=BB10_359 Depth=1
	v_mov_b64_e32 v[14:15], 0
.LBB10_380:                             ;   in Loop: Header=BB10_359 Depth=1
	s_mov_b32 s12, 0
	s_cbranch_execnz .LBB10_382
.LBB10_381:                             ;   in Loop: Header=BB10_359 Depth=1
	global_load_dwordx2 v[14:15], v31, s[0:1]
	s_add_i32 s12, s13, -8
	s_add_u32 s0, s0, 8
	s_addc_u32 s1, s1, 0
.LBB10_382:                             ;   in Loop: Header=BB10_359 Depth=1
	s_cmp_gt_u32 s12, 7
	s_cbranch_scc1 .LBB10_386
; %bb.383:                              ;   in Loop: Header=BB10_359 Depth=1
	s_cmp_eq_u32 s12, 0
	s_cbranch_scc1 .LBB10_387
; %bb.384:                              ;   in Loop: Header=BB10_359 Depth=1
	s_mov_b64 s[8:9], 0
	v_mov_b64_e32 v[16:17], 0
	s_mov_b64 s[10:11], 0
.LBB10_385:                             ;   Parent Loop BB10_359 Depth=1
                                        ; =>  This Inner Loop Header: Depth=2
	s_add_u32 s14, s0, s10
	s_addc_u32 s15, s1, s11
	global_load_ubyte v4, v31, s[14:15]
	s_add_u32 s10, s10, 1
	s_addc_u32 s11, s11, 0
	s_waitcnt vmcnt(0)
	v_and_b32_e32 v30, 0xffff, v4
	v_lshlrev_b64 v[4:5], s8, v[30:31]
	s_add_u32 s8, s8, 8
	s_addc_u32 s9, s9, 0
	v_or_b32_e32 v16, v4, v16
	s_cmp_eq_u32 s12, s10
	v_or_b32_e32 v17, v5, v17
	s_cbranch_scc0 .LBB10_385
	s_branch .LBB10_388
.LBB10_386:                             ;   in Loop: Header=BB10_359 Depth=1
                                        ; implicit-def: $vgpr16_vgpr17
                                        ; implicit-def: $sgpr13
	s_branch .LBB10_389
.LBB10_387:                             ;   in Loop: Header=BB10_359 Depth=1
	v_mov_b64_e32 v[16:17], 0
.LBB10_388:                             ;   in Loop: Header=BB10_359 Depth=1
	s_mov_b32 s13, 0
	s_cbranch_execnz .LBB10_390
.LBB10_389:                             ;   in Loop: Header=BB10_359 Depth=1
	global_load_dwordx2 v[16:17], v31, s[0:1]
	s_add_i32 s13, s12, -8
	s_add_u32 s0, s0, 8
	s_addc_u32 s1, s1, 0
.LBB10_390:                             ;   in Loop: Header=BB10_359 Depth=1
	s_cmp_gt_u32 s13, 7
	s_cbranch_scc1 .LBB10_394
; %bb.391:                              ;   in Loop: Header=BB10_359 Depth=1
	s_cmp_eq_u32 s13, 0
	s_cbranch_scc1 .LBB10_395
; %bb.392:                              ;   in Loop: Header=BB10_359 Depth=1
	s_mov_b64 s[8:9], 0
	v_mov_b64_e32 v[18:19], 0
	s_mov_b64 s[10:11], 0
.LBB10_393:                             ;   Parent Loop BB10_359 Depth=1
                                        ; =>  This Inner Loop Header: Depth=2
	s_add_u32 s14, s0, s10
	s_addc_u32 s15, s1, s11
	global_load_ubyte v4, v31, s[14:15]
	s_add_u32 s10, s10, 1
	s_addc_u32 s11, s11, 0
	s_waitcnt vmcnt(0)
	v_and_b32_e32 v30, 0xffff, v4
	v_lshlrev_b64 v[4:5], s8, v[30:31]
	s_add_u32 s8, s8, 8
	s_addc_u32 s9, s9, 0
	v_or_b32_e32 v18, v4, v18
	s_cmp_eq_u32 s13, s10
	v_or_b32_e32 v19, v5, v19
	s_cbranch_scc0 .LBB10_393
	s_branch .LBB10_396
.LBB10_394:                             ;   in Loop: Header=BB10_359 Depth=1
                                        ; implicit-def: $sgpr12
	s_branch .LBB10_397
.LBB10_395:                             ;   in Loop: Header=BB10_359 Depth=1
	v_mov_b64_e32 v[18:19], 0
.LBB10_396:                             ;   in Loop: Header=BB10_359 Depth=1
	s_mov_b32 s12, 0
	s_cbranch_execnz .LBB10_398
.LBB10_397:                             ;   in Loop: Header=BB10_359 Depth=1
	global_load_dwordx2 v[18:19], v31, s[0:1]
	s_add_i32 s12, s13, -8
	s_add_u32 s0, s0, 8
	s_addc_u32 s1, s1, 0
.LBB10_398:                             ;   in Loop: Header=BB10_359 Depth=1
	s_cmp_gt_u32 s12, 7
	s_cbranch_scc1 .LBB10_402
; %bb.399:                              ;   in Loop: Header=BB10_359 Depth=1
	s_cmp_eq_u32 s12, 0
	s_cbranch_scc1 .LBB10_403
; %bb.400:                              ;   in Loop: Header=BB10_359 Depth=1
	s_mov_b64 s[8:9], 0
	v_mov_b64_e32 v[20:21], 0
	s_mov_b64 s[10:11], 0
.LBB10_401:                             ;   Parent Loop BB10_359 Depth=1
                                        ; =>  This Inner Loop Header: Depth=2
	s_add_u32 s14, s0, s10
	s_addc_u32 s15, s1, s11
	global_load_ubyte v4, v31, s[14:15]
	s_add_u32 s10, s10, 1
	s_addc_u32 s11, s11, 0
	s_waitcnt vmcnt(0)
	v_and_b32_e32 v30, 0xffff, v4
	v_lshlrev_b64 v[4:5], s8, v[30:31]
	s_add_u32 s8, s8, 8
	s_addc_u32 s9, s9, 0
	v_or_b32_e32 v20, v4, v20
	s_cmp_eq_u32 s12, s10
	v_or_b32_e32 v21, v5, v21
	s_cbranch_scc0 .LBB10_401
	s_branch .LBB10_404
.LBB10_402:                             ;   in Loop: Header=BB10_359 Depth=1
                                        ; implicit-def: $vgpr20_vgpr21
                                        ; implicit-def: $sgpr13
	s_branch .LBB10_405
.LBB10_403:                             ;   in Loop: Header=BB10_359 Depth=1
	v_mov_b64_e32 v[20:21], 0
.LBB10_404:                             ;   in Loop: Header=BB10_359 Depth=1
	s_mov_b32 s13, 0
	s_cbranch_execnz .LBB10_406
.LBB10_405:                             ;   in Loop: Header=BB10_359 Depth=1
	global_load_dwordx2 v[20:21], v31, s[0:1]
	s_add_i32 s13, s12, -8
	s_add_u32 s0, s0, 8
	s_addc_u32 s1, s1, 0
.LBB10_406:                             ;   in Loop: Header=BB10_359 Depth=1
	s_cmp_gt_u32 s13, 7
	s_cbranch_scc1 .LBB10_410
; %bb.407:                              ;   in Loop: Header=BB10_359 Depth=1
	s_cmp_eq_u32 s13, 0
	s_cbranch_scc1 .LBB10_411
; %bb.408:                              ;   in Loop: Header=BB10_359 Depth=1
	s_mov_b64 s[8:9], 0
	v_mov_b64_e32 v[22:23], 0
	s_mov_b64 s[10:11], s[0:1]
.LBB10_409:                             ;   Parent Loop BB10_359 Depth=1
                                        ; =>  This Inner Loop Header: Depth=2
	global_load_ubyte v4, v31, s[10:11]
	s_add_i32 s13, s13, -1
	s_waitcnt vmcnt(0)
	v_and_b32_e32 v30, 0xffff, v4
	v_lshlrev_b64 v[4:5], s8, v[30:31]
	s_add_u32 s8, s8, 8
	s_addc_u32 s9, s9, 0
	s_add_u32 s10, s10, 1
	s_addc_u32 s11, s11, 0
	v_or_b32_e32 v22, v4, v22
	s_cmp_eq_u32 s13, 0
	v_or_b32_e32 v23, v5, v23
	s_cbranch_scc0 .LBB10_409
	s_branch .LBB10_412
.LBB10_410:                             ;   in Loop: Header=BB10_359 Depth=1
	s_branch .LBB10_413
.LBB10_411:                             ;   in Loop: Header=BB10_359 Depth=1
	v_mov_b64_e32 v[22:23], 0
.LBB10_412:                             ;   in Loop: Header=BB10_359 Depth=1
	s_cbranch_execnz .LBB10_414
.LBB10_413:                             ;   in Loop: Header=BB10_359 Depth=1
	global_load_dwordx2 v[22:23], v31, s[0:1]
.LBB10_414:                             ;   in Loop: Header=BB10_359 Depth=1
	v_readfirstlane_b32 s0, v46
	s_waitcnt vmcnt(0)
	v_mov_b64_e32 v[4:5], 0
	v_cmp_eq_u32_e64 s[0:1], s0, v46
	s_and_saveexec_b64 s[8:9], s[0:1]
	s_cbranch_execz .LBB10_420
; %bb.415:                              ;   in Loop: Header=BB10_359 Depth=1
	global_load_dwordx2 v[26:27], v31, s[24:25] offset:24 sc0 sc1
	s_waitcnt vmcnt(0)
	buffer_inv sc0 sc1
	global_load_dwordx2 v[4:5], v31, s[24:25] offset:40
	global_load_dwordx2 v[8:9], v31, s[24:25]
	s_waitcnt vmcnt(0)
	v_and_b32_e32 v4, v4, v26
	v_and_b32_e32 v5, v5, v27
	v_mul_lo_u32 v5, v5, 24
	v_mul_hi_u32 v24, v4, 24
	v_add_u32_e32 v5, v24, v5
	v_mul_lo_u32 v4, v4, 24
	v_lshl_add_u64 v[4:5], v[8:9], 0, v[4:5]
	global_load_dwordx2 v[24:25], v[4:5], off sc0 sc1
	s_waitcnt vmcnt(0)
	global_atomic_cmpswap_x2 v[4:5], v31, v[24:27], s[24:25] offset:24 sc0 sc1
	s_waitcnt vmcnt(0)
	buffer_inv sc0 sc1
	v_cmp_ne_u64_e32 vcc, v[4:5], v[26:27]
	s_and_saveexec_b64 s[10:11], vcc
	s_cbranch_execz .LBB10_419
; %bb.416:                              ;   in Loop: Header=BB10_359 Depth=1
	s_mov_b64 s[12:13], 0
.LBB10_417:                             ;   Parent Loop BB10_359 Depth=1
                                        ; =>  This Inner Loop Header: Depth=2
	s_sleep 1
	global_load_dwordx2 v[8:9], v31, s[24:25] offset:40
	global_load_dwordx2 v[24:25], v31, s[24:25]
	v_mov_b64_e32 v[26:27], v[4:5]
	s_waitcnt vmcnt(0)
	v_and_b32_e32 v4, v8, v26
	v_mad_u64_u32 v[4:5], s[14:15], v4, 24, v[24:25]
	v_and_b32_e32 v9, v9, v27
	v_mov_b32_e32 v8, v5
	v_mad_u64_u32 v[8:9], s[14:15], v9, 24, v[8:9]
	v_mov_b32_e32 v5, v8
	global_load_dwordx2 v[24:25], v[4:5], off sc0 sc1
	s_waitcnt vmcnt(0)
	global_atomic_cmpswap_x2 v[4:5], v31, v[24:27], s[24:25] offset:24 sc0 sc1
	s_waitcnt vmcnt(0)
	buffer_inv sc0 sc1
	v_cmp_eq_u64_e32 vcc, v[4:5], v[26:27]
	s_or_b64 s[12:13], vcc, s[12:13]
	s_andn2_b64 exec, exec, s[12:13]
	s_cbranch_execnz .LBB10_417
; %bb.418:                              ;   in Loop: Header=BB10_359 Depth=1
	s_or_b64 exec, exec, s[12:13]
.LBB10_419:                             ;   in Loop: Header=BB10_359 Depth=1
	s_or_b64 exec, exec, s[10:11]
.LBB10_420:                             ;   in Loop: Header=BB10_359 Depth=1
	s_or_b64 exec, exec, s[8:9]
	global_load_dwordx2 v[8:9], v31, s[24:25] offset:40
	global_load_dwordx4 v[24:27], v31, s[24:25]
	v_readfirstlane_b32 s8, v4
	v_readfirstlane_b32 s9, v5
	s_mov_b64 s[10:11], exec
	s_waitcnt vmcnt(0)
	v_readfirstlane_b32 s12, v8
	v_readfirstlane_b32 s13, v9
	s_and_b64 s[12:13], s[8:9], s[12:13]
	s_mul_i32 s14, s13, 24
	s_mul_hi_u32 s15, s12, 24
	s_add_i32 s15, s15, s14
	s_mul_i32 s14, s12, 24
	v_lshl_add_u64 v[32:33], v[24:25], 0, s[14:15]
	s_and_saveexec_b64 s[14:15], s[0:1]
	s_cbranch_execz .LBB10_422
; %bb.421:                              ;   in Loop: Header=BB10_359 Depth=1
	v_mov_b64_e32 v[4:5], s[10:11]
	global_store_dwordx4 v[32:33], v[4:7], off offset:8
.LBB10_422:                             ;   in Loop: Header=BB10_359 Depth=1
	s_or_b64 exec, exec, s[14:15]
	s_lshl_b64 s[10:11], s[12:13], 12
	v_lshl_add_u64 v[26:27], v[26:27], 0, s[10:11]
	v_or_b32_e32 v5, v2, v28
	v_cmp_gt_u64_e64 vcc, s[4:5], 56
	s_lshl_b32 s10, s6, 2
	s_add_i32 s10, s10, 28
	v_cndmask_b32_e32 v2, v5, v2, vcc
	v_or_b32_e32 v4, 0, v3
	s_and_b32 s10, s10, 0x1e0
	v_and_b32_e32 v2, 0xffffff1f, v2
	v_cndmask_b32_e32 v9, v4, v3, vcc
	v_or_b32_e32 v8, s10, v2
	v_readfirstlane_b32 s10, v26
	v_readfirstlane_b32 s11, v27
	s_nop 4
	global_store_dwordx4 v44, v[8:11], s[10:11]
	global_store_dwordx4 v44, v[12:15], s[10:11] offset:16
	global_store_dwordx4 v44, v[16:19], s[10:11] offset:32
	global_store_dwordx4 v44, v[20:23], s[10:11] offset:48
	s_and_saveexec_b64 s[10:11], s[0:1]
	s_cbranch_execz .LBB10_430
; %bb.423:                              ;   in Loop: Header=BB10_359 Depth=1
	global_load_dwordx2 v[12:13], v31, s[24:25] offset:32 sc0 sc1
	global_load_dwordx2 v[2:3], v31, s[24:25] offset:40
	v_mov_b32_e32 v10, s8
	v_mov_b32_e32 v11, s9
	s_waitcnt vmcnt(0)
	v_readfirstlane_b32 s12, v2
	v_readfirstlane_b32 s13, v3
	s_and_b64 s[12:13], s[12:13], s[8:9]
	s_mul_i32 s13, s13, 24
	s_mul_hi_u32 s14, s12, 24
	s_mul_i32 s12, s12, 24
	s_add_i32 s13, s14, s13
	v_lshl_add_u64 v[8:9], v[24:25], 0, s[12:13]
	global_store_dwordx2 v[8:9], v[12:13], off
	buffer_wbl2 sc0 sc1
	s_waitcnt vmcnt(0)
	global_atomic_cmpswap_x2 v[4:5], v31, v[10:13], s[24:25] offset:32 sc0 sc1
	s_waitcnt vmcnt(0)
	v_cmp_ne_u64_e32 vcc, v[4:5], v[12:13]
	s_and_saveexec_b64 s[12:13], vcc
	s_cbranch_execz .LBB10_426
; %bb.424:                              ;   in Loop: Header=BB10_359 Depth=1
	s_mov_b64 s[14:15], 0
.LBB10_425:                             ;   Parent Loop BB10_359 Depth=1
                                        ; =>  This Inner Loop Header: Depth=2
	s_sleep 1
	global_store_dwordx2 v[8:9], v[4:5], off
	v_mov_b32_e32 v2, s8
	v_mov_b32_e32 v3, s9
	buffer_wbl2 sc0 sc1
	s_waitcnt vmcnt(0)
	global_atomic_cmpswap_x2 v[2:3], v31, v[2:5], s[24:25] offset:32 sc0 sc1
	s_waitcnt vmcnt(0)
	v_cmp_eq_u64_e32 vcc, v[2:3], v[4:5]
	s_or_b64 s[14:15], vcc, s[14:15]
	v_mov_b64_e32 v[4:5], v[2:3]
	s_andn2_b64 exec, exec, s[14:15]
	s_cbranch_execnz .LBB10_425
.LBB10_426:                             ;   in Loop: Header=BB10_359 Depth=1
	s_or_b64 exec, exec, s[12:13]
	global_load_dwordx2 v[2:3], v31, s[24:25] offset:16
	s_mov_b64 s[14:15], exec
	v_mbcnt_lo_u32_b32 v4, s14, 0
	v_mbcnt_hi_u32_b32 v4, s15, v4
	v_cmp_eq_u32_e32 vcc, 0, v4
	s_and_saveexec_b64 s[12:13], vcc
	s_cbranch_execz .LBB10_428
; %bb.427:                              ;   in Loop: Header=BB10_359 Depth=1
	s_bcnt1_i32_b64 s14, s[14:15]
	v_mov_b32_e32 v30, s14
	buffer_wbl2 sc0 sc1
	s_waitcnt vmcnt(0)
	global_atomic_add_x2 v[2:3], v[30:31], off offset:8 sc1
.LBB10_428:                             ;   in Loop: Header=BB10_359 Depth=1
	s_or_b64 exec, exec, s[12:13]
	s_waitcnt vmcnt(0)
	global_load_dwordx2 v[4:5], v[2:3], off offset:16
	s_waitcnt vmcnt(0)
	v_cmp_eq_u64_e32 vcc, 0, v[4:5]
	s_cbranch_vccnz .LBB10_430
; %bb.429:                              ;   in Loop: Header=BB10_359 Depth=1
	global_load_dword v30, v[2:3], off offset:24
	s_waitcnt vmcnt(0)
	v_and_b32_e32 v2, 0xffffff, v30
	s_nop 0
	v_readfirstlane_b32 m0, v2
	buffer_wbl2 sc0 sc1
	global_store_dwordx2 v[4:5], v[30:31], off sc0 sc1
	s_sendmsg sendmsg(MSG_INTERRUPT)
.LBB10_430:                             ;   in Loop: Header=BB10_359 Depth=1
	s_or_b64 exec, exec, s[10:11]
	v_mov_b32_e32 v45, v31
	v_lshl_add_u64 v[2:3], v[26:27], 0, v[44:45]
	s_branch .LBB10_434
.LBB10_431:                             ;   in Loop: Header=BB10_434 Depth=2
	s_or_b64 exec, exec, s[10:11]
	v_readfirstlane_b32 s10, v4
	s_cmp_eq_u32 s10, 0
	s_cbranch_scc1 .LBB10_433
; %bb.432:                              ;   in Loop: Header=BB10_434 Depth=2
	s_sleep 1
	s_cbranch_execnz .LBB10_434
	s_branch .LBB10_436
.LBB10_433:                             ;   in Loop: Header=BB10_359 Depth=1
	s_branch .LBB10_436
.LBB10_434:                             ;   Parent Loop BB10_359 Depth=1
                                        ; =>  This Inner Loop Header: Depth=2
	v_mov_b32_e32 v4, 1
	s_and_saveexec_b64 s[10:11], s[0:1]
	s_cbranch_execz .LBB10_431
; %bb.435:                              ;   in Loop: Header=BB10_434 Depth=2
	global_load_dword v4, v[32:33], off offset:20 sc0 sc1
	s_waitcnt vmcnt(0)
	buffer_inv sc0 sc1
	v_and_b32_e32 v4, 1, v4
	s_branch .LBB10_431
.LBB10_436:                             ;   in Loop: Header=BB10_359 Depth=1
	global_load_dwordx4 v[2:5], v[2:3], off
	s_and_saveexec_b64 s[10:11], s[0:1]
	s_cbranch_execz .LBB10_358
; %bb.437:                              ;   in Loop: Header=BB10_359 Depth=1
	global_load_dwordx2 v[4:5], v31, s[24:25] offset:40
	global_load_dwordx2 v[12:13], v31, s[24:25] offset:24 sc0 sc1
	global_load_dwordx2 v[14:15], v31, s[24:25]
	s_waitcnt vmcnt(0)
	v_lshl_add_u64 v[8:9], v[4:5], 0, 1
	v_lshl_add_u64 v[16:17], v[8:9], 0, s[8:9]
	v_cmp_eq_u64_e32 vcc, 0, v[16:17]
	v_mov_b32_e32 v10, v12
	s_nop 0
	v_cndmask_b32_e32 v9, v17, v9, vcc
	v_cndmask_b32_e32 v8, v16, v8, vcc
	v_and_b32_e32 v5, v9, v5
	v_and_b32_e32 v4, v8, v4
	v_mul_lo_u32 v5, v5, 24
	v_mul_hi_u32 v11, v4, 24
	v_mul_lo_u32 v4, v4, 24
	v_add_u32_e32 v5, v11, v5
	v_lshl_add_u64 v[4:5], v[14:15], 0, v[4:5]
	global_store_dwordx2 v[4:5], v[12:13], off
	v_mov_b32_e32 v11, v13
	buffer_wbl2 sc0 sc1
	s_waitcnt vmcnt(0)
	global_atomic_cmpswap_x2 v[10:11], v31, v[8:11], s[24:25] offset:24 sc0 sc1
	s_waitcnt vmcnt(0)
	v_cmp_ne_u64_e32 vcc, v[10:11], v[12:13]
	s_and_b64 exec, exec, vcc
	s_cbranch_execz .LBB10_358
; %bb.438:                              ;   in Loop: Header=BB10_359 Depth=1
	s_mov_b64 s[0:1], 0
.LBB10_439:                             ;   Parent Loop BB10_359 Depth=1
                                        ; =>  This Inner Loop Header: Depth=2
	s_sleep 1
	global_store_dwordx2 v[4:5], v[10:11], off
	buffer_wbl2 sc0 sc1
	s_waitcnt vmcnt(0)
	global_atomic_cmpswap_x2 v[12:13], v31, v[8:11], s[24:25] offset:24 sc0 sc1
	s_waitcnt vmcnt(0)
	v_cmp_eq_u64_e32 vcc, v[12:13], v[10:11]
	s_or_b64 s[0:1], vcc, s[0:1]
	v_mov_b64_e32 v[10:11], v[12:13]
	s_andn2_b64 exec, exec, s[0:1]
	s_cbranch_execnz .LBB10_439
	s_branch .LBB10_358
.LBB10_440:
	s_branch .LBB10_468
.LBB10_441:
                                        ; implicit-def: $vgpr2_vgpr3
	s_cbranch_execz .LBB10_468
; %bb.442:
	v_readfirstlane_b32 s0, v46
	s_waitcnt vmcnt(0)
	v_mov_b64_e32 v[2:3], 0
	v_cmp_eq_u32_e64 s[0:1], s0, v46
	s_and_saveexec_b64 s[2:3], s[0:1]
	s_cbranch_execz .LBB10_448
; %bb.443:
	v_mov_b32_e32 v4, 0
	global_load_dwordx2 v[8:9], v4, s[24:25] offset:24 sc0 sc1
	s_waitcnt vmcnt(0)
	buffer_inv sc0 sc1
	global_load_dwordx2 v[2:3], v4, s[24:25] offset:40
	global_load_dwordx2 v[6:7], v4, s[24:25]
	s_waitcnt vmcnt(0)
	v_and_b32_e32 v2, v2, v8
	v_and_b32_e32 v3, v3, v9
	v_mul_lo_u32 v3, v3, 24
	v_mul_hi_u32 v5, v2, 24
	v_add_u32_e32 v3, v5, v3
	v_mul_lo_u32 v2, v2, 24
	v_lshl_add_u64 v[2:3], v[6:7], 0, v[2:3]
	global_load_dwordx2 v[6:7], v[2:3], off sc0 sc1
	s_waitcnt vmcnt(0)
	global_atomic_cmpswap_x2 v[2:3], v4, v[6:9], s[24:25] offset:24 sc0 sc1
	s_waitcnt vmcnt(0)
	buffer_inv sc0 sc1
	v_cmp_ne_u64_e32 vcc, v[2:3], v[8:9]
	s_and_saveexec_b64 s[4:5], vcc
	s_cbranch_execz .LBB10_447
; %bb.444:
	s_mov_b64 s[6:7], 0
.LBB10_445:                             ; =>This Inner Loop Header: Depth=1
	s_sleep 1
	global_load_dwordx2 v[6:7], v4, s[24:25] offset:40
	global_load_dwordx2 v[10:11], v4, s[24:25]
	v_mov_b64_e32 v[8:9], v[2:3]
	s_waitcnt vmcnt(0)
	v_and_b32_e32 v2, v6, v8
	v_mad_u64_u32 v[2:3], s[8:9], v2, 24, v[10:11]
	v_and_b32_e32 v5, v7, v9
	v_mov_b32_e32 v6, v3
	v_mad_u64_u32 v[6:7], s[8:9], v5, 24, v[6:7]
	v_mov_b32_e32 v3, v6
	global_load_dwordx2 v[6:7], v[2:3], off sc0 sc1
	s_waitcnt vmcnt(0)
	global_atomic_cmpswap_x2 v[2:3], v4, v[6:9], s[24:25] offset:24 sc0 sc1
	s_waitcnt vmcnt(0)
	buffer_inv sc0 sc1
	v_cmp_eq_u64_e32 vcc, v[2:3], v[8:9]
	s_or_b64 s[6:7], vcc, s[6:7]
	s_andn2_b64 exec, exec, s[6:7]
	s_cbranch_execnz .LBB10_445
; %bb.446:
	s_or_b64 exec, exec, s[6:7]
.LBB10_447:
	s_or_b64 exec, exec, s[4:5]
.LBB10_448:
	s_or_b64 exec, exec, s[2:3]
	v_mov_b32_e32 v45, 0
	global_load_dwordx2 v[8:9], v45, s[24:25] offset:40
	global_load_dwordx4 v[4:7], v45, s[24:25]
	v_readfirstlane_b32 s2, v2
	v_readfirstlane_b32 s3, v3
	s_mov_b64 s[4:5], exec
	s_waitcnt vmcnt(0)
	v_readfirstlane_b32 s6, v8
	v_readfirstlane_b32 s7, v9
	s_and_b64 s[6:7], s[2:3], s[6:7]
	s_mul_i32 s8, s7, 24
	s_mul_hi_u32 s9, s6, 24
	s_add_i32 s9, s9, s8
	s_mul_i32 s8, s6, 24
	v_lshl_add_u64 v[8:9], v[4:5], 0, s[8:9]
	s_and_saveexec_b64 s[8:9], s[0:1]
	s_cbranch_execz .LBB10_450
; %bb.449:
	v_mov_b64_e32 v[10:11], s[4:5]
	v_mov_b32_e32 v12, 2
	v_mov_b32_e32 v13, 1
	global_store_dwordx4 v[8:9], v[10:13], off offset:8
.LBB10_450:
	s_or_b64 exec, exec, s[8:9]
	s_lshl_b64 s[4:5], s[6:7], 12
	v_lshl_add_u64 v[6:7], v[6:7], 0, s[4:5]
	s_movk_i32 s4, 0xff1f
	v_and_or_b32 v0, v0, s4, 32
	s_mov_b32 s4, 0
	v_mov_b32_e32 v2, v45
	v_mov_b32_e32 v3, v45
	v_readfirstlane_b32 s8, v6
	v_readfirstlane_b32 s9, v7
	s_mov_b32 s5, s4
	s_mov_b32 s6, s4
	;; [unrolled: 1-line block ×3, first 2 shown]
	s_nop 1
	global_store_dwordx4 v44, v[0:3], s[8:9]
	s_nop 1
	v_mov_b64_e32 v[0:1], s[4:5]
	v_mov_b64_e32 v[2:3], s[6:7]
	global_store_dwordx4 v44, v[0:3], s[8:9] offset:16
	global_store_dwordx4 v44, v[0:3], s[8:9] offset:32
	;; [unrolled: 1-line block ×3, first 2 shown]
	s_and_saveexec_b64 s[4:5], s[0:1]
	s_cbranch_execz .LBB10_458
; %bb.451:
	v_mov_b32_e32 v10, 0
	global_load_dwordx2 v[14:15], v10, s[24:25] offset:32 sc0 sc1
	global_load_dwordx2 v[0:1], v10, s[24:25] offset:40
	v_mov_b32_e32 v12, s2
	v_mov_b32_e32 v13, s3
	s_waitcnt vmcnt(0)
	v_readfirstlane_b32 s6, v0
	v_readfirstlane_b32 s7, v1
	s_and_b64 s[6:7], s[6:7], s[2:3]
	s_mul_i32 s7, s7, 24
	s_mul_hi_u32 s8, s6, 24
	s_mul_i32 s6, s6, 24
	s_add_i32 s7, s8, s7
	v_lshl_add_u64 v[4:5], v[4:5], 0, s[6:7]
	global_store_dwordx2 v[4:5], v[14:15], off
	buffer_wbl2 sc0 sc1
	s_waitcnt vmcnt(0)
	global_atomic_cmpswap_x2 v[2:3], v10, v[12:15], s[24:25] offset:32 sc0 sc1
	s_waitcnt vmcnt(0)
	v_cmp_ne_u64_e32 vcc, v[2:3], v[14:15]
	s_and_saveexec_b64 s[6:7], vcc
	s_cbranch_execz .LBB10_454
; %bb.452:
	s_mov_b64 s[8:9], 0
.LBB10_453:                             ; =>This Inner Loop Header: Depth=1
	s_sleep 1
	global_store_dwordx2 v[4:5], v[2:3], off
	v_mov_b32_e32 v0, s2
	v_mov_b32_e32 v1, s3
	buffer_wbl2 sc0 sc1
	s_waitcnt vmcnt(0)
	global_atomic_cmpswap_x2 v[0:1], v10, v[0:3], s[24:25] offset:32 sc0 sc1
	s_waitcnt vmcnt(0)
	v_cmp_eq_u64_e32 vcc, v[0:1], v[2:3]
	s_or_b64 s[8:9], vcc, s[8:9]
	v_mov_b64_e32 v[2:3], v[0:1]
	s_andn2_b64 exec, exec, s[8:9]
	s_cbranch_execnz .LBB10_453
.LBB10_454:
	s_or_b64 exec, exec, s[6:7]
	v_mov_b32_e32 v3, 0
	global_load_dwordx2 v[0:1], v3, s[24:25] offset:16
	s_mov_b64 s[6:7], exec
	v_mbcnt_lo_u32_b32 v2, s6, 0
	v_mbcnt_hi_u32_b32 v2, s7, v2
	v_cmp_eq_u32_e32 vcc, 0, v2
	s_and_saveexec_b64 s[8:9], vcc
	s_cbranch_execz .LBB10_456
; %bb.455:
	s_bcnt1_i32_b64 s6, s[6:7]
	v_mov_b32_e32 v2, s6
	buffer_wbl2 sc0 sc1
	s_waitcnt vmcnt(0)
	global_atomic_add_x2 v[0:1], v[2:3], off offset:8 sc1
.LBB10_456:
	s_or_b64 exec, exec, s[8:9]
	s_waitcnt vmcnt(0)
	global_load_dwordx2 v[2:3], v[0:1], off offset:16
	s_waitcnt vmcnt(0)
	v_cmp_eq_u64_e32 vcc, 0, v[2:3]
	s_cbranch_vccnz .LBB10_458
; %bb.457:
	global_load_dword v0, v[0:1], off offset:24
	v_mov_b32_e32 v1, 0
	buffer_wbl2 sc0 sc1
	s_waitcnt vmcnt(0)
	global_store_dwordx2 v[2:3], v[0:1], off sc0 sc1
	v_and_b32_e32 v0, 0xffffff, v0
	s_nop 0
	v_readfirstlane_b32 m0, v0
	s_sendmsg sendmsg(MSG_INTERRUPT)
.LBB10_458:
	s_or_b64 exec, exec, s[4:5]
	v_lshl_add_u64 v[0:1], v[6:7], 0, v[44:45]
	s_branch .LBB10_462
.LBB10_459:                             ;   in Loop: Header=BB10_462 Depth=1
	s_or_b64 exec, exec, s[4:5]
	v_readfirstlane_b32 s4, v2
	s_cmp_eq_u32 s4, 0
	s_cbranch_scc1 .LBB10_461
; %bb.460:                              ;   in Loop: Header=BB10_462 Depth=1
	s_sleep 1
	s_cbranch_execnz .LBB10_462
	s_branch .LBB10_464
.LBB10_461:
	s_branch .LBB10_464
.LBB10_462:                             ; =>This Inner Loop Header: Depth=1
	v_mov_b32_e32 v2, 1
	s_and_saveexec_b64 s[4:5], s[0:1]
	s_cbranch_execz .LBB10_459
; %bb.463:                              ;   in Loop: Header=BB10_462 Depth=1
	global_load_dword v2, v[8:9], off offset:20 sc0 sc1
	s_waitcnt vmcnt(0)
	buffer_inv sc0 sc1
	v_and_b32_e32 v2, 1, v2
	s_branch .LBB10_459
.LBB10_464:
	global_load_dwordx2 v[2:3], v[0:1], off
	s_and_saveexec_b64 s[4:5], s[0:1]
	s_cbranch_execz .LBB10_467
; %bb.465:
	v_mov_b32_e32 v8, 0
	global_load_dwordx2 v[0:1], v8, s[24:25] offset:40
	global_load_dwordx2 v[10:11], v8, s[24:25] offset:24 sc0 sc1
	global_load_dwordx2 v[12:13], v8, s[24:25]
	s_mov_b64 s[0:1], 0
	s_waitcnt vmcnt(0)
	v_lshl_add_u64 v[4:5], v[0:1], 0, 1
	v_lshl_add_u64 v[14:15], v[4:5], 0, s[2:3]
	v_cmp_eq_u64_e32 vcc, 0, v[14:15]
	v_mov_b32_e32 v6, v10
	s_nop 0
	v_cndmask_b32_e32 v5, v15, v5, vcc
	v_cndmask_b32_e32 v4, v14, v4, vcc
	v_and_b32_e32 v1, v5, v1
	v_and_b32_e32 v0, v4, v0
	v_mul_lo_u32 v1, v1, 24
	v_mul_hi_u32 v7, v0, 24
	v_mul_lo_u32 v0, v0, 24
	v_add_u32_e32 v1, v7, v1
	v_lshl_add_u64 v[0:1], v[12:13], 0, v[0:1]
	global_store_dwordx2 v[0:1], v[10:11], off
	v_mov_b32_e32 v7, v11
	buffer_wbl2 sc0 sc1
	s_waitcnt vmcnt(0)
	global_atomic_cmpswap_x2 v[6:7], v8, v[4:7], s[24:25] offset:24 sc0 sc1
	s_waitcnt vmcnt(0)
	v_cmp_ne_u64_e32 vcc, v[6:7], v[10:11]
	s_and_b64 exec, exec, vcc
	s_cbranch_execz .LBB10_467
.LBB10_466:                             ; =>This Inner Loop Header: Depth=1
	s_sleep 1
	global_store_dwordx2 v[0:1], v[6:7], off
	buffer_wbl2 sc0 sc1
	s_waitcnt vmcnt(0)
	global_atomic_cmpswap_x2 v[10:11], v8, v[4:7], s[24:25] offset:24 sc0 sc1
	s_waitcnt vmcnt(0)
	v_cmp_eq_u64_e32 vcc, v[10:11], v[6:7]
	s_or_b64 s[0:1], vcc, s[0:1]
	v_mov_b64_e32 v[6:7], v[10:11]
	s_andn2_b64 exec, exec, s[0:1]
	s_cbranch_execnz .LBB10_466
.LBB10_467:
	s_or_b64 exec, exec, s[4:5]
.LBB10_468:
	v_readfirstlane_b32 s0, v46
	s_waitcnt vmcnt(0)
	v_mov_b64_e32 v[0:1], 0
	v_cmp_eq_u32_e64 s[0:1], s0, v46
	s_and_saveexec_b64 s[2:3], s[0:1]
	s_cbranch_execz .LBB10_474
; %bb.469:
	v_mov_b32_e32 v4, 0
	global_load_dwordx2 v[8:9], v4, s[24:25] offset:24 sc0 sc1
	s_waitcnt vmcnt(0)
	buffer_inv sc0 sc1
	global_load_dwordx2 v[0:1], v4, s[24:25] offset:40
	global_load_dwordx2 v[6:7], v4, s[24:25]
	s_waitcnt vmcnt(0)
	v_and_b32_e32 v0, v0, v8
	v_and_b32_e32 v1, v1, v9
	v_mul_lo_u32 v1, v1, 24
	v_mul_hi_u32 v5, v0, 24
	v_add_u32_e32 v1, v5, v1
	v_mul_lo_u32 v0, v0, 24
	v_lshl_add_u64 v[0:1], v[6:7], 0, v[0:1]
	global_load_dwordx2 v[6:7], v[0:1], off sc0 sc1
	s_waitcnt vmcnt(0)
	global_atomic_cmpswap_x2 v[0:1], v4, v[6:9], s[24:25] offset:24 sc0 sc1
	s_waitcnt vmcnt(0)
	buffer_inv sc0 sc1
	v_cmp_ne_u64_e32 vcc, v[0:1], v[8:9]
	s_and_saveexec_b64 s[4:5], vcc
	s_cbranch_execz .LBB10_473
; %bb.470:
	s_mov_b64 s[6:7], 0
.LBB10_471:                             ; =>This Inner Loop Header: Depth=1
	s_sleep 1
	global_load_dwordx2 v[6:7], v4, s[24:25] offset:40
	global_load_dwordx2 v[10:11], v4, s[24:25]
	v_mov_b64_e32 v[8:9], v[0:1]
	s_waitcnt vmcnt(0)
	v_and_b32_e32 v0, v6, v8
	v_mad_u64_u32 v[0:1], s[8:9], v0, 24, v[10:11]
	v_and_b32_e32 v5, v7, v9
	v_mov_b32_e32 v6, v1
	v_mad_u64_u32 v[6:7], s[8:9], v5, 24, v[6:7]
	v_mov_b32_e32 v1, v6
	global_load_dwordx2 v[6:7], v[0:1], off sc0 sc1
	s_waitcnt vmcnt(0)
	global_atomic_cmpswap_x2 v[0:1], v4, v[6:9], s[24:25] offset:24 sc0 sc1
	s_waitcnt vmcnt(0)
	buffer_inv sc0 sc1
	v_cmp_eq_u64_e32 vcc, v[0:1], v[8:9]
	s_or_b64 s[6:7], vcc, s[6:7]
	s_andn2_b64 exec, exec, s[6:7]
	s_cbranch_execnz .LBB10_471
; %bb.472:
	s_or_b64 exec, exec, s[6:7]
.LBB10_473:
	s_or_b64 exec, exec, s[4:5]
.LBB10_474:
	s_or_b64 exec, exec, s[2:3]
	v_mov_b32_e32 v10, 0
	global_load_dwordx2 v[4:5], v10, s[24:25] offset:40
	global_load_dwordx4 v[6:9], v10, s[24:25]
	v_readfirstlane_b32 s2, v0
	v_readfirstlane_b32 s3, v1
	s_mov_b64 s[4:5], exec
	s_waitcnt vmcnt(0)
	v_readfirstlane_b32 s6, v4
	v_readfirstlane_b32 s7, v5
	s_and_b64 s[6:7], s[2:3], s[6:7]
	s_mul_i32 s8, s7, 24
	s_mul_hi_u32 s9, s6, 24
	s_add_i32 s9, s9, s8
	s_mul_i32 s8, s6, 24
	v_lshl_add_u64 v[10:11], v[6:7], 0, s[8:9]
	s_and_saveexec_b64 s[8:9], s[0:1]
	s_cbranch_execz .LBB10_476
; %bb.475:
	v_mov_b64_e32 v[12:13], s[4:5]
	v_mov_b32_e32 v14, 2
	v_mov_b32_e32 v15, 1
	global_store_dwordx4 v[10:11], v[12:15], off offset:8
.LBB10_476:
	s_or_b64 exec, exec, s[8:9]
	s_lshl_b64 s[4:5], s[6:7], 12
	v_lshl_add_u64 v[0:1], v[8:9], 0, s[4:5]
	s_movk_i32 s4, 0xff1d
	v_and_or_b32 v2, v2, s4, 34
	s_mov_b32 s4, 0
	s_waitcnt lgkmcnt(0)
	v_ashrrev_i32_e32 v5, 31, v29
	v_mov_b32_e32 v4, v29
	v_readfirstlane_b32 s8, v0
	v_readfirstlane_b32 s9, v1
	s_mov_b32 s5, s4
	s_mov_b32 s6, s4
	;; [unrolled: 1-line block ×3, first 2 shown]
	s_nop 1
	global_store_dwordx4 v44, v[2:5], s[8:9]
	v_mov_b64_e32 v[0:1], s[4:5]
	s_nop 0
	v_mov_b64_e32 v[2:3], s[6:7]
	global_store_dwordx4 v44, v[0:3], s[8:9] offset:16
	global_store_dwordx4 v44, v[0:3], s[8:9] offset:32
	global_store_dwordx4 v44, v[0:3], s[8:9] offset:48
	s_and_saveexec_b64 s[4:5], s[0:1]
	s_cbranch_execz .LBB10_484
; %bb.477:
	v_mov_b32_e32 v8, 0
	global_load_dwordx2 v[14:15], v8, s[24:25] offset:32 sc0 sc1
	global_load_dwordx2 v[0:1], v8, s[24:25] offset:40
	v_mov_b32_e32 v12, s2
	v_mov_b32_e32 v13, s3
	s_waitcnt vmcnt(0)
	v_readfirstlane_b32 s6, v0
	v_readfirstlane_b32 s7, v1
	s_and_b64 s[6:7], s[6:7], s[2:3]
	s_mul_i32 s7, s7, 24
	s_mul_hi_u32 s8, s6, 24
	s_mul_i32 s6, s6, 24
	s_add_i32 s7, s8, s7
	v_lshl_add_u64 v[4:5], v[6:7], 0, s[6:7]
	global_store_dwordx2 v[4:5], v[14:15], off
	buffer_wbl2 sc0 sc1
	s_waitcnt vmcnt(0)
	global_atomic_cmpswap_x2 v[2:3], v8, v[12:15], s[24:25] offset:32 sc0 sc1
	s_waitcnt vmcnt(0)
	v_cmp_ne_u64_e32 vcc, v[2:3], v[14:15]
	s_and_saveexec_b64 s[6:7], vcc
	s_cbranch_execz .LBB10_480
; %bb.478:
	s_mov_b64 s[8:9], 0
.LBB10_479:                             ; =>This Inner Loop Header: Depth=1
	s_sleep 1
	global_store_dwordx2 v[4:5], v[2:3], off
	v_mov_b32_e32 v0, s2
	v_mov_b32_e32 v1, s3
	buffer_wbl2 sc0 sc1
	s_waitcnt vmcnt(0)
	global_atomic_cmpswap_x2 v[0:1], v8, v[0:3], s[24:25] offset:32 sc0 sc1
	s_waitcnt vmcnt(0)
	v_cmp_eq_u64_e32 vcc, v[0:1], v[2:3]
	s_or_b64 s[8:9], vcc, s[8:9]
	v_mov_b64_e32 v[2:3], v[0:1]
	s_andn2_b64 exec, exec, s[8:9]
	s_cbranch_execnz .LBB10_479
.LBB10_480:
	s_or_b64 exec, exec, s[6:7]
	v_mov_b32_e32 v3, 0
	global_load_dwordx2 v[0:1], v3, s[24:25] offset:16
	s_mov_b64 s[6:7], exec
	v_mbcnt_lo_u32_b32 v2, s6, 0
	v_mbcnt_hi_u32_b32 v2, s7, v2
	v_cmp_eq_u32_e32 vcc, 0, v2
	s_and_saveexec_b64 s[8:9], vcc
	s_cbranch_execz .LBB10_482
; %bb.481:
	s_bcnt1_i32_b64 s6, s[6:7]
	v_mov_b32_e32 v2, s6
	buffer_wbl2 sc0 sc1
	s_waitcnt vmcnt(0)
	global_atomic_add_x2 v[0:1], v[2:3], off offset:8 sc1
.LBB10_482:
	s_or_b64 exec, exec, s[8:9]
	s_waitcnt vmcnt(0)
	global_load_dwordx2 v[2:3], v[0:1], off offset:16
	s_waitcnt vmcnt(0)
	v_cmp_eq_u64_e32 vcc, 0, v[2:3]
	s_cbranch_vccnz .LBB10_484
; %bb.483:
	global_load_dword v0, v[0:1], off offset:24
	v_mov_b32_e32 v1, 0
	buffer_wbl2 sc0 sc1
	s_waitcnt vmcnt(0)
	global_store_dwordx2 v[2:3], v[0:1], off sc0 sc1
	v_and_b32_e32 v0, 0xffffff, v0
	s_nop 0
	v_readfirstlane_b32 m0, v0
	s_sendmsg sendmsg(MSG_INTERRUPT)
.LBB10_484:
	s_or_b64 exec, exec, s[4:5]
	s_branch .LBB10_488
.LBB10_485:                             ;   in Loop: Header=BB10_488 Depth=1
	s_or_b64 exec, exec, s[4:5]
	v_readfirstlane_b32 s4, v0
	s_cmp_eq_u32 s4, 0
	s_cbranch_scc1 .LBB10_487
; %bb.486:                              ;   in Loop: Header=BB10_488 Depth=1
	s_sleep 1
	s_cbranch_execnz .LBB10_488
	s_branch .LBB10_490
.LBB10_487:
	s_branch .LBB10_490
.LBB10_488:                             ; =>This Inner Loop Header: Depth=1
	v_mov_b32_e32 v0, 1
	s_and_saveexec_b64 s[4:5], s[0:1]
	s_cbranch_execz .LBB10_485
; %bb.489:                              ;   in Loop: Header=BB10_488 Depth=1
	global_load_dword v0, v[10:11], off offset:20 sc0 sc1
	s_waitcnt vmcnt(0)
	buffer_inv sc0 sc1
	v_and_b32_e32 v0, 1, v0
	s_branch .LBB10_485
.LBB10_490:
	s_and_saveexec_b64 s[4:5], s[0:1]
	s_cbranch_execz .LBB10_493
; %bb.491:
	v_mov_b32_e32 v6, 0
	global_load_dwordx2 v[4:5], v6, s[24:25] offset:40
	global_load_dwordx2 v[8:9], v6, s[24:25] offset:24 sc0 sc1
	global_load_dwordx2 v[10:11], v6, s[24:25]
	s_mov_b64 s[0:1], 0
	s_waitcnt vmcnt(2)
	v_lshl_add_u64 v[0:1], v[4:5], 0, 1
	v_lshl_add_u64 v[12:13], v[0:1], 0, s[2:3]
	v_cmp_eq_u64_e32 vcc, 0, v[12:13]
	s_waitcnt vmcnt(1)
	v_mov_b32_e32 v2, v8
	v_cndmask_b32_e32 v1, v13, v1, vcc
	v_cndmask_b32_e32 v0, v12, v0, vcc
	v_and_b32_e32 v3, v1, v5
	v_and_b32_e32 v4, v0, v4
	v_mul_lo_u32 v3, v3, 24
	v_mul_hi_u32 v5, v4, 24
	v_mul_lo_u32 v4, v4, 24
	v_add_u32_e32 v5, v5, v3
	s_waitcnt vmcnt(0)
	v_lshl_add_u64 v[4:5], v[10:11], 0, v[4:5]
	global_store_dwordx2 v[4:5], v[8:9], off
	v_mov_b32_e32 v3, v9
	buffer_wbl2 sc0 sc1
	s_waitcnt vmcnt(0)
	global_atomic_cmpswap_x2 v[2:3], v6, v[0:3], s[24:25] offset:24 sc0 sc1
	s_waitcnt vmcnt(0)
	v_cmp_ne_u64_e32 vcc, v[2:3], v[8:9]
	s_and_b64 exec, exec, vcc
	s_cbranch_execz .LBB10_493
.LBB10_492:                             ; =>This Inner Loop Header: Depth=1
	s_sleep 1
	global_store_dwordx2 v[4:5], v[2:3], off
	buffer_wbl2 sc0 sc1
	s_waitcnt vmcnt(0)
	global_atomic_cmpswap_x2 v[8:9], v6, v[0:3], s[24:25] offset:24 sc0 sc1
	s_waitcnt vmcnt(0)
	v_cmp_eq_u64_e32 vcc, v[8:9], v[2:3]
	s_or_b64 s[0:1], vcc, s[0:1]
	v_mov_b64_e32 v[2:3], v[8:9]
	s_andn2_b64 exec, exec, s[0:1]
	s_cbranch_execnz .LBB10_492
.LBB10_493:
	s_or_b64 exec, exec, s[4:5]
	v_readlane_b32 s30, v37, 0
	v_readlane_b32 s31, v37, 1
	;; [unrolled: 1-line block ×3, first 2 shown]
	s_xor_saveexec_b64 s[2:3], -1
	scratch_load_dword v37, off, s33        ; 4-byte Folded Reload
	s_mov_b64 exec, s[2:3]
	s_add_i32 s32, s32, -16
	s_mov_b32 s33, s0
	s_waitcnt vmcnt(0) lgkmcnt(0)
	s_setpc_b64 s[30:31]
.Lfunc_end10:
	.size	_ZN8migraphx4testlsIKNS_13basic_printerIZNS_4coutEvEUlT_E_EEEERS3_S7_RKNS0_10expressionINS0_14lhs_expressionIRNS_5arrayIiLj2EEENS0_3nopEEESC_NS0_5equalEEE, .Lfunc_end10-_ZN8migraphx4testlsIKNS_13basic_printerIZNS_4coutEvEUlT_E_EEEERS3_S7_RKNS0_10expressionINS0_14lhs_expressionIRNS_5arrayIiLj2EEENS0_3nopEEESC_NS0_5equalEEE
                                        ; -- End function
	.section	.AMDGPU.csdata,"",@progbits
; Function info:
; codeLenInByte = 17528
; NumSgprs: 44
; NumVgprs: 58
; NumAgprs: 0
; TotalNumVgprs: 58
; ScratchSize: 16
; MemoryBound: 0
	.text
	.p2align	2                               ; -- Begin function _ZL21merge_single_elementsRN8migraphx4test12test_managerE
	.type	_ZL21merge_single_elementsRN8migraphx4test12test_managerE,@function
_ZL21merge_single_elementsRN8migraphx4test12test_managerE: ; @_ZL21merge_single_elementsRN8migraphx4test12test_managerE
; %bb.0:
	s_waitcnt vmcnt(0) expcnt(0) lgkmcnt(0)
	s_mov_b32 s0, s33
	s_mov_b32 s33, s32
	s_or_saveexec_b64 s[2:3], -1
	scratch_store_dword off, v62, s33 offset:40 ; 4-byte Folded Spill
	s_mov_b64 exec, s[2:3]
	v_writelane_b32 v62, s0, 2
	v_writelane_b32 v62, s30, 0
	s_add_i32 s32, s32, 48
	s_nop 0
	v_writelane_b32 v62, s31, 1
	v_mov_b32_e32 v58, v0
	v_mov_b32_e32 v0, 3
	scratch_store_dword off, v0, s33
	v_mov_b32_e32 v0, 1
	scratch_store_dword off, v0, s33 offset:4
	v_mov_b32_e32 v0, 0
	s_add_i32 s0, s33, 8
	v_mov_b32_e32 v59, v1
	v_mov_b32_e32 v1, v0
	;; [unrolled: 1-line block ×3, first 2 shown]
	s_mov_b64 s[0:1], 0
	v_mov_b32_e32 v7, v0
	scratch_store_dwordx2 off, v[0:1], s33 offset:8
                                        ; implicit-def: $sgpr2_sgpr3
                                        ; implicit-def: $sgpr6_sgpr7
                                        ; implicit-def: $sgpr4_sgpr5
	s_branch .LBB11_2
.LBB11_1:                               ;   in Loop: Header=BB11_2 Depth=1
	s_or_b64 exec, exec, s[10:11]
	s_and_b64 s[10:11], exec, s[6:7]
	s_or_b64 s[0:1], s[10:11], s[0:1]
	s_andn2_b64 s[2:3], s[2:3], exec
	s_and_b64 s[10:11], s[4:5], exec
	s_or_b64 s[2:3], s[2:3], s[10:11]
	s_andn2_b64 exec, exec, s[0:1]
	s_cbranch_execz .LBB11_4
.LBB11_2:                               ; =>This Inner Loop Header: Depth=1
	v_mov_b32_e32 v3, v7
	v_mov_b32_e32 v1, v4
	v_add_u32_e32 v2, s33, v3
	v_cmp_ne_u32_e32 vcc, 4, v0
	s_or_b64 s[4:5], s[4:5], exec
	s_or_b64 s[6:7], s[6:7], exec
                                        ; implicit-def: $vgpr7
                                        ; implicit-def: $vgpr4
                                        ; implicit-def: $vgpr5
                                        ; implicit-def: $vgpr6
	s_and_saveexec_b64 s[10:11], vcc
	s_cbranch_execz .LBB11_1
; %bb.3:                                ;   in Loop: Header=BB11_2 Depth=1
	s_add_i32 s15, s33, 4
	v_add_u32_e32 v5, s15, v0
	scratch_load_dword v6, v2, off
	scratch_load_dword v7, v5, off
	s_andn2_b64 s[6:7], s[6:7], exec
	v_add_u32_e32 v4, 4, v1
	s_andn2_b64 s[4:5], s[4:5], exec
	s_waitcnt vmcnt(0)
	v_cmp_ge_i32_e32 vcc, v7, v6
	s_nop 1
	v_cndmask_b32_e64 v9, 0, 1, vcc
	v_min_i32_e32 v8, v7, v6
	v_cmp_lt_i32_e32 vcc, v7, v6
	v_lshl_add_u32 v7, v9, 2, v3
	scratch_store_dword v1, v8, off
	v_cndmask_b32_e64 v6, 0, 1, vcc
	v_cmp_eq_u32_e32 vcc, 4, v7
	v_lshlrev_b32_e32 v6, 2, v6
	s_and_b64 s[16:17], vcc, exec
	v_add_u32_e32 v0, v6, v0
	s_or_b64 s[6:7], s[6:7], s[16:17]
	s_branch .LBB11_1
.LBB11_4:
	s_or_b64 exec, exec, s[0:1]
	s_xor_b64 s[0:1], s[2:3], -1
	s_and_saveexec_b64 s[2:3], s[0:1]
	s_xor_b64 s[0:1], exec, s[2:3]
	s_cbranch_execz .LBB11_14
; %bb.5:
	v_cmp_ne_u32_e32 vcc, 4, v0
	s_and_saveexec_b64 s[2:3], vcc
	s_cbranch_execz .LBB11_13
; %bb.6:
	v_add_u32_e32 v5, v5, v6
	s_mov_b32 s10, 0
	v_cmp_ne_u32_e32 vcc, 0, v0
	s_mov_b64 s[6:7], -1
	s_and_saveexec_b64 s[4:5], vcc
	s_cbranch_execz .LBB11_10
; %bb.7:
	v_sub_u32_e32 v0, 0, v0
	v_lshrrev_b32_e32 v0, 2, v0
	v_add_u32_e32 v0, 1, v0
	v_and_b32_e32 v6, 0x7ffffffe, v0
	s_mov_b64 s[6:7], 0
	v_mov_b32_e32 v7, v6
.LBB11_8:                               ; =>This Inner Loop Header: Depth=1
	v_add_u32_e32 v8, s10, v5
	scratch_load_dwordx2 v[8:9], v8, off
	v_add_u32_e32 v7, -2, v7
	v_add_u32_e32 v10, s10, v4
	s_add_i32 s10, s10, 8
	v_cmp_eq_u32_e32 vcc, 0, v7
	s_or_b64 s[6:7], vcc, s[6:7]
	s_waitcnt vmcnt(0)
	scratch_store_dwordx2 v10, v[8:9], off
	s_andn2_b64 exec, exec, s[6:7]
	s_cbranch_execnz .LBB11_8
; %bb.9:
	s_or_b64 exec, exec, s[6:7]
	v_lshlrev_b32_e32 v7, 2, v6
	v_cmp_ne_u32_e32 vcc, v0, v6
	v_add_u32_e32 v4, v4, v7
	v_add_u32_e32 v5, v5, v7
	s_orn2_b64 s[6:7], vcc, exec
.LBB11_10:
	s_or_b64 exec, exec, s[4:5]
	s_and_b64 exec, exec, s[6:7]
	s_cbranch_execz .LBB11_13
; %bb.11:
	s_add_i32 s6, s33, 4
	v_add_u32_e32 v0, -4, v5
	s_mov_b64 s[4:5], 0
	v_mov_b32_e32 v5, s6
.LBB11_12:                              ; =>This Inner Loop Header: Depth=1
	v_add_u32_e32 v0, 4, v0
	scratch_load_dword v6, v0, off
	v_add_u32_e32 v7, 4, v4
	v_cmp_eq_u32_e32 vcc, v0, v5
	s_or_b64 s[4:5], vcc, s[4:5]
	s_waitcnt vmcnt(0)
	scratch_store_dword v4, v6, off
	v_mov_b32_e32 v4, v7
	s_andn2_b64 exec, exec, s[4:5]
	s_cbranch_execnz .LBB11_12
.LBB11_13:
	s_or_b64 exec, exec, s[2:3]
.LBB11_14:
	s_andn2_saveexec_b64 s[0:1], s[0:1]
	s_cbranch_execz .LBB11_23
; %bb.15:
	s_mov_b32 s6, 0
	v_cmp_ne_u32_e32 vcc, 0, v3
	s_mov_b64 s[4:5], -1
	s_and_saveexec_b64 s[2:3], vcc
	s_cbranch_execz .LBB11_19
; %bb.16:
	v_sub_u32_e32 v0, 0, v3
	v_lshrrev_b32_e32 v0, 2, v0
	v_add_u32_e32 v0, 1, v0
	v_and_b32_e32 v3, 0x7ffffffe, v0
	s_mov_b64 s[4:5], 0
	v_mov_b32_e32 v4, v3
.LBB11_17:                              ; =>This Inner Loop Header: Depth=1
	v_add_u32_e32 v5, s6, v2
	scratch_load_dwordx2 v[6:7], v5, off
	v_add_u32_e32 v4, -2, v4
	v_add_u32_e32 v5, s6, v1
	s_add_i32 s6, s6, 8
	v_cmp_eq_u32_e32 vcc, 0, v4
	s_or_b64 s[4:5], vcc, s[4:5]
	s_waitcnt vmcnt(0)
	scratch_store_dwordx2 v5, v[6:7], off
	s_andn2_b64 exec, exec, s[4:5]
	s_cbranch_execnz .LBB11_17
; %bb.18:
	s_or_b64 exec, exec, s[4:5]
	v_lshlrev_b32_e32 v4, 2, v3
	v_cmp_ne_u32_e32 vcc, v0, v3
	v_add_u32_e32 v1, v1, v4
	v_add_u32_e32 v2, v2, v4
	s_orn2_b64 s[4:5], vcc, exec
.LBB11_19:
	s_or_b64 exec, exec, s[2:3]
	s_and_saveexec_b64 s[2:3], s[4:5]
	s_cbranch_execz .LBB11_22
; %bb.20:
	v_add_u32_e32 v0, -4, v2
	s_mov_b64 s[4:5], 0
	v_mov_b32_e32 v2, s33
.LBB11_21:                              ; =>This Inner Loop Header: Depth=1
	v_add_u32_e32 v0, 4, v0
	scratch_load_dword v3, v0, off
	v_add_u32_e32 v4, 4, v1
	v_cmp_eq_u32_e32 vcc, v0, v2
	s_or_b64 s[4:5], vcc, s[4:5]
	s_waitcnt vmcnt(0)
	scratch_store_dword v1, v3, off
	v_mov_b32_e32 v1, v4
	s_andn2_b64 exec, exec, s[4:5]
	s_cbranch_execnz .LBB11_21
.LBB11_22:
	s_or_b64 exec, exec, s[2:3]
.LBB11_23:
	s_or_b64 exec, exec, s[0:1]
	scratch_load_dwordx2 v[4:5], off, s33 offset:8
	s_mov_b64 s[0:1], src_private_base
	s_add_i32 s0, s33, 8
	v_mov_b32_e32 v0, s0
	s_add_i32 s0, s33, 16
	v_mov_b32_e32 v2, s0
	v_mov_b32_e32 v1, s1
	;; [unrolled: 1-line block ×5, first 2 shown]
	scratch_store_dwordx2 off, v[6:7], s33 offset:16
	scratch_store_dwordx4 off, v[0:3], s33 offset:24
	s_waitcnt vmcnt(2)
	v_cmp_ne_u32_e32 vcc, 1, v4
	v_cmp_ne_u32_e64 s[0:1], 3, v5
	s_or_b64 s[0:1], vcc, s[0:1]
	s_and_saveexec_b64 s[2:3], s[0:1]
	s_xor_b64 s[40:41], exec, s[2:3]
	s_cbranch_execz .LBB11_1747
; %bb.24:
	v_and_b32_e32 v0, 0x3ff, v31
	v_cmp_eq_u32_e32 vcc, 0, v0
	s_and_saveexec_b64 s[42:43], vcc
	s_cbranch_execz .LBB11_1746
; %bb.25:
	s_load_dwordx2 s[44:45], s[8:9], 0x50
	v_mbcnt_lo_u32_b32 v0, -1, 0
	v_mbcnt_hi_u32_b32 v47, -1, v0
	v_mov_b64_e32 v[4:5], 0
	v_readfirstlane_b32 s0, v47
	s_nop 1
	v_cmp_eq_u32_e64 s[0:1], s0, v47
	s_and_saveexec_b64 s[2:3], s[0:1]
	s_cbranch_execz .LBB11_31
; %bb.26:
	v_mov_b32_e32 v0, 0
	s_waitcnt lgkmcnt(0)
	global_load_dwordx2 v[6:7], v0, s[44:45] offset:24 sc0 sc1
	s_waitcnt vmcnt(0)
	buffer_inv sc0 sc1
	global_load_dwordx2 v[2:3], v0, s[44:45] offset:40
	global_load_dwordx2 v[4:5], v0, s[44:45]
	s_waitcnt vmcnt(1)
	v_and_b32_e32 v1, v2, v6
	v_and_b32_e32 v2, v3, v7
	v_mul_lo_u32 v2, v2, 24
	v_mul_hi_u32 v3, v1, 24
	v_add_u32_e32 v3, v3, v2
	v_mul_lo_u32 v2, v1, 24
	s_waitcnt vmcnt(0)
	v_lshl_add_u64 v[2:3], v[4:5], 0, v[2:3]
	global_load_dwordx2 v[4:5], v[2:3], off sc0 sc1
	s_waitcnt vmcnt(0)
	global_atomic_cmpswap_x2 v[4:5], v0, v[4:7], s[44:45] offset:24 sc0 sc1
	s_waitcnt vmcnt(0)
	buffer_inv sc0 sc1
	v_cmp_ne_u64_e32 vcc, v[4:5], v[6:7]
	s_and_saveexec_b64 s[4:5], vcc
	s_cbranch_execz .LBB11_30
; %bb.27:
	s_mov_b64 s[6:7], 0
.LBB11_28:                              ; =>This Inner Loop Header: Depth=1
	s_sleep 1
	global_load_dwordx2 v[2:3], v0, s[44:45] offset:40
	global_load_dwordx2 v[8:9], v0, s[44:45]
	v_mov_b64_e32 v[6:7], v[4:5]
	s_waitcnt vmcnt(1)
	v_and_b32_e32 v2, v2, v6
	v_and_b32_e32 v1, v3, v7
	s_waitcnt vmcnt(0)
	v_mad_u64_u32 v[2:3], s[10:11], v2, 24, v[8:9]
	v_mov_b32_e32 v4, v3
	v_mad_u64_u32 v[4:5], s[10:11], v1, 24, v[4:5]
	v_mov_b32_e32 v3, v4
	global_load_dwordx2 v[4:5], v[2:3], off sc0 sc1
	s_waitcnt vmcnt(0)
	global_atomic_cmpswap_x2 v[4:5], v0, v[4:7], s[44:45] offset:24 sc0 sc1
	s_waitcnt vmcnt(0)
	buffer_inv sc0 sc1
	v_cmp_eq_u64_e32 vcc, v[4:5], v[6:7]
	s_or_b64 s[6:7], vcc, s[6:7]
	s_andn2_b64 exec, exec, s[6:7]
	s_cbranch_execnz .LBB11_28
; %bb.29:
	s_or_b64 exec, exec, s[6:7]
.LBB11_30:
	s_or_b64 exec, exec, s[4:5]
.LBB11_31:
	s_or_b64 exec, exec, s[2:3]
	v_mov_b32_e32 v61, 0
	s_waitcnt lgkmcnt(0)
	global_load_dwordx2 v[6:7], v61, s[44:45] offset:40
	global_load_dwordx4 v[0:3], v61, s[44:45]
	v_readfirstlane_b32 s2, v4
	v_readfirstlane_b32 s3, v5
	s_mov_b64 s[4:5], exec
	s_waitcnt vmcnt(1)
	v_readfirstlane_b32 s6, v6
	v_readfirstlane_b32 s7, v7
	s_and_b64 s[6:7], s[2:3], s[6:7]
	s_mul_i32 s10, s7, 24
	s_mul_hi_u32 s11, s6, 24
	s_add_i32 s11, s11, s10
	s_mul_i32 s10, s6, 24
	s_waitcnt vmcnt(0)
	v_lshl_add_u64 v[4:5], v[0:1], 0, s[10:11]
	s_and_saveexec_b64 s[10:11], s[0:1]
	s_cbranch_execz .LBB11_33
; %bb.32:
	v_mov_b64_e32 v[6:7], s[4:5]
	v_mov_b32_e32 v8, 2
	v_mov_b32_e32 v9, 1
	global_store_dwordx4 v[4:5], v[6:9], off offset:8
.LBB11_33:
	s_or_b64 exec, exec, s[10:11]
	s_lshl_b64 s[4:5], s[6:7], 12
	v_lshl_add_u64 v[6:7], v[2:3], 0, s[4:5]
	s_mov_b32 s4, 0
	v_lshlrev_b32_e32 v60, 6, v47
	v_mov_b32_e32 v8, 33
	v_mov_b32_e32 v9, v61
	v_mov_b32_e32 v10, v61
	v_mov_b32_e32 v11, v61
	v_readfirstlane_b32 s10, v6
	v_readfirstlane_b32 s11, v7
	s_mov_b32 s6, s4
	s_mov_b32 s7, s4
	;; [unrolled: 1-line block ×3, first 2 shown]
	s_nop 1
	global_store_dwordx4 v60, v[8:11], s[10:11]
	s_nop 1
	v_mov_b64_e32 v[10:11], s[6:7]
	v_mov_b64_e32 v[8:9], s[4:5]
	global_store_dwordx4 v60, v[8:11], s[10:11] offset:16
	global_store_dwordx4 v60, v[8:11], s[10:11] offset:32
	;; [unrolled: 1-line block ×3, first 2 shown]
	s_and_saveexec_b64 s[4:5], s[0:1]
	s_cbranch_execz .LBB11_41
; %bb.34:
	v_mov_b32_e32 v10, 0
	global_load_dwordx2 v[14:15], v10, s[44:45] offset:32 sc0 sc1
	global_load_dwordx2 v[2:3], v10, s[44:45] offset:40
	v_mov_b32_e32 v12, s2
	v_mov_b32_e32 v13, s3
	s_waitcnt vmcnt(0)
	v_and_b32_e32 v2, s2, v2
	v_and_b32_e32 v3, s3, v3
	v_mul_lo_u32 v3, v3, 24
	v_mul_hi_u32 v8, v2, 24
	v_mul_lo_u32 v2, v2, 24
	v_add_u32_e32 v3, v8, v3
	v_lshl_add_u64 v[8:9], v[0:1], 0, v[2:3]
	global_store_dwordx2 v[8:9], v[14:15], off
	buffer_wbl2 sc0 sc1
	s_waitcnt vmcnt(0)
	global_atomic_cmpswap_x2 v[2:3], v10, v[12:15], s[44:45] offset:32 sc0 sc1
	s_waitcnt vmcnt(0)
	v_cmp_ne_u64_e32 vcc, v[2:3], v[14:15]
	s_and_saveexec_b64 s[6:7], vcc
	s_cbranch_execz .LBB11_37
; %bb.35:
	s_mov_b64 s[10:11], 0
.LBB11_36:                              ; =>This Inner Loop Header: Depth=1
	s_sleep 1
	global_store_dwordx2 v[8:9], v[2:3], off
	v_mov_b32_e32 v0, s2
	v_mov_b32_e32 v1, s3
	buffer_wbl2 sc0 sc1
	s_waitcnt vmcnt(0)
	global_atomic_cmpswap_x2 v[0:1], v10, v[0:3], s[44:45] offset:32 sc0 sc1
	s_waitcnt vmcnt(0)
	v_cmp_eq_u64_e32 vcc, v[0:1], v[2:3]
	s_or_b64 s[10:11], vcc, s[10:11]
	v_mov_b64_e32 v[2:3], v[0:1]
	s_andn2_b64 exec, exec, s[10:11]
	s_cbranch_execnz .LBB11_36
.LBB11_37:
	s_or_b64 exec, exec, s[6:7]
	v_mov_b32_e32 v3, 0
	global_load_dwordx2 v[0:1], v3, s[44:45] offset:16
	s_mov_b64 s[6:7], exec
	v_mbcnt_lo_u32_b32 v2, s6, 0
	v_mbcnt_hi_u32_b32 v2, s7, v2
	v_cmp_eq_u32_e32 vcc, 0, v2
	s_and_saveexec_b64 s[10:11], vcc
	s_cbranch_execz .LBB11_39
; %bb.38:
	s_bcnt1_i32_b64 s6, s[6:7]
	v_mov_b32_e32 v2, s6
	buffer_wbl2 sc0 sc1
	s_waitcnt vmcnt(0)
	global_atomic_add_x2 v[0:1], v[2:3], off offset:8 sc1
.LBB11_39:
	s_or_b64 exec, exec, s[10:11]
	s_waitcnt vmcnt(0)
	global_load_dwordx2 v[2:3], v[0:1], off offset:16
	s_waitcnt vmcnt(0)
	v_cmp_eq_u64_e32 vcc, 0, v[2:3]
	s_cbranch_vccnz .LBB11_41
; %bb.40:
	global_load_dword v0, v[0:1], off offset:24
	v_mov_b32_e32 v1, 0
	buffer_wbl2 sc0 sc1
	s_waitcnt vmcnt(0)
	global_store_dwordx2 v[2:3], v[0:1], off sc0 sc1
	v_and_b32_e32 v0, 0xffffff, v0
	s_nop 0
	v_readfirstlane_b32 m0, v0
	s_sendmsg sendmsg(MSG_INTERRUPT)
.LBB11_41:
	s_or_b64 exec, exec, s[4:5]
	v_lshl_add_u64 v[0:1], v[6:7], 0, v[60:61]
	s_branch .LBB11_45
.LBB11_42:                              ;   in Loop: Header=BB11_45 Depth=1
	s_or_b64 exec, exec, s[4:5]
	v_readfirstlane_b32 s4, v2
	s_cmp_eq_u32 s4, 0
	s_cbranch_scc1 .LBB11_44
; %bb.43:                               ;   in Loop: Header=BB11_45 Depth=1
	s_sleep 1
	s_cbranch_execnz .LBB11_45
	s_branch .LBB11_47
.LBB11_44:
	s_branch .LBB11_47
.LBB11_45:                              ; =>This Inner Loop Header: Depth=1
	v_mov_b32_e32 v2, 1
	s_and_saveexec_b64 s[4:5], s[0:1]
	s_cbranch_execz .LBB11_42
; %bb.46:                               ;   in Loop: Header=BB11_45 Depth=1
	global_load_dword v2, v[4:5], off offset:20 sc0 sc1
	s_waitcnt vmcnt(0)
	buffer_inv sc0 sc1
	v_and_b32_e32 v2, 1, v2
	s_branch .LBB11_42
.LBB11_47:
	global_load_dwordx2 v[4:5], v[0:1], off
	s_and_saveexec_b64 s[4:5], s[0:1]
	s_cbranch_execz .LBB11_50
; %bb.48:
	v_mov_b32_e32 v8, 0
	global_load_dwordx2 v[6:7], v8, s[44:45] offset:40
	global_load_dwordx2 v[10:11], v8, s[44:45] offset:24 sc0 sc1
	global_load_dwordx2 v[12:13], v8, s[44:45]
	s_mov_b64 s[0:1], 0
	s_waitcnt vmcnt(2)
	v_lshl_add_u64 v[0:1], v[6:7], 0, 1
	v_lshl_add_u64 v[14:15], v[0:1], 0, s[2:3]
	v_cmp_eq_u64_e32 vcc, 0, v[14:15]
	s_waitcnt vmcnt(1)
	v_mov_b32_e32 v2, v10
	v_cndmask_b32_e32 v1, v15, v1, vcc
	v_cndmask_b32_e32 v0, v14, v0, vcc
	v_and_b32_e32 v3, v1, v7
	v_and_b32_e32 v6, v0, v6
	v_mul_lo_u32 v3, v3, 24
	v_mul_hi_u32 v7, v6, 24
	v_mul_lo_u32 v6, v6, 24
	v_add_u32_e32 v7, v7, v3
	s_waitcnt vmcnt(0)
	v_lshl_add_u64 v[6:7], v[12:13], 0, v[6:7]
	global_store_dwordx2 v[6:7], v[10:11], off
	v_mov_b32_e32 v3, v11
	buffer_wbl2 sc0 sc1
	s_waitcnt vmcnt(0)
	global_atomic_cmpswap_x2 v[2:3], v8, v[0:3], s[44:45] offset:24 sc0 sc1
	s_waitcnt vmcnt(0)
	v_cmp_ne_u64_e32 vcc, v[2:3], v[10:11]
	s_and_b64 exec, exec, vcc
	s_cbranch_execz .LBB11_50
.LBB11_49:                              ; =>This Inner Loop Header: Depth=1
	s_sleep 1
	global_store_dwordx2 v[6:7], v[2:3], off
	buffer_wbl2 sc0 sc1
	s_waitcnt vmcnt(0)
	global_atomic_cmpswap_x2 v[10:11], v8, v[0:3], s[44:45] offset:24 sc0 sc1
	s_waitcnt vmcnt(0)
	v_cmp_eq_u64_e32 vcc, v[10:11], v[2:3]
	s_or_b64 s[0:1], vcc, s[0:1]
	v_mov_b64_e32 v[2:3], v[10:11]
	s_andn2_b64 exec, exec, s[0:1]
	s_cbranch_execnz .LBB11_49
.LBB11_50:
	s_or_b64 exec, exec, s[4:5]
	s_getpc_b64 s[4:5]
	s_add_u32 s4, s4, .str.5@rel32@lo+4
	s_addc_u32 s5, s5, .str.5@rel32@hi+12
	s_cmp_lg_u64 s[4:5], 0
	s_cselect_b64 s[2:3], -1, 0
	s_and_b64 vcc, exec, s[2:3]
	s_cbranch_vccz .LBB11_135
; %bb.51:
	s_waitcnt vmcnt(0)
	v_and_b32_e32 v26, 2, v4
	v_mov_b32_e32 v29, 0
	v_and_b32_e32 v0, -3, v4
	v_mov_b32_e32 v1, v5
	s_mov_b64 s[6:7], 3
	v_mov_b32_e32 v8, 2
	v_mov_b32_e32 v9, 1
	s_branch .LBB11_53
.LBB11_52:                              ;   in Loop: Header=BB11_53 Depth=1
	s_or_b64 exec, exec, s[18:19]
	s_sub_u32 s6, s6, s10
	s_subb_u32 s7, s7, s11
	s_add_u32 s4, s4, s10
	s_addc_u32 s5, s5, s11
	s_cmp_lg_u64 s[6:7], 0
	s_cbranch_scc0 .LBB11_134
.LBB11_53:                              ; =>This Loop Header: Depth=1
                                        ;     Child Loop BB11_56 Depth 2
                                        ;     Child Loop BB11_63 Depth 2
	;; [unrolled: 1-line block ×11, first 2 shown]
	v_cmp_lt_u64_e64 s[0:1], s[6:7], 56
	s_and_b64 s[0:1], s[0:1], exec
	v_cmp_gt_u64_e64 s[0:1], s[6:7], 7
	s_cselect_b32 s11, s7, 0
	s_cselect_b32 s10, s6, 56
	s_and_b64 vcc, exec, s[0:1]
	s_cbranch_vccnz .LBB11_58
; %bb.54:                               ;   in Loop: Header=BB11_53 Depth=1
	s_mov_b64 s[0:1], 0
	s_cmp_eq_u64 s[6:7], 0
	s_waitcnt vmcnt(0)
	v_mov_b64_e32 v[2:3], 0
	s_cbranch_scc1 .LBB11_57
; %bb.55:                               ;   in Loop: Header=BB11_53 Depth=1
	s_lshl_b64 s[16:17], s[10:11], 3
	s_mov_b64 s[18:19], 0
	v_mov_b64_e32 v[2:3], 0
	s_mov_b64 s[20:21], s[4:5]
.LBB11_56:                              ;   Parent Loop BB11_53 Depth=1
                                        ; =>  This Inner Loop Header: Depth=2
	global_load_ubyte v6, v29, s[20:21]
	s_waitcnt vmcnt(0)
	v_and_b32_e32 v28, 0xffff, v6
	v_lshlrev_b64 v[6:7], s18, v[28:29]
	s_add_u32 s18, s18, 8
	s_addc_u32 s19, s19, 0
	s_add_u32 s20, s20, 1
	s_addc_u32 s21, s21, 0
	v_or_b32_e32 v2, v6, v2
	s_cmp_lg_u32 s16, s18
	v_or_b32_e32 v3, v7, v3
	s_cbranch_scc1 .LBB11_56
.LBB11_57:                              ;   in Loop: Header=BB11_53 Depth=1
	s_mov_b32 s15, 0
	s_andn2_b64 vcc, exec, s[0:1]
	s_mov_b64 s[0:1], s[4:5]
	s_cbranch_vccz .LBB11_59
	s_branch .LBB11_60
.LBB11_58:                              ;   in Loop: Header=BB11_53 Depth=1
                                        ; implicit-def: $vgpr2_vgpr3
                                        ; implicit-def: $sgpr15
	s_mov_b64 s[0:1], s[4:5]
.LBB11_59:                              ;   in Loop: Header=BB11_53 Depth=1
	global_load_dwordx2 v[2:3], v29, s[4:5]
	s_add_i32 s15, s10, -8
	s_add_u32 s0, s4, 8
	s_addc_u32 s1, s5, 0
.LBB11_60:                              ;   in Loop: Header=BB11_53 Depth=1
	s_cmp_gt_u32 s15, 7
	s_cbranch_scc1 .LBB11_64
; %bb.61:                               ;   in Loop: Header=BB11_53 Depth=1
	s_cmp_eq_u32 s15, 0
	s_cbranch_scc1 .LBB11_65
; %bb.62:                               ;   in Loop: Header=BB11_53 Depth=1
	s_mov_b64 s[16:17], 0
	v_mov_b64_e32 v[10:11], 0
	s_mov_b64 s[18:19], 0
.LBB11_63:                              ;   Parent Loop BB11_53 Depth=1
                                        ; =>  This Inner Loop Header: Depth=2
	s_add_u32 s20, s0, s18
	s_addc_u32 s21, s1, s19
	global_load_ubyte v6, v29, s[20:21]
	s_add_u32 s18, s18, 1
	s_addc_u32 s19, s19, 0
	s_waitcnt vmcnt(0)
	v_and_b32_e32 v28, 0xffff, v6
	v_lshlrev_b64 v[6:7], s16, v[28:29]
	s_add_u32 s16, s16, 8
	s_addc_u32 s17, s17, 0
	v_or_b32_e32 v10, v6, v10
	s_cmp_lg_u32 s15, s18
	v_or_b32_e32 v11, v7, v11
	s_cbranch_scc1 .LBB11_63
	s_branch .LBB11_66
.LBB11_64:                              ;   in Loop: Header=BB11_53 Depth=1
                                        ; implicit-def: $vgpr10_vgpr11
                                        ; implicit-def: $sgpr20
	s_branch .LBB11_67
.LBB11_65:                              ;   in Loop: Header=BB11_53 Depth=1
	v_mov_b64_e32 v[10:11], 0
.LBB11_66:                              ;   in Loop: Header=BB11_53 Depth=1
	s_mov_b32 s20, 0
	s_cbranch_execnz .LBB11_68
.LBB11_67:                              ;   in Loop: Header=BB11_53 Depth=1
	global_load_dwordx2 v[10:11], v29, s[0:1]
	s_add_i32 s20, s15, -8
	s_add_u32 s0, s0, 8
	s_addc_u32 s1, s1, 0
.LBB11_68:                              ;   in Loop: Header=BB11_53 Depth=1
	s_cmp_gt_u32 s20, 7
	s_cbranch_scc1 .LBB11_72
; %bb.69:                               ;   in Loop: Header=BB11_53 Depth=1
	s_cmp_eq_u32 s20, 0
	s_cbranch_scc1 .LBB11_73
; %bb.70:                               ;   in Loop: Header=BB11_53 Depth=1
	s_mov_b64 s[16:17], 0
	v_mov_b64_e32 v[12:13], 0
	s_mov_b64 s[18:19], 0
.LBB11_71:                              ;   Parent Loop BB11_53 Depth=1
                                        ; =>  This Inner Loop Header: Depth=2
	s_add_u32 s22, s0, s18
	s_addc_u32 s23, s1, s19
	global_load_ubyte v6, v29, s[22:23]
	s_add_u32 s18, s18, 1
	s_addc_u32 s19, s19, 0
	s_waitcnt vmcnt(0)
	v_and_b32_e32 v28, 0xffff, v6
	v_lshlrev_b64 v[6:7], s16, v[28:29]
	s_add_u32 s16, s16, 8
	s_addc_u32 s17, s17, 0
	v_or_b32_e32 v12, v6, v12
	s_cmp_lg_u32 s20, s18
	v_or_b32_e32 v13, v7, v13
	s_cbranch_scc1 .LBB11_71
	s_branch .LBB11_74
.LBB11_72:                              ;   in Loop: Header=BB11_53 Depth=1
                                        ; implicit-def: $sgpr15
	s_branch .LBB11_75
.LBB11_73:                              ;   in Loop: Header=BB11_53 Depth=1
	v_mov_b64_e32 v[12:13], 0
.LBB11_74:                              ;   in Loop: Header=BB11_53 Depth=1
	s_mov_b32 s15, 0
	s_cbranch_execnz .LBB11_76
.LBB11_75:                              ;   in Loop: Header=BB11_53 Depth=1
	global_load_dwordx2 v[12:13], v29, s[0:1]
	s_add_i32 s15, s20, -8
	s_add_u32 s0, s0, 8
	s_addc_u32 s1, s1, 0
.LBB11_76:                              ;   in Loop: Header=BB11_53 Depth=1
	s_cmp_gt_u32 s15, 7
	s_cbranch_scc1 .LBB11_80
; %bb.77:                               ;   in Loop: Header=BB11_53 Depth=1
	s_cmp_eq_u32 s15, 0
	s_cbranch_scc1 .LBB11_81
; %bb.78:                               ;   in Loop: Header=BB11_53 Depth=1
	s_mov_b64 s[16:17], 0
	v_mov_b64_e32 v[14:15], 0
	s_mov_b64 s[18:19], 0
.LBB11_79:                              ;   Parent Loop BB11_53 Depth=1
                                        ; =>  This Inner Loop Header: Depth=2
	s_add_u32 s20, s0, s18
	s_addc_u32 s21, s1, s19
	global_load_ubyte v6, v29, s[20:21]
	s_add_u32 s18, s18, 1
	s_addc_u32 s19, s19, 0
	s_waitcnt vmcnt(0)
	v_and_b32_e32 v28, 0xffff, v6
	v_lshlrev_b64 v[6:7], s16, v[28:29]
	s_add_u32 s16, s16, 8
	s_addc_u32 s17, s17, 0
	v_or_b32_e32 v14, v6, v14
	s_cmp_lg_u32 s15, s18
	v_or_b32_e32 v15, v7, v15
	s_cbranch_scc1 .LBB11_79
	s_branch .LBB11_82
.LBB11_80:                              ;   in Loop: Header=BB11_53 Depth=1
                                        ; implicit-def: $vgpr14_vgpr15
                                        ; implicit-def: $sgpr20
	s_branch .LBB11_83
.LBB11_81:                              ;   in Loop: Header=BB11_53 Depth=1
	v_mov_b64_e32 v[14:15], 0
.LBB11_82:                              ;   in Loop: Header=BB11_53 Depth=1
	s_mov_b32 s20, 0
	s_cbranch_execnz .LBB11_84
.LBB11_83:                              ;   in Loop: Header=BB11_53 Depth=1
	global_load_dwordx2 v[14:15], v29, s[0:1]
	s_add_i32 s20, s15, -8
	s_add_u32 s0, s0, 8
	s_addc_u32 s1, s1, 0
.LBB11_84:                              ;   in Loop: Header=BB11_53 Depth=1
	s_cmp_gt_u32 s20, 7
	s_cbranch_scc1 .LBB11_88
; %bb.85:                               ;   in Loop: Header=BB11_53 Depth=1
	s_cmp_eq_u32 s20, 0
	s_cbranch_scc1 .LBB11_89
; %bb.86:                               ;   in Loop: Header=BB11_53 Depth=1
	s_mov_b64 s[16:17], 0
	v_mov_b64_e32 v[16:17], 0
	s_mov_b64 s[18:19], 0
.LBB11_87:                              ;   Parent Loop BB11_53 Depth=1
                                        ; =>  This Inner Loop Header: Depth=2
	s_add_u32 s22, s0, s18
	s_addc_u32 s23, s1, s19
	global_load_ubyte v6, v29, s[22:23]
	s_add_u32 s18, s18, 1
	s_addc_u32 s19, s19, 0
	s_waitcnt vmcnt(0)
	v_and_b32_e32 v28, 0xffff, v6
	v_lshlrev_b64 v[6:7], s16, v[28:29]
	s_add_u32 s16, s16, 8
	s_addc_u32 s17, s17, 0
	v_or_b32_e32 v16, v6, v16
	s_cmp_lg_u32 s20, s18
	v_or_b32_e32 v17, v7, v17
	s_cbranch_scc1 .LBB11_87
	s_branch .LBB11_90
.LBB11_88:                              ;   in Loop: Header=BB11_53 Depth=1
                                        ; implicit-def: $sgpr15
	s_branch .LBB11_91
.LBB11_89:                              ;   in Loop: Header=BB11_53 Depth=1
	v_mov_b64_e32 v[16:17], 0
.LBB11_90:                              ;   in Loop: Header=BB11_53 Depth=1
	s_mov_b32 s15, 0
	s_cbranch_execnz .LBB11_92
.LBB11_91:                              ;   in Loop: Header=BB11_53 Depth=1
	global_load_dwordx2 v[16:17], v29, s[0:1]
	s_add_i32 s15, s20, -8
	s_add_u32 s0, s0, 8
	s_addc_u32 s1, s1, 0
.LBB11_92:                              ;   in Loop: Header=BB11_53 Depth=1
	s_cmp_gt_u32 s15, 7
	s_cbranch_scc1 .LBB11_96
; %bb.93:                               ;   in Loop: Header=BB11_53 Depth=1
	s_cmp_eq_u32 s15, 0
	s_cbranch_scc1 .LBB11_97
; %bb.94:                               ;   in Loop: Header=BB11_53 Depth=1
	s_mov_b64 s[16:17], 0
	v_mov_b64_e32 v[18:19], 0
	s_mov_b64 s[18:19], 0
.LBB11_95:                              ;   Parent Loop BB11_53 Depth=1
                                        ; =>  This Inner Loop Header: Depth=2
	s_add_u32 s20, s0, s18
	s_addc_u32 s21, s1, s19
	global_load_ubyte v6, v29, s[20:21]
	s_add_u32 s18, s18, 1
	s_addc_u32 s19, s19, 0
	s_waitcnt vmcnt(0)
	v_and_b32_e32 v28, 0xffff, v6
	v_lshlrev_b64 v[6:7], s16, v[28:29]
	s_add_u32 s16, s16, 8
	s_addc_u32 s17, s17, 0
	v_or_b32_e32 v18, v6, v18
	s_cmp_lg_u32 s15, s18
	v_or_b32_e32 v19, v7, v19
	s_cbranch_scc1 .LBB11_95
	s_branch .LBB11_98
.LBB11_96:                              ;   in Loop: Header=BB11_53 Depth=1
                                        ; implicit-def: $vgpr18_vgpr19
                                        ; implicit-def: $sgpr20
	s_branch .LBB11_99
.LBB11_97:                              ;   in Loop: Header=BB11_53 Depth=1
	v_mov_b64_e32 v[18:19], 0
.LBB11_98:                              ;   in Loop: Header=BB11_53 Depth=1
	s_mov_b32 s20, 0
	s_cbranch_execnz .LBB11_100
.LBB11_99:                              ;   in Loop: Header=BB11_53 Depth=1
	global_load_dwordx2 v[18:19], v29, s[0:1]
	s_add_i32 s20, s15, -8
	s_add_u32 s0, s0, 8
	s_addc_u32 s1, s1, 0
.LBB11_100:                             ;   in Loop: Header=BB11_53 Depth=1
	s_cmp_gt_u32 s20, 7
	s_cbranch_scc1 .LBB11_104
; %bb.101:                              ;   in Loop: Header=BB11_53 Depth=1
	s_cmp_eq_u32 s20, 0
	s_cbranch_scc1 .LBB11_105
; %bb.102:                              ;   in Loop: Header=BB11_53 Depth=1
	s_mov_b64 s[16:17], 0
	v_mov_b64_e32 v[20:21], 0
	s_mov_b64 s[18:19], s[0:1]
.LBB11_103:                             ;   Parent Loop BB11_53 Depth=1
                                        ; =>  This Inner Loop Header: Depth=2
	global_load_ubyte v6, v29, s[18:19]
	s_add_i32 s20, s20, -1
	s_waitcnt vmcnt(0)
	v_and_b32_e32 v28, 0xffff, v6
	v_lshlrev_b64 v[6:7], s16, v[28:29]
	s_add_u32 s16, s16, 8
	s_addc_u32 s17, s17, 0
	s_add_u32 s18, s18, 1
	s_addc_u32 s19, s19, 0
	v_or_b32_e32 v20, v6, v20
	s_cmp_lg_u32 s20, 0
	v_or_b32_e32 v21, v7, v21
	s_cbranch_scc1 .LBB11_103
	s_branch .LBB11_106
.LBB11_104:                             ;   in Loop: Header=BB11_53 Depth=1
	s_branch .LBB11_107
.LBB11_105:                             ;   in Loop: Header=BB11_53 Depth=1
	v_mov_b64_e32 v[20:21], 0
.LBB11_106:                             ;   in Loop: Header=BB11_53 Depth=1
	s_cbranch_execnz .LBB11_108
.LBB11_107:                             ;   in Loop: Header=BB11_53 Depth=1
	global_load_dwordx2 v[20:21], v29, s[0:1]
.LBB11_108:                             ;   in Loop: Header=BB11_53 Depth=1
	v_readfirstlane_b32 s0, v47
	v_mov_b64_e32 v[6:7], 0
	s_nop 0
	v_cmp_eq_u32_e64 s[0:1], s0, v47
	s_and_saveexec_b64 s[16:17], s[0:1]
	s_cbranch_execz .LBB11_114
; %bb.109:                              ;   in Loop: Header=BB11_53 Depth=1
	global_load_dwordx2 v[24:25], v29, s[44:45] offset:24 sc0 sc1
	s_waitcnt vmcnt(0)
	buffer_inv sc0 sc1
	global_load_dwordx2 v[6:7], v29, s[44:45] offset:40
	global_load_dwordx2 v[22:23], v29, s[44:45]
	s_waitcnt vmcnt(1)
	v_and_b32_e32 v6, v6, v24
	v_and_b32_e32 v7, v7, v25
	v_mul_lo_u32 v7, v7, 24
	v_mul_hi_u32 v27, v6, 24
	v_add_u32_e32 v7, v27, v7
	v_mul_lo_u32 v6, v6, 24
	s_waitcnt vmcnt(0)
	v_lshl_add_u64 v[6:7], v[22:23], 0, v[6:7]
	global_load_dwordx2 v[22:23], v[6:7], off sc0 sc1
	s_waitcnt vmcnt(0)
	global_atomic_cmpswap_x2 v[6:7], v29, v[22:25], s[44:45] offset:24 sc0 sc1
	s_waitcnt vmcnt(0)
	buffer_inv sc0 sc1
	v_cmp_ne_u64_e32 vcc, v[6:7], v[24:25]
	s_and_saveexec_b64 s[18:19], vcc
	s_cbranch_execz .LBB11_113
; %bb.110:                              ;   in Loop: Header=BB11_53 Depth=1
	s_mov_b64 s[20:21], 0
.LBB11_111:                             ;   Parent Loop BB11_53 Depth=1
                                        ; =>  This Inner Loop Header: Depth=2
	s_sleep 1
	global_load_dwordx2 v[22:23], v29, s[44:45] offset:40
	global_load_dwordx2 v[30:31], v29, s[44:45]
	v_mov_b64_e32 v[24:25], v[6:7]
	s_waitcnt vmcnt(1)
	v_and_b32_e32 v6, v22, v24
	s_waitcnt vmcnt(0)
	v_mad_u64_u32 v[6:7], s[22:23], v6, 24, v[30:31]
	v_and_b32_e32 v23, v23, v25
	v_mov_b32_e32 v22, v7
	v_mad_u64_u32 v[22:23], s[22:23], v23, 24, v[22:23]
	v_mov_b32_e32 v7, v22
	global_load_dwordx2 v[22:23], v[6:7], off sc0 sc1
	s_waitcnt vmcnt(0)
	global_atomic_cmpswap_x2 v[6:7], v29, v[22:25], s[44:45] offset:24 sc0 sc1
	s_waitcnt vmcnt(0)
	buffer_inv sc0 sc1
	v_cmp_eq_u64_e32 vcc, v[6:7], v[24:25]
	s_or_b64 s[20:21], vcc, s[20:21]
	s_andn2_b64 exec, exec, s[20:21]
	s_cbranch_execnz .LBB11_111
; %bb.112:                              ;   in Loop: Header=BB11_53 Depth=1
	s_or_b64 exec, exec, s[20:21]
.LBB11_113:                             ;   in Loop: Header=BB11_53 Depth=1
	s_or_b64 exec, exec, s[18:19]
.LBB11_114:                             ;   in Loop: Header=BB11_53 Depth=1
	s_or_b64 exec, exec, s[16:17]
	global_load_dwordx2 v[30:31], v29, s[44:45] offset:40
	global_load_dwordx4 v[22:25], v29, s[44:45]
	v_readfirstlane_b32 s16, v6
	v_readfirstlane_b32 s17, v7
	s_mov_b64 s[18:19], exec
	s_waitcnt vmcnt(1)
	v_readfirstlane_b32 s20, v30
	v_readfirstlane_b32 s21, v31
	s_and_b64 s[20:21], s[16:17], s[20:21]
	s_mul_i32 s15, s21, 24
	s_mul_hi_u32 s22, s20, 24
	s_add_i32 s23, s22, s15
	s_mul_i32 s22, s20, 24
	s_waitcnt vmcnt(0)
	v_lshl_add_u64 v[30:31], v[22:23], 0, s[22:23]
	s_and_saveexec_b64 s[22:23], s[0:1]
	s_cbranch_execz .LBB11_116
; %bb.115:                              ;   in Loop: Header=BB11_53 Depth=1
	v_mov_b64_e32 v[6:7], s[18:19]
	global_store_dwordx4 v[30:31], v[6:9], off offset:8
.LBB11_116:                             ;   in Loop: Header=BB11_53 Depth=1
	s_or_b64 exec, exec, s[22:23]
	s_lshl_b64 s[18:19], s[20:21], 12
	v_lshl_add_u64 v[6:7], v[24:25], 0, s[18:19]
	v_or_b32_e32 v25, v0, v26
	v_cmp_gt_u64_e64 vcc, s[6:7], 56
	s_lshl_b32 s15, s10, 2
	s_add_i32 s15, s15, 28
	v_cndmask_b32_e32 v0, v25, v0, vcc
	v_or_b32_e32 v24, 0, v1
	s_and_b32 s15, s15, 0x1e0
	v_and_b32_e32 v0, 0xffffff1f, v0
	v_cndmask_b32_e32 v1, v24, v1, vcc
	v_or_b32_e32 v0, s15, v0
	v_readfirstlane_b32 s18, v6
	v_readfirstlane_b32 s19, v7
	s_nop 4
	global_store_dwordx4 v60, v[0:3], s[18:19]
	global_store_dwordx4 v60, v[10:13], s[18:19] offset:16
	global_store_dwordx4 v60, v[14:17], s[18:19] offset:32
	;; [unrolled: 1-line block ×3, first 2 shown]
	s_and_saveexec_b64 s[18:19], s[0:1]
	s_cbranch_execz .LBB11_124
; %bb.117:                              ;   in Loop: Header=BB11_53 Depth=1
	global_load_dwordx2 v[14:15], v29, s[44:45] offset:32 sc0 sc1
	global_load_dwordx2 v[0:1], v29, s[44:45] offset:40
	v_mov_b32_e32 v12, s16
	v_mov_b32_e32 v13, s17
	s_waitcnt vmcnt(0)
	v_readfirstlane_b32 s20, v0
	v_readfirstlane_b32 s21, v1
	s_and_b64 s[20:21], s[20:21], s[16:17]
	s_mul_i32 s15, s21, 24
	s_mul_hi_u32 s21, s20, 24
	s_mul_i32 s20, s20, 24
	s_add_i32 s21, s21, s15
	v_lshl_add_u64 v[10:11], v[22:23], 0, s[20:21]
	global_store_dwordx2 v[10:11], v[14:15], off
	buffer_wbl2 sc0 sc1
	s_waitcnt vmcnt(0)
	global_atomic_cmpswap_x2 v[2:3], v29, v[12:15], s[44:45] offset:32 sc0 sc1
	s_waitcnt vmcnt(0)
	v_cmp_ne_u64_e32 vcc, v[2:3], v[14:15]
	s_and_saveexec_b64 s[20:21], vcc
	s_cbranch_execz .LBB11_120
; %bb.118:                              ;   in Loop: Header=BB11_53 Depth=1
	s_mov_b64 s[22:23], 0
.LBB11_119:                             ;   Parent Loop BB11_53 Depth=1
                                        ; =>  This Inner Loop Header: Depth=2
	s_sleep 1
	global_store_dwordx2 v[10:11], v[2:3], off
	v_mov_b32_e32 v0, s16
	v_mov_b32_e32 v1, s17
	buffer_wbl2 sc0 sc1
	s_waitcnt vmcnt(0)
	global_atomic_cmpswap_x2 v[0:1], v29, v[0:3], s[44:45] offset:32 sc0 sc1
	s_waitcnt vmcnt(0)
	v_cmp_eq_u64_e32 vcc, v[0:1], v[2:3]
	s_or_b64 s[22:23], vcc, s[22:23]
	v_mov_b64_e32 v[2:3], v[0:1]
	s_andn2_b64 exec, exec, s[22:23]
	s_cbranch_execnz .LBB11_119
.LBB11_120:                             ;   in Loop: Header=BB11_53 Depth=1
	s_or_b64 exec, exec, s[20:21]
	global_load_dwordx2 v[0:1], v29, s[44:45] offset:16
	s_mov_b64 s[22:23], exec
	v_mbcnt_lo_u32_b32 v2, s22, 0
	v_mbcnt_hi_u32_b32 v2, s23, v2
	v_cmp_eq_u32_e32 vcc, 0, v2
	s_and_saveexec_b64 s[20:21], vcc
	s_cbranch_execz .LBB11_122
; %bb.121:                              ;   in Loop: Header=BB11_53 Depth=1
	s_bcnt1_i32_b64 s15, s[22:23]
	v_mov_b32_e32 v28, s15
	buffer_wbl2 sc0 sc1
	s_waitcnt vmcnt(0)
	global_atomic_add_x2 v[0:1], v[28:29], off offset:8 sc1
.LBB11_122:                             ;   in Loop: Header=BB11_53 Depth=1
	s_or_b64 exec, exec, s[20:21]
	s_waitcnt vmcnt(0)
	global_load_dwordx2 v[2:3], v[0:1], off offset:16
	s_waitcnt vmcnt(0)
	v_cmp_eq_u64_e32 vcc, 0, v[2:3]
	s_cbranch_vccnz .LBB11_124
; %bb.123:                              ;   in Loop: Header=BB11_53 Depth=1
	global_load_dword v28, v[0:1], off offset:24
	s_waitcnt vmcnt(0)
	v_and_b32_e32 v0, 0xffffff, v28
	s_nop 0
	v_readfirstlane_b32 m0, v0
	buffer_wbl2 sc0 sc1
	global_store_dwordx2 v[2:3], v[28:29], off sc0 sc1
	s_sendmsg sendmsg(MSG_INTERRUPT)
.LBB11_124:                             ;   in Loop: Header=BB11_53 Depth=1
	s_or_b64 exec, exec, s[18:19]
	v_mov_b32_e32 v61, v29
	v_lshl_add_u64 v[0:1], v[6:7], 0, v[60:61]
	s_branch .LBB11_128
.LBB11_125:                             ;   in Loop: Header=BB11_128 Depth=2
	s_or_b64 exec, exec, s[18:19]
	v_readfirstlane_b32 s15, v2
	s_cmp_eq_u32 s15, 0
	s_cbranch_scc1 .LBB11_127
; %bb.126:                              ;   in Loop: Header=BB11_128 Depth=2
	s_sleep 1
	s_cbranch_execnz .LBB11_128
	s_branch .LBB11_130
.LBB11_127:                             ;   in Loop: Header=BB11_53 Depth=1
	s_branch .LBB11_130
.LBB11_128:                             ;   Parent Loop BB11_53 Depth=1
                                        ; =>  This Inner Loop Header: Depth=2
	v_mov_b32_e32 v2, 1
	s_and_saveexec_b64 s[18:19], s[0:1]
	s_cbranch_execz .LBB11_125
; %bb.129:                              ;   in Loop: Header=BB11_128 Depth=2
	global_load_dword v2, v[30:31], off offset:20 sc0 sc1
	s_waitcnt vmcnt(0)
	buffer_inv sc0 sc1
	v_and_b32_e32 v2, 1, v2
	s_branch .LBB11_125
.LBB11_130:                             ;   in Loop: Header=BB11_53 Depth=1
	global_load_dwordx4 v[0:3], v[0:1], off
	s_and_saveexec_b64 s[18:19], s[0:1]
	s_cbranch_execz .LBB11_52
; %bb.131:                              ;   in Loop: Header=BB11_53 Depth=1
	global_load_dwordx2 v[2:3], v29, s[44:45] offset:40
	global_load_dwordx2 v[6:7], v29, s[44:45] offset:24 sc0 sc1
	global_load_dwordx2 v[14:15], v29, s[44:45]
	s_waitcnt vmcnt(2)
	v_lshl_add_u64 v[10:11], v[2:3], 0, 1
	v_lshl_add_u64 v[16:17], v[10:11], 0, s[16:17]
	v_cmp_eq_u64_e32 vcc, 0, v[16:17]
	s_waitcnt vmcnt(1)
	v_mov_b32_e32 v12, v6
	v_cndmask_b32_e32 v11, v17, v11, vcc
	v_cndmask_b32_e32 v10, v16, v10, vcc
	v_and_b32_e32 v3, v11, v3
	v_and_b32_e32 v2, v10, v2
	v_mul_lo_u32 v3, v3, 24
	v_mul_hi_u32 v13, v2, 24
	v_mul_lo_u32 v2, v2, 24
	v_add_u32_e32 v3, v13, v3
	s_waitcnt vmcnt(0)
	v_lshl_add_u64 v[2:3], v[14:15], 0, v[2:3]
	global_store_dwordx2 v[2:3], v[6:7], off
	v_mov_b32_e32 v13, v7
	buffer_wbl2 sc0 sc1
	s_waitcnt vmcnt(0)
	global_atomic_cmpswap_x2 v[12:13], v29, v[10:13], s[44:45] offset:24 sc0 sc1
	s_waitcnt vmcnt(0)
	v_cmp_ne_u64_e32 vcc, v[12:13], v[6:7]
	s_and_b64 exec, exec, vcc
	s_cbranch_execz .LBB11_52
; %bb.132:                              ;   in Loop: Header=BB11_53 Depth=1
	s_mov_b64 s[0:1], 0
.LBB11_133:                             ;   Parent Loop BB11_53 Depth=1
                                        ; =>  This Inner Loop Header: Depth=2
	s_sleep 1
	global_store_dwordx2 v[2:3], v[12:13], off
	buffer_wbl2 sc0 sc1
	s_waitcnt vmcnt(0)
	global_atomic_cmpswap_x2 v[6:7], v29, v[10:13], s[44:45] offset:24 sc0 sc1
	s_waitcnt vmcnt(0)
	v_cmp_eq_u64_e32 vcc, v[6:7], v[12:13]
	s_or_b64 s[0:1], vcc, s[0:1]
	v_mov_b64_e32 v[12:13], v[6:7]
	s_andn2_b64 exec, exec, s[0:1]
	s_cbranch_execnz .LBB11_133
	s_branch .LBB11_52
.LBB11_134:
	s_branch .LBB11_162
.LBB11_135:
                                        ; implicit-def: $vgpr0_vgpr1
	s_cbranch_execz .LBB11_162
; %bb.136:
	v_readfirstlane_b32 s0, v47
	v_mov_b64_e32 v[6:7], 0
	s_nop 0
	v_cmp_eq_u32_e64 s[0:1], s0, v47
	s_and_saveexec_b64 s[4:5], s[0:1]
	s_cbranch_execz .LBB11_142
; %bb.137:
	s_waitcnt vmcnt(0)
	v_mov_b32_e32 v0, 0
	global_load_dwordx2 v[8:9], v0, s[44:45] offset:24 sc0 sc1
	s_waitcnt vmcnt(0)
	buffer_inv sc0 sc1
	global_load_dwordx2 v[2:3], v0, s[44:45] offset:40
	global_load_dwordx2 v[6:7], v0, s[44:45]
	s_waitcnt vmcnt(1)
	v_and_b32_e32 v1, v2, v8
	v_and_b32_e32 v2, v3, v9
	v_mul_lo_u32 v2, v2, 24
	v_mul_hi_u32 v3, v1, 24
	v_add_u32_e32 v3, v3, v2
	v_mul_lo_u32 v2, v1, 24
	s_waitcnt vmcnt(0)
	v_lshl_add_u64 v[2:3], v[6:7], 0, v[2:3]
	global_load_dwordx2 v[6:7], v[2:3], off sc0 sc1
	s_waitcnt vmcnt(0)
	global_atomic_cmpswap_x2 v[6:7], v0, v[6:9], s[44:45] offset:24 sc0 sc1
	s_waitcnt vmcnt(0)
	buffer_inv sc0 sc1
	v_cmp_ne_u64_e32 vcc, v[6:7], v[8:9]
	s_and_saveexec_b64 s[6:7], vcc
	s_cbranch_execz .LBB11_141
; %bb.138:
	s_mov_b64 s[10:11], 0
.LBB11_139:                             ; =>This Inner Loop Header: Depth=1
	s_sleep 1
	global_load_dwordx2 v[2:3], v0, s[44:45] offset:40
	global_load_dwordx2 v[10:11], v0, s[44:45]
	v_mov_b64_e32 v[8:9], v[6:7]
	s_waitcnt vmcnt(1)
	v_and_b32_e32 v2, v2, v8
	v_and_b32_e32 v1, v3, v9
	s_waitcnt vmcnt(0)
	v_mad_u64_u32 v[2:3], s[16:17], v2, 24, v[10:11]
	v_mov_b32_e32 v6, v3
	v_mad_u64_u32 v[6:7], s[16:17], v1, 24, v[6:7]
	v_mov_b32_e32 v3, v6
	global_load_dwordx2 v[6:7], v[2:3], off sc0 sc1
	s_waitcnt vmcnt(0)
	global_atomic_cmpswap_x2 v[6:7], v0, v[6:9], s[44:45] offset:24 sc0 sc1
	s_waitcnt vmcnt(0)
	buffer_inv sc0 sc1
	v_cmp_eq_u64_e32 vcc, v[6:7], v[8:9]
	s_or_b64 s[10:11], vcc, s[10:11]
	s_andn2_b64 exec, exec, s[10:11]
	s_cbranch_execnz .LBB11_139
; %bb.140:
	s_or_b64 exec, exec, s[10:11]
.LBB11_141:
	s_or_b64 exec, exec, s[6:7]
.LBB11_142:
	s_or_b64 exec, exec, s[4:5]
	v_mov_b32_e32 v61, 0
	global_load_dwordx2 v[8:9], v61, s[44:45] offset:40
	global_load_dwordx4 v[0:3], v61, s[44:45]
	v_readfirstlane_b32 s4, v6
	v_readfirstlane_b32 s5, v7
	s_mov_b64 s[6:7], exec
	s_waitcnt vmcnt(1)
	v_readfirstlane_b32 s10, v8
	v_readfirstlane_b32 s11, v9
	s_and_b64 s[10:11], s[4:5], s[10:11]
	s_mul_i32 s15, s11, 24
	s_mul_hi_u32 s16, s10, 24
	s_add_i32 s17, s16, s15
	s_mul_i32 s16, s10, 24
	s_waitcnt vmcnt(0)
	v_lshl_add_u64 v[8:9], v[0:1], 0, s[16:17]
	s_and_saveexec_b64 s[16:17], s[0:1]
	s_cbranch_execz .LBB11_144
; %bb.143:
	v_mov_b64_e32 v[10:11], s[6:7]
	v_mov_b32_e32 v12, 2
	v_mov_b32_e32 v13, 1
	global_store_dwordx4 v[8:9], v[10:13], off offset:8
.LBB11_144:
	s_or_b64 exec, exec, s[16:17]
	s_lshl_b64 s[6:7], s[10:11], 12
	v_lshl_add_u64 v[10:11], v[2:3], 0, s[6:7]
	s_movk_i32 s6, 0xff1f
	s_mov_b32 s16, 0
	v_and_or_b32 v4, v4, s6, 32
	v_mov_b32_e32 v6, v61
	v_mov_b32_e32 v7, v61
	v_readfirstlane_b32 s6, v10
	v_readfirstlane_b32 s7, v11
	s_mov_b32 s17, s16
	s_mov_b32 s18, s16
	;; [unrolled: 1-line block ×3, first 2 shown]
	s_nop 1
	global_store_dwordx4 v60, v[4:7], s[6:7]
	v_mov_b64_e32 v[2:3], s[16:17]
	s_nop 0
	v_mov_b64_e32 v[4:5], s[18:19]
	global_store_dwordx4 v60, v[2:5], s[6:7] offset:16
	global_store_dwordx4 v60, v[2:5], s[6:7] offset:32
	;; [unrolled: 1-line block ×3, first 2 shown]
	s_and_saveexec_b64 s[6:7], s[0:1]
	s_cbranch_execz .LBB11_152
; %bb.145:
	v_mov_b32_e32 v6, 0
	global_load_dwordx2 v[14:15], v6, s[44:45] offset:32 sc0 sc1
	global_load_dwordx2 v[2:3], v6, s[44:45] offset:40
	v_mov_b32_e32 v12, s4
	v_mov_b32_e32 v13, s5
	s_waitcnt vmcnt(0)
	v_readfirstlane_b32 s10, v2
	v_readfirstlane_b32 s11, v3
	s_and_b64 s[10:11], s[10:11], s[4:5]
	s_mul_i32 s11, s11, 24
	s_mul_hi_u32 s15, s10, 24
	s_mul_i32 s10, s10, 24
	s_add_i32 s11, s15, s11
	v_lshl_add_u64 v[4:5], v[0:1], 0, s[10:11]
	global_store_dwordx2 v[4:5], v[14:15], off
	buffer_wbl2 sc0 sc1
	s_waitcnt vmcnt(0)
	global_atomic_cmpswap_x2 v[2:3], v6, v[12:15], s[44:45] offset:32 sc0 sc1
	s_waitcnt vmcnt(0)
	v_cmp_ne_u64_e32 vcc, v[2:3], v[14:15]
	s_and_saveexec_b64 s[10:11], vcc
	s_cbranch_execz .LBB11_148
; %bb.146:
	s_mov_b64 s[16:17], 0
.LBB11_147:                             ; =>This Inner Loop Header: Depth=1
	s_sleep 1
	global_store_dwordx2 v[4:5], v[2:3], off
	v_mov_b32_e32 v0, s4
	v_mov_b32_e32 v1, s5
	buffer_wbl2 sc0 sc1
	s_waitcnt vmcnt(0)
	global_atomic_cmpswap_x2 v[0:1], v6, v[0:3], s[44:45] offset:32 sc0 sc1
	s_waitcnt vmcnt(0)
	v_cmp_eq_u64_e32 vcc, v[0:1], v[2:3]
	s_or_b64 s[16:17], vcc, s[16:17]
	v_mov_b64_e32 v[2:3], v[0:1]
	s_andn2_b64 exec, exec, s[16:17]
	s_cbranch_execnz .LBB11_147
.LBB11_148:
	s_or_b64 exec, exec, s[10:11]
	v_mov_b32_e32 v3, 0
	global_load_dwordx2 v[0:1], v3, s[44:45] offset:16
	s_mov_b64 s[10:11], exec
	v_mbcnt_lo_u32_b32 v2, s10, 0
	v_mbcnt_hi_u32_b32 v2, s11, v2
	v_cmp_eq_u32_e32 vcc, 0, v2
	s_and_saveexec_b64 s[16:17], vcc
	s_cbranch_execz .LBB11_150
; %bb.149:
	s_bcnt1_i32_b64 s10, s[10:11]
	v_mov_b32_e32 v2, s10
	buffer_wbl2 sc0 sc1
	s_waitcnt vmcnt(0)
	global_atomic_add_x2 v[0:1], v[2:3], off offset:8 sc1
.LBB11_150:
	s_or_b64 exec, exec, s[16:17]
	s_waitcnt vmcnt(0)
	global_load_dwordx2 v[2:3], v[0:1], off offset:16
	s_waitcnt vmcnt(0)
	v_cmp_eq_u64_e32 vcc, 0, v[2:3]
	s_cbranch_vccnz .LBB11_152
; %bb.151:
	global_load_dword v0, v[0:1], off offset:24
	v_mov_b32_e32 v1, 0
	buffer_wbl2 sc0 sc1
	s_waitcnt vmcnt(0)
	global_store_dwordx2 v[2:3], v[0:1], off sc0 sc1
	v_and_b32_e32 v0, 0xffffff, v0
	s_nop 0
	v_readfirstlane_b32 m0, v0
	s_sendmsg sendmsg(MSG_INTERRUPT)
.LBB11_152:
	s_or_b64 exec, exec, s[6:7]
	v_lshl_add_u64 v[0:1], v[10:11], 0, v[60:61]
	s_branch .LBB11_156
.LBB11_153:                             ;   in Loop: Header=BB11_156 Depth=1
	s_or_b64 exec, exec, s[6:7]
	v_readfirstlane_b32 s6, v2
	s_cmp_eq_u32 s6, 0
	s_cbranch_scc1 .LBB11_155
; %bb.154:                              ;   in Loop: Header=BB11_156 Depth=1
	s_sleep 1
	s_cbranch_execnz .LBB11_156
	s_branch .LBB11_158
.LBB11_155:
	s_branch .LBB11_158
.LBB11_156:                             ; =>This Inner Loop Header: Depth=1
	v_mov_b32_e32 v2, 1
	s_and_saveexec_b64 s[6:7], s[0:1]
	s_cbranch_execz .LBB11_153
; %bb.157:                              ;   in Loop: Header=BB11_156 Depth=1
	global_load_dword v2, v[8:9], off offset:20 sc0 sc1
	s_waitcnt vmcnt(0)
	buffer_inv sc0 sc1
	v_and_b32_e32 v2, 1, v2
	s_branch .LBB11_153
.LBB11_158:
	global_load_dwordx2 v[0:1], v[0:1], off
	s_and_saveexec_b64 s[6:7], s[0:1]
	s_cbranch_execz .LBB11_161
; %bb.159:
	v_mov_b32_e32 v8, 0
	global_load_dwordx2 v[6:7], v8, s[44:45] offset:40
	global_load_dwordx2 v[10:11], v8, s[44:45] offset:24 sc0 sc1
	global_load_dwordx2 v[12:13], v8, s[44:45]
	s_mov_b64 s[0:1], 0
	s_waitcnt vmcnt(2)
	v_lshl_add_u64 v[2:3], v[6:7], 0, 1
	v_lshl_add_u64 v[14:15], v[2:3], 0, s[4:5]
	v_cmp_eq_u64_e32 vcc, 0, v[14:15]
	s_waitcnt vmcnt(1)
	v_mov_b32_e32 v4, v10
	v_cndmask_b32_e32 v3, v15, v3, vcc
	v_cndmask_b32_e32 v2, v14, v2, vcc
	v_and_b32_e32 v5, v3, v7
	v_and_b32_e32 v6, v2, v6
	v_mul_lo_u32 v5, v5, 24
	v_mul_hi_u32 v7, v6, 24
	v_mul_lo_u32 v6, v6, 24
	v_add_u32_e32 v7, v7, v5
	s_waitcnt vmcnt(0)
	v_lshl_add_u64 v[6:7], v[12:13], 0, v[6:7]
	global_store_dwordx2 v[6:7], v[10:11], off
	v_mov_b32_e32 v5, v11
	buffer_wbl2 sc0 sc1
	s_waitcnt vmcnt(0)
	global_atomic_cmpswap_x2 v[4:5], v8, v[2:5], s[44:45] offset:24 sc0 sc1
	s_waitcnt vmcnt(0)
	v_cmp_ne_u64_e32 vcc, v[4:5], v[10:11]
	s_and_b64 exec, exec, vcc
	s_cbranch_execz .LBB11_161
.LBB11_160:                             ; =>This Inner Loop Header: Depth=1
	s_sleep 1
	global_store_dwordx2 v[6:7], v[4:5], off
	buffer_wbl2 sc0 sc1
	s_waitcnt vmcnt(0)
	global_atomic_cmpswap_x2 v[10:11], v8, v[2:5], s[44:45] offset:24 sc0 sc1
	s_waitcnt vmcnt(0)
	v_cmp_eq_u64_e32 vcc, v[10:11], v[4:5]
	s_or_b64 s[0:1], vcc, s[0:1]
	v_mov_b64_e32 v[4:5], v[10:11]
	s_andn2_b64 exec, exec, s[0:1]
	s_cbranch_execnz .LBB11_160
.LBB11_161:
	s_or_b64 exec, exec, s[6:7]
.LBB11_162:
	s_getpc_b64 s[4:5]
	s_add_u32 s4, s4, __PRETTY_FUNCTION__._ZL21merge_single_elementsRN8migraphx4test12test_managerE@rel32@lo+4
	s_addc_u32 s5, s5, __PRETTY_FUNCTION__._ZL21merge_single_elementsRN8migraphx4test12test_managerE@rel32@hi+12
	s_cmp_lg_u64 s[4:5], 0
	s_cbranch_scc0 .LBB11_247
; %bb.163:
	s_waitcnt vmcnt(0)
	v_and_b32_e32 v6, -3, v0
	v_mov_b32_e32 v7, v1
	s_mov_b64 s[6:7], 59
	v_mov_b32_e32 v27, 0
	v_mov_b32_e32 v4, 2
	;; [unrolled: 1-line block ×3, first 2 shown]
	s_branch .LBB11_165
.LBB11_164:                             ;   in Loop: Header=BB11_165 Depth=1
	s_or_b64 exec, exec, s[18:19]
	s_sub_u32 s6, s6, s10
	s_subb_u32 s7, s7, s11
	s_add_u32 s4, s4, s10
	s_addc_u32 s5, s5, s11
	s_cmp_lg_u64 s[6:7], 0
	s_cbranch_scc0 .LBB11_246
.LBB11_165:                             ; =>This Loop Header: Depth=1
                                        ;     Child Loop BB11_168 Depth 2
                                        ;     Child Loop BB11_175 Depth 2
	;; [unrolled: 1-line block ×11, first 2 shown]
	v_cmp_lt_u64_e64 s[0:1], s[6:7], 56
	s_and_b64 s[0:1], s[0:1], exec
	v_cmp_gt_u64_e64 s[0:1], s[6:7], 7
	s_cselect_b32 s11, s7, 0
	s_cselect_b32 s10, s6, 56
	s_and_b64 vcc, exec, s[0:1]
	s_cbranch_vccnz .LBB11_170
; %bb.166:                              ;   in Loop: Header=BB11_165 Depth=1
	s_mov_b64 s[0:1], 0
	s_cmp_eq_u64 s[6:7], 0
	s_waitcnt vmcnt(0)
	v_mov_b64_e32 v[8:9], 0
	s_cbranch_scc1 .LBB11_169
; %bb.167:                              ;   in Loop: Header=BB11_165 Depth=1
	s_lshl_b64 s[16:17], s[10:11], 3
	s_mov_b64 s[18:19], 0
	v_mov_b64_e32 v[8:9], 0
	s_mov_b64 s[20:21], s[4:5]
.LBB11_168:                             ;   Parent Loop BB11_165 Depth=1
                                        ; =>  This Inner Loop Header: Depth=2
	global_load_ubyte v2, v27, s[20:21]
	s_waitcnt vmcnt(0)
	v_and_b32_e32 v26, 0xffff, v2
	v_lshlrev_b64 v[2:3], s18, v[26:27]
	s_add_u32 s18, s18, 8
	s_addc_u32 s19, s19, 0
	s_add_u32 s20, s20, 1
	s_addc_u32 s21, s21, 0
	v_or_b32_e32 v8, v2, v8
	s_cmp_lg_u32 s16, s18
	v_or_b32_e32 v9, v3, v9
	s_cbranch_scc1 .LBB11_168
.LBB11_169:                             ;   in Loop: Header=BB11_165 Depth=1
	s_mov_b32 s15, 0
	s_andn2_b64 vcc, exec, s[0:1]
	s_mov_b64 s[0:1], s[4:5]
	s_cbranch_vccz .LBB11_171
	s_branch .LBB11_172
.LBB11_170:                             ;   in Loop: Header=BB11_165 Depth=1
                                        ; implicit-def: $sgpr15
	s_mov_b64 s[0:1], s[4:5]
.LBB11_171:                             ;   in Loop: Header=BB11_165 Depth=1
	global_load_dwordx2 v[8:9], v27, s[4:5]
	s_add_i32 s15, s10, -8
	s_add_u32 s0, s4, 8
	s_addc_u32 s1, s5, 0
.LBB11_172:                             ;   in Loop: Header=BB11_165 Depth=1
	s_cmp_gt_u32 s15, 7
	s_cbranch_scc1 .LBB11_176
; %bb.173:                              ;   in Loop: Header=BB11_165 Depth=1
	s_cmp_eq_u32 s15, 0
	s_cbranch_scc1 .LBB11_177
; %bb.174:                              ;   in Loop: Header=BB11_165 Depth=1
	s_mov_b64 s[16:17], 0
	v_mov_b64_e32 v[10:11], 0
	s_mov_b64 s[18:19], 0
.LBB11_175:                             ;   Parent Loop BB11_165 Depth=1
                                        ; =>  This Inner Loop Header: Depth=2
	s_add_u32 s20, s0, s18
	s_addc_u32 s21, s1, s19
	global_load_ubyte v2, v27, s[20:21]
	s_add_u32 s18, s18, 1
	s_addc_u32 s19, s19, 0
	s_waitcnt vmcnt(0)
	v_and_b32_e32 v26, 0xffff, v2
	v_lshlrev_b64 v[2:3], s16, v[26:27]
	s_add_u32 s16, s16, 8
	s_addc_u32 s17, s17, 0
	v_or_b32_e32 v10, v2, v10
	s_cmp_lg_u32 s15, s18
	v_or_b32_e32 v11, v3, v11
	s_cbranch_scc1 .LBB11_175
	s_branch .LBB11_178
.LBB11_176:                             ;   in Loop: Header=BB11_165 Depth=1
                                        ; implicit-def: $vgpr10_vgpr11
                                        ; implicit-def: $sgpr20
	s_branch .LBB11_179
.LBB11_177:                             ;   in Loop: Header=BB11_165 Depth=1
	v_mov_b64_e32 v[10:11], 0
.LBB11_178:                             ;   in Loop: Header=BB11_165 Depth=1
	s_mov_b32 s20, 0
	s_cbranch_execnz .LBB11_180
.LBB11_179:                             ;   in Loop: Header=BB11_165 Depth=1
	global_load_dwordx2 v[10:11], v27, s[0:1]
	s_add_i32 s20, s15, -8
	s_add_u32 s0, s0, 8
	s_addc_u32 s1, s1, 0
.LBB11_180:                             ;   in Loop: Header=BB11_165 Depth=1
	s_cmp_gt_u32 s20, 7
	s_cbranch_scc1 .LBB11_184
; %bb.181:                              ;   in Loop: Header=BB11_165 Depth=1
	s_cmp_eq_u32 s20, 0
	s_cbranch_scc1 .LBB11_185
; %bb.182:                              ;   in Loop: Header=BB11_165 Depth=1
	s_mov_b64 s[16:17], 0
	v_mov_b64_e32 v[12:13], 0
	s_mov_b64 s[18:19], 0
.LBB11_183:                             ;   Parent Loop BB11_165 Depth=1
                                        ; =>  This Inner Loop Header: Depth=2
	s_add_u32 s22, s0, s18
	s_addc_u32 s23, s1, s19
	global_load_ubyte v2, v27, s[22:23]
	s_add_u32 s18, s18, 1
	s_addc_u32 s19, s19, 0
	s_waitcnt vmcnt(0)
	v_and_b32_e32 v26, 0xffff, v2
	v_lshlrev_b64 v[2:3], s16, v[26:27]
	s_add_u32 s16, s16, 8
	s_addc_u32 s17, s17, 0
	v_or_b32_e32 v12, v2, v12
	s_cmp_lg_u32 s20, s18
	v_or_b32_e32 v13, v3, v13
	s_cbranch_scc1 .LBB11_183
	s_branch .LBB11_186
.LBB11_184:                             ;   in Loop: Header=BB11_165 Depth=1
                                        ; implicit-def: $sgpr15
	s_branch .LBB11_187
.LBB11_185:                             ;   in Loop: Header=BB11_165 Depth=1
	v_mov_b64_e32 v[12:13], 0
.LBB11_186:                             ;   in Loop: Header=BB11_165 Depth=1
	s_mov_b32 s15, 0
	s_cbranch_execnz .LBB11_188
.LBB11_187:                             ;   in Loop: Header=BB11_165 Depth=1
	global_load_dwordx2 v[12:13], v27, s[0:1]
	s_add_i32 s15, s20, -8
	s_add_u32 s0, s0, 8
	s_addc_u32 s1, s1, 0
.LBB11_188:                             ;   in Loop: Header=BB11_165 Depth=1
	s_cmp_gt_u32 s15, 7
	s_cbranch_scc1 .LBB11_192
; %bb.189:                              ;   in Loop: Header=BB11_165 Depth=1
	s_cmp_eq_u32 s15, 0
	s_cbranch_scc1 .LBB11_193
; %bb.190:                              ;   in Loop: Header=BB11_165 Depth=1
	s_mov_b64 s[16:17], 0
	v_mov_b64_e32 v[14:15], 0
	s_mov_b64 s[18:19], 0
.LBB11_191:                             ;   Parent Loop BB11_165 Depth=1
                                        ; =>  This Inner Loop Header: Depth=2
	s_add_u32 s20, s0, s18
	s_addc_u32 s21, s1, s19
	global_load_ubyte v2, v27, s[20:21]
	s_add_u32 s18, s18, 1
	s_addc_u32 s19, s19, 0
	s_waitcnt vmcnt(0)
	v_and_b32_e32 v26, 0xffff, v2
	v_lshlrev_b64 v[2:3], s16, v[26:27]
	s_add_u32 s16, s16, 8
	s_addc_u32 s17, s17, 0
	v_or_b32_e32 v14, v2, v14
	s_cmp_lg_u32 s15, s18
	v_or_b32_e32 v15, v3, v15
	s_cbranch_scc1 .LBB11_191
	s_branch .LBB11_194
.LBB11_192:                             ;   in Loop: Header=BB11_165 Depth=1
                                        ; implicit-def: $vgpr14_vgpr15
                                        ; implicit-def: $sgpr20
	s_branch .LBB11_195
.LBB11_193:                             ;   in Loop: Header=BB11_165 Depth=1
	v_mov_b64_e32 v[14:15], 0
.LBB11_194:                             ;   in Loop: Header=BB11_165 Depth=1
	s_mov_b32 s20, 0
	s_cbranch_execnz .LBB11_196
.LBB11_195:                             ;   in Loop: Header=BB11_165 Depth=1
	global_load_dwordx2 v[14:15], v27, s[0:1]
	s_add_i32 s20, s15, -8
	s_add_u32 s0, s0, 8
	s_addc_u32 s1, s1, 0
.LBB11_196:                             ;   in Loop: Header=BB11_165 Depth=1
	s_cmp_gt_u32 s20, 7
	s_cbranch_scc1 .LBB11_200
; %bb.197:                              ;   in Loop: Header=BB11_165 Depth=1
	s_cmp_eq_u32 s20, 0
	s_cbranch_scc1 .LBB11_201
; %bb.198:                              ;   in Loop: Header=BB11_165 Depth=1
	s_mov_b64 s[16:17], 0
	v_mov_b64_e32 v[16:17], 0
	s_mov_b64 s[18:19], 0
.LBB11_199:                             ;   Parent Loop BB11_165 Depth=1
                                        ; =>  This Inner Loop Header: Depth=2
	s_add_u32 s22, s0, s18
	s_addc_u32 s23, s1, s19
	global_load_ubyte v2, v27, s[22:23]
	s_add_u32 s18, s18, 1
	s_addc_u32 s19, s19, 0
	s_waitcnt vmcnt(0)
	v_and_b32_e32 v26, 0xffff, v2
	v_lshlrev_b64 v[2:3], s16, v[26:27]
	s_add_u32 s16, s16, 8
	s_addc_u32 s17, s17, 0
	v_or_b32_e32 v16, v2, v16
	s_cmp_lg_u32 s20, s18
	v_or_b32_e32 v17, v3, v17
	s_cbranch_scc1 .LBB11_199
	s_branch .LBB11_202
.LBB11_200:                             ;   in Loop: Header=BB11_165 Depth=1
                                        ; implicit-def: $sgpr15
	s_branch .LBB11_203
.LBB11_201:                             ;   in Loop: Header=BB11_165 Depth=1
	v_mov_b64_e32 v[16:17], 0
.LBB11_202:                             ;   in Loop: Header=BB11_165 Depth=1
	s_mov_b32 s15, 0
	s_cbranch_execnz .LBB11_204
.LBB11_203:                             ;   in Loop: Header=BB11_165 Depth=1
	global_load_dwordx2 v[16:17], v27, s[0:1]
	s_add_i32 s15, s20, -8
	s_add_u32 s0, s0, 8
	s_addc_u32 s1, s1, 0
.LBB11_204:                             ;   in Loop: Header=BB11_165 Depth=1
	s_cmp_gt_u32 s15, 7
	s_cbranch_scc1 .LBB11_208
; %bb.205:                              ;   in Loop: Header=BB11_165 Depth=1
	s_cmp_eq_u32 s15, 0
	s_cbranch_scc1 .LBB11_209
; %bb.206:                              ;   in Loop: Header=BB11_165 Depth=1
	s_mov_b64 s[16:17], 0
	v_mov_b64_e32 v[18:19], 0
	s_mov_b64 s[18:19], 0
.LBB11_207:                             ;   Parent Loop BB11_165 Depth=1
                                        ; =>  This Inner Loop Header: Depth=2
	s_add_u32 s20, s0, s18
	s_addc_u32 s21, s1, s19
	global_load_ubyte v2, v27, s[20:21]
	s_add_u32 s18, s18, 1
	s_addc_u32 s19, s19, 0
	s_waitcnt vmcnt(0)
	v_and_b32_e32 v26, 0xffff, v2
	v_lshlrev_b64 v[2:3], s16, v[26:27]
	s_add_u32 s16, s16, 8
	s_addc_u32 s17, s17, 0
	v_or_b32_e32 v18, v2, v18
	s_cmp_lg_u32 s15, s18
	v_or_b32_e32 v19, v3, v19
	s_cbranch_scc1 .LBB11_207
	s_branch .LBB11_210
.LBB11_208:                             ;   in Loop: Header=BB11_165 Depth=1
                                        ; implicit-def: $vgpr18_vgpr19
                                        ; implicit-def: $sgpr20
	s_branch .LBB11_211
.LBB11_209:                             ;   in Loop: Header=BB11_165 Depth=1
	v_mov_b64_e32 v[18:19], 0
.LBB11_210:                             ;   in Loop: Header=BB11_165 Depth=1
	s_mov_b32 s20, 0
	s_cbranch_execnz .LBB11_212
.LBB11_211:                             ;   in Loop: Header=BB11_165 Depth=1
	global_load_dwordx2 v[18:19], v27, s[0:1]
	s_add_i32 s20, s15, -8
	s_add_u32 s0, s0, 8
	s_addc_u32 s1, s1, 0
.LBB11_212:                             ;   in Loop: Header=BB11_165 Depth=1
	s_cmp_gt_u32 s20, 7
	s_cbranch_scc1 .LBB11_216
; %bb.213:                              ;   in Loop: Header=BB11_165 Depth=1
	s_cmp_eq_u32 s20, 0
	s_cbranch_scc1 .LBB11_217
; %bb.214:                              ;   in Loop: Header=BB11_165 Depth=1
	s_mov_b64 s[16:17], 0
	v_mov_b64_e32 v[20:21], 0
	s_mov_b64 s[18:19], s[0:1]
.LBB11_215:                             ;   Parent Loop BB11_165 Depth=1
                                        ; =>  This Inner Loop Header: Depth=2
	global_load_ubyte v2, v27, s[18:19]
	s_add_i32 s20, s20, -1
	s_waitcnt vmcnt(0)
	v_and_b32_e32 v26, 0xffff, v2
	v_lshlrev_b64 v[2:3], s16, v[26:27]
	s_add_u32 s16, s16, 8
	s_addc_u32 s17, s17, 0
	s_add_u32 s18, s18, 1
	s_addc_u32 s19, s19, 0
	v_or_b32_e32 v20, v2, v20
	s_cmp_lg_u32 s20, 0
	v_or_b32_e32 v21, v3, v21
	s_cbranch_scc1 .LBB11_215
	s_branch .LBB11_218
.LBB11_216:                             ;   in Loop: Header=BB11_165 Depth=1
	s_branch .LBB11_219
.LBB11_217:                             ;   in Loop: Header=BB11_165 Depth=1
	v_mov_b64_e32 v[20:21], 0
.LBB11_218:                             ;   in Loop: Header=BB11_165 Depth=1
	s_cbranch_execnz .LBB11_220
.LBB11_219:                             ;   in Loop: Header=BB11_165 Depth=1
	global_load_dwordx2 v[20:21], v27, s[0:1]
.LBB11_220:                             ;   in Loop: Header=BB11_165 Depth=1
	v_readfirstlane_b32 s0, v47
	v_mov_b64_e32 v[2:3], 0
	s_nop 0
	v_cmp_eq_u32_e64 s[0:1], s0, v47
	s_and_saveexec_b64 s[16:17], s[0:1]
	s_cbranch_execz .LBB11_226
; %bb.221:                              ;   in Loop: Header=BB11_165 Depth=1
	global_load_dwordx2 v[24:25], v27, s[44:45] offset:24 sc0 sc1
	s_waitcnt vmcnt(0)
	buffer_inv sc0 sc1
	global_load_dwordx2 v[2:3], v27, s[44:45] offset:40
	global_load_dwordx2 v[22:23], v27, s[44:45]
	s_waitcnt vmcnt(1)
	v_and_b32_e32 v2, v2, v24
	v_and_b32_e32 v3, v3, v25
	v_mul_lo_u32 v3, v3, 24
	v_mul_hi_u32 v26, v2, 24
	v_add_u32_e32 v3, v26, v3
	v_mul_lo_u32 v2, v2, 24
	s_waitcnt vmcnt(0)
	v_lshl_add_u64 v[2:3], v[22:23], 0, v[2:3]
	global_load_dwordx2 v[22:23], v[2:3], off sc0 sc1
	s_waitcnt vmcnt(0)
	global_atomic_cmpswap_x2 v[2:3], v27, v[22:25], s[44:45] offset:24 sc0 sc1
	s_waitcnt vmcnt(0)
	buffer_inv sc0 sc1
	v_cmp_ne_u64_e32 vcc, v[2:3], v[24:25]
	s_and_saveexec_b64 s[18:19], vcc
	s_cbranch_execz .LBB11_225
; %bb.222:                              ;   in Loop: Header=BB11_165 Depth=1
	s_mov_b64 s[20:21], 0
.LBB11_223:                             ;   Parent Loop BB11_165 Depth=1
                                        ; =>  This Inner Loop Header: Depth=2
	s_sleep 1
	global_load_dwordx2 v[22:23], v27, s[44:45] offset:40
	global_load_dwordx2 v[28:29], v27, s[44:45]
	v_mov_b64_e32 v[24:25], v[2:3]
	s_waitcnt vmcnt(1)
	v_and_b32_e32 v2, v22, v24
	s_waitcnt vmcnt(0)
	v_mad_u64_u32 v[2:3], s[22:23], v2, 24, v[28:29]
	v_and_b32_e32 v23, v23, v25
	v_mov_b32_e32 v22, v3
	v_mad_u64_u32 v[22:23], s[22:23], v23, 24, v[22:23]
	v_mov_b32_e32 v3, v22
	global_load_dwordx2 v[22:23], v[2:3], off sc0 sc1
	s_waitcnt vmcnt(0)
	global_atomic_cmpswap_x2 v[2:3], v27, v[22:25], s[44:45] offset:24 sc0 sc1
	s_waitcnt vmcnt(0)
	buffer_inv sc0 sc1
	v_cmp_eq_u64_e32 vcc, v[2:3], v[24:25]
	s_or_b64 s[20:21], vcc, s[20:21]
	s_andn2_b64 exec, exec, s[20:21]
	s_cbranch_execnz .LBB11_223
; %bb.224:                              ;   in Loop: Header=BB11_165 Depth=1
	s_or_b64 exec, exec, s[20:21]
.LBB11_225:                             ;   in Loop: Header=BB11_165 Depth=1
	s_or_b64 exec, exec, s[18:19]
.LBB11_226:                             ;   in Loop: Header=BB11_165 Depth=1
	s_or_b64 exec, exec, s[16:17]
	global_load_dwordx2 v[28:29], v27, s[44:45] offset:40
	global_load_dwordx4 v[22:25], v27, s[44:45]
	v_readfirstlane_b32 s16, v2
	v_readfirstlane_b32 s17, v3
	s_mov_b64 s[18:19], exec
	s_waitcnt vmcnt(1)
	v_readfirstlane_b32 s20, v28
	v_readfirstlane_b32 s21, v29
	s_and_b64 s[20:21], s[16:17], s[20:21]
	s_mul_i32 s15, s21, 24
	s_mul_hi_u32 s22, s20, 24
	s_add_i32 s23, s22, s15
	s_mul_i32 s22, s20, 24
	s_waitcnt vmcnt(0)
	v_lshl_add_u64 v[28:29], v[22:23], 0, s[22:23]
	s_and_saveexec_b64 s[22:23], s[0:1]
	s_cbranch_execz .LBB11_228
; %bb.227:                              ;   in Loop: Header=BB11_165 Depth=1
	v_mov_b64_e32 v[2:3], s[18:19]
	global_store_dwordx4 v[28:29], v[2:5], off offset:8
.LBB11_228:                             ;   in Loop: Header=BB11_165 Depth=1
	s_or_b64 exec, exec, s[22:23]
	s_lshl_b64 s[18:19], s[20:21], 12
	v_lshl_add_u64 v[2:3], v[24:25], 0, s[18:19]
	v_or_b32_e32 v24, 2, v6
	v_cmp_gt_u64_e64 vcc, s[6:7], 56
	s_lshl_b32 s15, s10, 2
	s_add_i32 s15, s15, 28
	v_cndmask_b32_e32 v6, v24, v6, vcc
	s_and_b32 s15, s15, 0x1e0
	v_and_b32_e32 v6, 0xffffff1f, v6
	v_or_b32_e32 v6, s15, v6
	v_readfirstlane_b32 s18, v2
	v_readfirstlane_b32 s19, v3
	s_nop 4
	global_store_dwordx4 v60, v[6:9], s[18:19]
	global_store_dwordx4 v60, v[10:13], s[18:19] offset:16
	global_store_dwordx4 v60, v[14:17], s[18:19] offset:32
	;; [unrolled: 1-line block ×3, first 2 shown]
	s_and_saveexec_b64 s[18:19], s[0:1]
	s_cbranch_execz .LBB11_236
; %bb.229:                              ;   in Loop: Header=BB11_165 Depth=1
	global_load_dwordx2 v[14:15], v27, s[44:45] offset:32 sc0 sc1
	global_load_dwordx2 v[6:7], v27, s[44:45] offset:40
	v_mov_b32_e32 v12, s16
	v_mov_b32_e32 v13, s17
	s_waitcnt vmcnt(0)
	v_readfirstlane_b32 s20, v6
	v_readfirstlane_b32 s21, v7
	s_and_b64 s[20:21], s[20:21], s[16:17]
	s_mul_i32 s15, s21, 24
	s_mul_hi_u32 s21, s20, 24
	s_mul_i32 s20, s20, 24
	s_add_i32 s21, s21, s15
	v_lshl_add_u64 v[10:11], v[22:23], 0, s[20:21]
	global_store_dwordx2 v[10:11], v[14:15], off
	buffer_wbl2 sc0 sc1
	s_waitcnt vmcnt(0)
	global_atomic_cmpswap_x2 v[8:9], v27, v[12:15], s[44:45] offset:32 sc0 sc1
	s_waitcnt vmcnt(0)
	v_cmp_ne_u64_e32 vcc, v[8:9], v[14:15]
	s_and_saveexec_b64 s[20:21], vcc
	s_cbranch_execz .LBB11_232
; %bb.230:                              ;   in Loop: Header=BB11_165 Depth=1
	s_mov_b64 s[22:23], 0
.LBB11_231:                             ;   Parent Loop BB11_165 Depth=1
                                        ; =>  This Inner Loop Header: Depth=2
	s_sleep 1
	global_store_dwordx2 v[10:11], v[8:9], off
	v_mov_b32_e32 v6, s16
	v_mov_b32_e32 v7, s17
	buffer_wbl2 sc0 sc1
	s_waitcnt vmcnt(0)
	global_atomic_cmpswap_x2 v[6:7], v27, v[6:9], s[44:45] offset:32 sc0 sc1
	s_waitcnt vmcnt(0)
	v_cmp_eq_u64_e32 vcc, v[6:7], v[8:9]
	s_or_b64 s[22:23], vcc, s[22:23]
	v_mov_b64_e32 v[8:9], v[6:7]
	s_andn2_b64 exec, exec, s[22:23]
	s_cbranch_execnz .LBB11_231
.LBB11_232:                             ;   in Loop: Header=BB11_165 Depth=1
	s_or_b64 exec, exec, s[20:21]
	global_load_dwordx2 v[6:7], v27, s[44:45] offset:16
	s_mov_b64 s[22:23], exec
	v_mbcnt_lo_u32_b32 v8, s22, 0
	v_mbcnt_hi_u32_b32 v8, s23, v8
	v_cmp_eq_u32_e32 vcc, 0, v8
	s_and_saveexec_b64 s[20:21], vcc
	s_cbranch_execz .LBB11_234
; %bb.233:                              ;   in Loop: Header=BB11_165 Depth=1
	s_bcnt1_i32_b64 s15, s[22:23]
	v_mov_b32_e32 v26, s15
	buffer_wbl2 sc0 sc1
	s_waitcnt vmcnt(0)
	global_atomic_add_x2 v[6:7], v[26:27], off offset:8 sc1
.LBB11_234:                             ;   in Loop: Header=BB11_165 Depth=1
	s_or_b64 exec, exec, s[20:21]
	s_waitcnt vmcnt(0)
	global_load_dwordx2 v[8:9], v[6:7], off offset:16
	s_waitcnt vmcnt(0)
	v_cmp_eq_u64_e32 vcc, 0, v[8:9]
	s_cbranch_vccnz .LBB11_236
; %bb.235:                              ;   in Loop: Header=BB11_165 Depth=1
	global_load_dword v26, v[6:7], off offset:24
	s_waitcnt vmcnt(0)
	v_and_b32_e32 v6, 0xffffff, v26
	s_nop 0
	v_readfirstlane_b32 m0, v6
	buffer_wbl2 sc0 sc1
	global_store_dwordx2 v[8:9], v[26:27], off sc0 sc1
	s_sendmsg sendmsg(MSG_INTERRUPT)
.LBB11_236:                             ;   in Loop: Header=BB11_165 Depth=1
	s_or_b64 exec, exec, s[18:19]
	v_mov_b32_e32 v61, v27
	v_lshl_add_u64 v[2:3], v[2:3], 0, v[60:61]
	s_branch .LBB11_240
.LBB11_237:                             ;   in Loop: Header=BB11_240 Depth=2
	s_or_b64 exec, exec, s[18:19]
	v_readfirstlane_b32 s15, v6
	s_cmp_eq_u32 s15, 0
	s_cbranch_scc1 .LBB11_239
; %bb.238:                              ;   in Loop: Header=BB11_240 Depth=2
	s_sleep 1
	s_cbranch_execnz .LBB11_240
	s_branch .LBB11_242
.LBB11_239:                             ;   in Loop: Header=BB11_165 Depth=1
	s_branch .LBB11_242
.LBB11_240:                             ;   Parent Loop BB11_165 Depth=1
                                        ; =>  This Inner Loop Header: Depth=2
	v_mov_b32_e32 v6, 1
	s_and_saveexec_b64 s[18:19], s[0:1]
	s_cbranch_execz .LBB11_237
; %bb.241:                              ;   in Loop: Header=BB11_240 Depth=2
	global_load_dword v6, v[28:29], off offset:20 sc0 sc1
	s_waitcnt vmcnt(0)
	buffer_inv sc0 sc1
	v_and_b32_e32 v6, 1, v6
	s_branch .LBB11_237
.LBB11_242:                             ;   in Loop: Header=BB11_165 Depth=1
	global_load_dwordx4 v[6:9], v[2:3], off
	s_and_saveexec_b64 s[18:19], s[0:1]
	s_cbranch_execz .LBB11_164
; %bb.243:                              ;   in Loop: Header=BB11_165 Depth=1
	global_load_dwordx2 v[2:3], v27, s[44:45] offset:40
	global_load_dwordx2 v[12:13], v27, s[44:45] offset:24 sc0 sc1
	global_load_dwordx2 v[14:15], v27, s[44:45]
	s_waitcnt vmcnt(2)
	v_lshl_add_u64 v[8:9], v[2:3], 0, 1
	v_lshl_add_u64 v[16:17], v[8:9], 0, s[16:17]
	v_cmp_eq_u64_e32 vcc, 0, v[16:17]
	s_waitcnt vmcnt(1)
	v_mov_b32_e32 v10, v12
	v_cndmask_b32_e32 v9, v17, v9, vcc
	v_cndmask_b32_e32 v8, v16, v8, vcc
	v_and_b32_e32 v3, v9, v3
	v_and_b32_e32 v2, v8, v2
	v_mul_lo_u32 v3, v3, 24
	v_mul_hi_u32 v11, v2, 24
	v_mul_lo_u32 v2, v2, 24
	v_add_u32_e32 v3, v11, v3
	s_waitcnt vmcnt(0)
	v_lshl_add_u64 v[2:3], v[14:15], 0, v[2:3]
	global_store_dwordx2 v[2:3], v[12:13], off
	v_mov_b32_e32 v11, v13
	buffer_wbl2 sc0 sc1
	s_waitcnt vmcnt(0)
	global_atomic_cmpswap_x2 v[10:11], v27, v[8:11], s[44:45] offset:24 sc0 sc1
	s_waitcnt vmcnt(0)
	v_cmp_ne_u64_e32 vcc, v[10:11], v[12:13]
	s_and_b64 exec, exec, vcc
	s_cbranch_execz .LBB11_164
; %bb.244:                              ;   in Loop: Header=BB11_165 Depth=1
	s_mov_b64 s[0:1], 0
.LBB11_245:                             ;   Parent Loop BB11_165 Depth=1
                                        ; =>  This Inner Loop Header: Depth=2
	s_sleep 1
	global_store_dwordx2 v[2:3], v[10:11], off
	buffer_wbl2 sc0 sc1
	s_waitcnt vmcnt(0)
	global_atomic_cmpswap_x2 v[12:13], v27, v[8:11], s[44:45] offset:24 sc0 sc1
	s_waitcnt vmcnt(0)
	v_cmp_eq_u64_e32 vcc, v[12:13], v[10:11]
	s_or_b64 s[0:1], vcc, s[0:1]
	v_mov_b64_e32 v[10:11], v[12:13]
	s_andn2_b64 exec, exec, s[0:1]
	s_cbranch_execnz .LBB11_245
	s_branch .LBB11_164
.LBB11_246:
	s_branch .LBB11_274
.LBB11_247:
	s_cbranch_execz .LBB11_274
; %bb.248:
	v_readfirstlane_b32 s0, v47
	s_waitcnt vmcnt(0)
	v_mov_b64_e32 v[8:9], 0
	v_cmp_eq_u32_e64 s[0:1], s0, v47
	s_and_saveexec_b64 s[4:5], s[0:1]
	s_cbranch_execz .LBB11_254
; %bb.249:
	v_mov_b32_e32 v2, 0
	global_load_dwordx2 v[6:7], v2, s[44:45] offset:24 sc0 sc1
	s_waitcnt vmcnt(0)
	buffer_inv sc0 sc1
	global_load_dwordx2 v[4:5], v2, s[44:45] offset:40
	global_load_dwordx2 v[8:9], v2, s[44:45]
	s_waitcnt vmcnt(1)
	v_and_b32_e32 v3, v4, v6
	v_and_b32_e32 v4, v5, v7
	v_mul_lo_u32 v4, v4, 24
	v_mul_hi_u32 v5, v3, 24
	v_add_u32_e32 v5, v5, v4
	v_mul_lo_u32 v4, v3, 24
	s_waitcnt vmcnt(0)
	v_lshl_add_u64 v[4:5], v[8:9], 0, v[4:5]
	global_load_dwordx2 v[4:5], v[4:5], off sc0 sc1
	s_waitcnt vmcnt(0)
	global_atomic_cmpswap_x2 v[8:9], v2, v[4:7], s[44:45] offset:24 sc0 sc1
	s_waitcnt vmcnt(0)
	buffer_inv sc0 sc1
	v_cmp_ne_u64_e32 vcc, v[8:9], v[6:7]
	s_and_saveexec_b64 s[6:7], vcc
	s_cbranch_execz .LBB11_253
; %bb.250:
	s_mov_b64 s[10:11], 0
.LBB11_251:                             ; =>This Inner Loop Header: Depth=1
	s_sleep 1
	global_load_dwordx2 v[4:5], v2, s[44:45] offset:40
	global_load_dwordx2 v[10:11], v2, s[44:45]
	v_mov_b64_e32 v[6:7], v[8:9]
	s_waitcnt vmcnt(1)
	v_and_b32_e32 v4, v4, v6
	v_and_b32_e32 v3, v5, v7
	s_waitcnt vmcnt(0)
	v_mad_u64_u32 v[4:5], s[16:17], v4, 24, v[10:11]
	v_mov_b32_e32 v8, v5
	v_mad_u64_u32 v[8:9], s[16:17], v3, 24, v[8:9]
	v_mov_b32_e32 v5, v8
	global_load_dwordx2 v[4:5], v[4:5], off sc0 sc1
	s_waitcnt vmcnt(0)
	global_atomic_cmpswap_x2 v[8:9], v2, v[4:7], s[44:45] offset:24 sc0 sc1
	s_waitcnt vmcnt(0)
	buffer_inv sc0 sc1
	v_cmp_eq_u64_e32 vcc, v[8:9], v[6:7]
	s_or_b64 s[10:11], vcc, s[10:11]
	s_andn2_b64 exec, exec, s[10:11]
	s_cbranch_execnz .LBB11_251
; %bb.252:
	s_or_b64 exec, exec, s[10:11]
.LBB11_253:
	s_or_b64 exec, exec, s[6:7]
.LBB11_254:
	s_or_b64 exec, exec, s[4:5]
	v_mov_b32_e32 v2, 0
	global_load_dwordx2 v[10:11], v2, s[44:45] offset:40
	global_load_dwordx4 v[4:7], v2, s[44:45]
	v_readfirstlane_b32 s4, v8
	v_readfirstlane_b32 s5, v9
	s_mov_b64 s[6:7], exec
	s_waitcnt vmcnt(1)
	v_readfirstlane_b32 s10, v10
	v_readfirstlane_b32 s11, v11
	s_and_b64 s[10:11], s[4:5], s[10:11]
	s_mul_i32 s15, s11, 24
	s_mul_hi_u32 s16, s10, 24
	s_add_i32 s17, s16, s15
	s_mul_i32 s16, s10, 24
	s_waitcnt vmcnt(0)
	v_lshl_add_u64 v[8:9], v[4:5], 0, s[16:17]
	s_and_saveexec_b64 s[16:17], s[0:1]
	s_cbranch_execz .LBB11_256
; %bb.255:
	v_mov_b64_e32 v[10:11], s[6:7]
	v_mov_b32_e32 v12, 2
	v_mov_b32_e32 v13, 1
	global_store_dwordx4 v[8:9], v[10:13], off offset:8
.LBB11_256:
	s_or_b64 exec, exec, s[16:17]
	s_lshl_b64 s[6:7], s[10:11], 12
	v_lshl_add_u64 v[6:7], v[6:7], 0, s[6:7]
	s_movk_i32 s6, 0xff1d
	s_mov_b32 s16, 0
	v_and_or_b32 v0, v0, s6, 34
	v_mov_b32_e32 v3, v2
	v_readfirstlane_b32 s6, v6
	v_readfirstlane_b32 s7, v7
	s_mov_b32 s17, s16
	s_mov_b32 s18, s16
	;; [unrolled: 1-line block ×3, first 2 shown]
	s_nop 1
	global_store_dwordx4 v60, v[0:3], s[6:7]
	s_nop 1
	v_mov_b64_e32 v[0:1], s[16:17]
	v_mov_b64_e32 v[2:3], s[18:19]
	global_store_dwordx4 v60, v[0:3], s[6:7] offset:16
	global_store_dwordx4 v60, v[0:3], s[6:7] offset:32
	;; [unrolled: 1-line block ×3, first 2 shown]
	s_and_saveexec_b64 s[6:7], s[0:1]
	s_cbranch_execz .LBB11_264
; %bb.257:
	v_mov_b32_e32 v6, 0
	global_load_dwordx2 v[12:13], v6, s[44:45] offset:32 sc0 sc1
	global_load_dwordx2 v[0:1], v6, s[44:45] offset:40
	v_mov_b32_e32 v10, s4
	v_mov_b32_e32 v11, s5
	s_waitcnt vmcnt(0)
	v_readfirstlane_b32 s10, v0
	v_readfirstlane_b32 s11, v1
	s_and_b64 s[10:11], s[10:11], s[4:5]
	s_mul_i32 s11, s11, 24
	s_mul_hi_u32 s15, s10, 24
	s_mul_i32 s10, s10, 24
	s_add_i32 s11, s15, s11
	v_lshl_add_u64 v[4:5], v[4:5], 0, s[10:11]
	global_store_dwordx2 v[4:5], v[12:13], off
	buffer_wbl2 sc0 sc1
	s_waitcnt vmcnt(0)
	global_atomic_cmpswap_x2 v[2:3], v6, v[10:13], s[44:45] offset:32 sc0 sc1
	s_waitcnt vmcnt(0)
	v_cmp_ne_u64_e32 vcc, v[2:3], v[12:13]
	s_and_saveexec_b64 s[10:11], vcc
	s_cbranch_execz .LBB11_260
; %bb.258:
	s_mov_b64 s[16:17], 0
.LBB11_259:                             ; =>This Inner Loop Header: Depth=1
	s_sleep 1
	global_store_dwordx2 v[4:5], v[2:3], off
	v_mov_b32_e32 v0, s4
	v_mov_b32_e32 v1, s5
	buffer_wbl2 sc0 sc1
	s_waitcnt vmcnt(0)
	global_atomic_cmpswap_x2 v[0:1], v6, v[0:3], s[44:45] offset:32 sc0 sc1
	s_waitcnt vmcnt(0)
	v_cmp_eq_u64_e32 vcc, v[0:1], v[2:3]
	s_or_b64 s[16:17], vcc, s[16:17]
	v_mov_b64_e32 v[2:3], v[0:1]
	s_andn2_b64 exec, exec, s[16:17]
	s_cbranch_execnz .LBB11_259
.LBB11_260:
	s_or_b64 exec, exec, s[10:11]
	v_mov_b32_e32 v3, 0
	global_load_dwordx2 v[0:1], v3, s[44:45] offset:16
	s_mov_b64 s[10:11], exec
	v_mbcnt_lo_u32_b32 v2, s10, 0
	v_mbcnt_hi_u32_b32 v2, s11, v2
	v_cmp_eq_u32_e32 vcc, 0, v2
	s_and_saveexec_b64 s[16:17], vcc
	s_cbranch_execz .LBB11_262
; %bb.261:
	s_bcnt1_i32_b64 s10, s[10:11]
	v_mov_b32_e32 v2, s10
	buffer_wbl2 sc0 sc1
	s_waitcnt vmcnt(0)
	global_atomic_add_x2 v[0:1], v[2:3], off offset:8 sc1
.LBB11_262:
	s_or_b64 exec, exec, s[16:17]
	s_waitcnt vmcnt(0)
	global_load_dwordx2 v[2:3], v[0:1], off offset:16
	s_waitcnt vmcnt(0)
	v_cmp_eq_u64_e32 vcc, 0, v[2:3]
	s_cbranch_vccnz .LBB11_264
; %bb.263:
	global_load_dword v0, v[0:1], off offset:24
	v_mov_b32_e32 v1, 0
	buffer_wbl2 sc0 sc1
	s_waitcnt vmcnt(0)
	global_store_dwordx2 v[2:3], v[0:1], off sc0 sc1
	v_and_b32_e32 v0, 0xffffff, v0
	s_nop 0
	v_readfirstlane_b32 m0, v0
	s_sendmsg sendmsg(MSG_INTERRUPT)
.LBB11_264:
	s_or_b64 exec, exec, s[6:7]
	s_branch .LBB11_268
.LBB11_265:                             ;   in Loop: Header=BB11_268 Depth=1
	s_or_b64 exec, exec, s[6:7]
	v_readfirstlane_b32 s6, v0
	s_cmp_eq_u32 s6, 0
	s_cbranch_scc1 .LBB11_267
; %bb.266:                              ;   in Loop: Header=BB11_268 Depth=1
	s_sleep 1
	s_cbranch_execnz .LBB11_268
	s_branch .LBB11_270
.LBB11_267:
	s_branch .LBB11_270
.LBB11_268:                             ; =>This Inner Loop Header: Depth=1
	v_mov_b32_e32 v0, 1
	s_and_saveexec_b64 s[6:7], s[0:1]
	s_cbranch_execz .LBB11_265
; %bb.269:                              ;   in Loop: Header=BB11_268 Depth=1
	global_load_dword v0, v[8:9], off offset:20 sc0 sc1
	s_waitcnt vmcnt(0)
	buffer_inv sc0 sc1
	v_and_b32_e32 v0, 1, v0
	s_branch .LBB11_265
.LBB11_270:
	s_and_saveexec_b64 s[6:7], s[0:1]
	s_cbranch_execz .LBB11_273
; %bb.271:
	v_mov_b32_e32 v6, 0
	global_load_dwordx2 v[4:5], v6, s[44:45] offset:40
	global_load_dwordx2 v[8:9], v6, s[44:45] offset:24 sc0 sc1
	global_load_dwordx2 v[10:11], v6, s[44:45]
	s_mov_b64 s[0:1], 0
	s_waitcnt vmcnt(2)
	v_lshl_add_u64 v[0:1], v[4:5], 0, 1
	v_lshl_add_u64 v[12:13], v[0:1], 0, s[4:5]
	v_cmp_eq_u64_e32 vcc, 0, v[12:13]
	s_waitcnt vmcnt(1)
	v_mov_b32_e32 v2, v8
	v_cndmask_b32_e32 v1, v13, v1, vcc
	v_cndmask_b32_e32 v0, v12, v0, vcc
	v_and_b32_e32 v3, v1, v5
	v_and_b32_e32 v4, v0, v4
	v_mul_lo_u32 v3, v3, 24
	v_mul_hi_u32 v5, v4, 24
	v_mul_lo_u32 v4, v4, 24
	v_add_u32_e32 v5, v5, v3
	s_waitcnt vmcnt(0)
	v_lshl_add_u64 v[4:5], v[10:11], 0, v[4:5]
	global_store_dwordx2 v[4:5], v[8:9], off
	v_mov_b32_e32 v3, v9
	buffer_wbl2 sc0 sc1
	s_waitcnt vmcnt(0)
	global_atomic_cmpswap_x2 v[2:3], v6, v[0:3], s[44:45] offset:24 sc0 sc1
	s_waitcnt vmcnt(0)
	v_cmp_ne_u64_e32 vcc, v[2:3], v[8:9]
	s_and_b64 exec, exec, vcc
	s_cbranch_execz .LBB11_273
.LBB11_272:                             ; =>This Inner Loop Header: Depth=1
	s_sleep 1
	global_store_dwordx2 v[4:5], v[2:3], off
	buffer_wbl2 sc0 sc1
	s_waitcnt vmcnt(0)
	global_atomic_cmpswap_x2 v[8:9], v6, v[0:3], s[44:45] offset:24 sc0 sc1
	s_waitcnt vmcnt(0)
	v_cmp_eq_u64_e32 vcc, v[8:9], v[2:3]
	s_or_b64 s[0:1], vcc, s[0:1]
	v_mov_b64_e32 v[2:3], v[8:9]
	s_andn2_b64 exec, exec, s[0:1]
	s_cbranch_execnz .LBB11_272
.LBB11_273:
	s_or_b64 exec, exec, s[6:7]
.LBB11_274:
	v_readfirstlane_b32 s0, v47
	s_waitcnt vmcnt(0)
	v_mov_b64_e32 v[4:5], 0
	v_cmp_eq_u32_e64 s[0:1], s0, v47
	s_and_saveexec_b64 s[4:5], s[0:1]
	s_cbranch_execz .LBB11_280
; %bb.275:
	v_mov_b32_e32 v0, 0
	global_load_dwordx2 v[6:7], v0, s[44:45] offset:24 sc0 sc1
	s_waitcnt vmcnt(0)
	buffer_inv sc0 sc1
	global_load_dwordx2 v[2:3], v0, s[44:45] offset:40
	global_load_dwordx2 v[4:5], v0, s[44:45]
	s_waitcnt vmcnt(1)
	v_and_b32_e32 v1, v2, v6
	v_and_b32_e32 v2, v3, v7
	v_mul_lo_u32 v2, v2, 24
	v_mul_hi_u32 v3, v1, 24
	v_add_u32_e32 v3, v3, v2
	v_mul_lo_u32 v2, v1, 24
	s_waitcnt vmcnt(0)
	v_lshl_add_u64 v[2:3], v[4:5], 0, v[2:3]
	global_load_dwordx2 v[4:5], v[2:3], off sc0 sc1
	s_waitcnt vmcnt(0)
	global_atomic_cmpswap_x2 v[4:5], v0, v[4:7], s[44:45] offset:24 sc0 sc1
	s_waitcnt vmcnt(0)
	buffer_inv sc0 sc1
	v_cmp_ne_u64_e32 vcc, v[4:5], v[6:7]
	s_and_saveexec_b64 s[6:7], vcc
	s_cbranch_execz .LBB11_279
; %bb.276:
	s_mov_b64 s[10:11], 0
.LBB11_277:                             ; =>This Inner Loop Header: Depth=1
	s_sleep 1
	global_load_dwordx2 v[2:3], v0, s[44:45] offset:40
	global_load_dwordx2 v[8:9], v0, s[44:45]
	v_mov_b64_e32 v[6:7], v[4:5]
	s_waitcnt vmcnt(1)
	v_and_b32_e32 v2, v2, v6
	v_and_b32_e32 v1, v3, v7
	s_waitcnt vmcnt(0)
	v_mad_u64_u32 v[2:3], s[16:17], v2, 24, v[8:9]
	v_mov_b32_e32 v4, v3
	v_mad_u64_u32 v[4:5], s[16:17], v1, 24, v[4:5]
	v_mov_b32_e32 v3, v4
	global_load_dwordx2 v[4:5], v[2:3], off sc0 sc1
	s_waitcnt vmcnt(0)
	global_atomic_cmpswap_x2 v[4:5], v0, v[4:7], s[44:45] offset:24 sc0 sc1
	s_waitcnt vmcnt(0)
	buffer_inv sc0 sc1
	v_cmp_eq_u64_e32 vcc, v[4:5], v[6:7]
	s_or_b64 s[10:11], vcc, s[10:11]
	s_andn2_b64 exec, exec, s[10:11]
	s_cbranch_execnz .LBB11_277
; %bb.278:
	s_or_b64 exec, exec, s[10:11]
.LBB11_279:
	s_or_b64 exec, exec, s[6:7]
.LBB11_280:
	s_or_b64 exec, exec, s[4:5]
	v_mov_b32_e32 v61, 0
	global_load_dwordx2 v[6:7], v61, s[44:45] offset:40
	global_load_dwordx4 v[0:3], v61, s[44:45]
	v_readfirstlane_b32 s4, v4
	v_readfirstlane_b32 s5, v5
	s_mov_b64 s[6:7], exec
	s_waitcnt vmcnt(1)
	v_readfirstlane_b32 s10, v6
	v_readfirstlane_b32 s11, v7
	s_and_b64 s[10:11], s[4:5], s[10:11]
	s_mul_i32 s15, s11, 24
	s_mul_hi_u32 s16, s10, 24
	s_add_i32 s17, s16, s15
	s_mul_i32 s16, s10, 24
	s_waitcnt vmcnt(0)
	v_lshl_add_u64 v[4:5], v[0:1], 0, s[16:17]
	s_and_saveexec_b64 s[16:17], s[0:1]
	s_cbranch_execz .LBB11_282
; %bb.281:
	v_mov_b64_e32 v[6:7], s[6:7]
	v_mov_b32_e32 v8, 2
	v_mov_b32_e32 v9, 1
	global_store_dwordx4 v[4:5], v[6:9], off offset:8
.LBB11_282:
	s_or_b64 exec, exec, s[16:17]
	s_lshl_b64 s[6:7], s[10:11], 12
	v_lshl_add_u64 v[6:7], v[2:3], 0, s[6:7]
	s_mov_b32 s16, 0
	v_mov_b32_e32 v8, 33
	v_mov_b32_e32 v9, v61
	;; [unrolled: 1-line block ×4, first 2 shown]
	v_readfirstlane_b32 s6, v6
	v_readfirstlane_b32 s7, v7
	s_mov_b32 s17, s16
	s_mov_b32 s18, s16
	;; [unrolled: 1-line block ×3, first 2 shown]
	s_nop 1
	global_store_dwordx4 v60, v[8:11], s[6:7]
	s_nop 1
	v_mov_b64_e32 v[8:9], s[16:17]
	v_mov_b64_e32 v[10:11], s[18:19]
	global_store_dwordx4 v60, v[8:11], s[6:7] offset:16
	global_store_dwordx4 v60, v[8:11], s[6:7] offset:32
	global_store_dwordx4 v60, v[8:11], s[6:7] offset:48
	s_and_saveexec_b64 s[6:7], s[0:1]
	s_cbranch_execz .LBB11_290
; %bb.283:
	v_mov_b32_e32 v10, 0
	global_load_dwordx2 v[14:15], v10, s[44:45] offset:32 sc0 sc1
	global_load_dwordx2 v[2:3], v10, s[44:45] offset:40
	v_mov_b32_e32 v12, s4
	v_mov_b32_e32 v13, s5
	s_waitcnt vmcnt(0)
	v_readfirstlane_b32 s10, v2
	v_readfirstlane_b32 s11, v3
	s_and_b64 s[10:11], s[10:11], s[4:5]
	s_mul_i32 s11, s11, 24
	s_mul_hi_u32 s15, s10, 24
	s_mul_i32 s10, s10, 24
	s_add_i32 s11, s15, s11
	v_lshl_add_u64 v[8:9], v[0:1], 0, s[10:11]
	global_store_dwordx2 v[8:9], v[14:15], off
	buffer_wbl2 sc0 sc1
	s_waitcnt vmcnt(0)
	global_atomic_cmpswap_x2 v[2:3], v10, v[12:15], s[44:45] offset:32 sc0 sc1
	s_waitcnt vmcnt(0)
	v_cmp_ne_u64_e32 vcc, v[2:3], v[14:15]
	s_and_saveexec_b64 s[10:11], vcc
	s_cbranch_execz .LBB11_286
; %bb.284:
	s_mov_b64 s[16:17], 0
.LBB11_285:                             ; =>This Inner Loop Header: Depth=1
	s_sleep 1
	global_store_dwordx2 v[8:9], v[2:3], off
	v_mov_b32_e32 v0, s4
	v_mov_b32_e32 v1, s5
	buffer_wbl2 sc0 sc1
	s_waitcnt vmcnt(0)
	global_atomic_cmpswap_x2 v[0:1], v10, v[0:3], s[44:45] offset:32 sc0 sc1
	s_waitcnt vmcnt(0)
	v_cmp_eq_u64_e32 vcc, v[0:1], v[2:3]
	s_or_b64 s[16:17], vcc, s[16:17]
	v_mov_b64_e32 v[2:3], v[0:1]
	s_andn2_b64 exec, exec, s[16:17]
	s_cbranch_execnz .LBB11_285
.LBB11_286:
	s_or_b64 exec, exec, s[10:11]
	v_mov_b32_e32 v3, 0
	global_load_dwordx2 v[0:1], v3, s[44:45] offset:16
	s_mov_b64 s[10:11], exec
	v_mbcnt_lo_u32_b32 v2, s10, 0
	v_mbcnt_hi_u32_b32 v2, s11, v2
	v_cmp_eq_u32_e32 vcc, 0, v2
	s_and_saveexec_b64 s[16:17], vcc
	s_cbranch_execz .LBB11_288
; %bb.287:
	s_bcnt1_i32_b64 s10, s[10:11]
	v_mov_b32_e32 v2, s10
	buffer_wbl2 sc0 sc1
	s_waitcnt vmcnt(0)
	global_atomic_add_x2 v[0:1], v[2:3], off offset:8 sc1
.LBB11_288:
	s_or_b64 exec, exec, s[16:17]
	s_waitcnt vmcnt(0)
	global_load_dwordx2 v[2:3], v[0:1], off offset:16
	s_waitcnt vmcnt(0)
	v_cmp_eq_u64_e32 vcc, 0, v[2:3]
	s_cbranch_vccnz .LBB11_290
; %bb.289:
	global_load_dword v0, v[0:1], off offset:24
	v_mov_b32_e32 v1, 0
	buffer_wbl2 sc0 sc1
	s_waitcnt vmcnt(0)
	global_store_dwordx2 v[2:3], v[0:1], off sc0 sc1
	v_and_b32_e32 v0, 0xffffff, v0
	s_nop 0
	v_readfirstlane_b32 m0, v0
	s_sendmsg sendmsg(MSG_INTERRUPT)
.LBB11_290:
	s_or_b64 exec, exec, s[6:7]
	v_lshl_add_u64 v[0:1], v[6:7], 0, v[60:61]
	s_branch .LBB11_294
.LBB11_291:                             ;   in Loop: Header=BB11_294 Depth=1
	s_or_b64 exec, exec, s[6:7]
	v_readfirstlane_b32 s6, v2
	s_cmp_eq_u32 s6, 0
	s_cbranch_scc1 .LBB11_293
; %bb.292:                              ;   in Loop: Header=BB11_294 Depth=1
	s_sleep 1
	s_cbranch_execnz .LBB11_294
	s_branch .LBB11_296
.LBB11_293:
	s_branch .LBB11_296
.LBB11_294:                             ; =>This Inner Loop Header: Depth=1
	v_mov_b32_e32 v2, 1
	s_and_saveexec_b64 s[6:7], s[0:1]
	s_cbranch_execz .LBB11_291
; %bb.295:                              ;   in Loop: Header=BB11_294 Depth=1
	global_load_dword v2, v[4:5], off offset:20 sc0 sc1
	s_waitcnt vmcnt(0)
	buffer_inv sc0 sc1
	v_and_b32_e32 v2, 1, v2
	s_branch .LBB11_291
.LBB11_296:
	global_load_dwordx2 v[0:1], v[0:1], off
	s_and_saveexec_b64 s[6:7], s[0:1]
	s_cbranch_execz .LBB11_299
; %bb.297:
	v_mov_b32_e32 v8, 0
	global_load_dwordx2 v[6:7], v8, s[44:45] offset:40
	global_load_dwordx2 v[10:11], v8, s[44:45] offset:24 sc0 sc1
	global_load_dwordx2 v[12:13], v8, s[44:45]
	s_mov_b64 s[0:1], 0
	s_waitcnt vmcnt(2)
	v_lshl_add_u64 v[2:3], v[6:7], 0, 1
	v_lshl_add_u64 v[14:15], v[2:3], 0, s[4:5]
	v_cmp_eq_u64_e32 vcc, 0, v[14:15]
	s_waitcnt vmcnt(1)
	v_mov_b32_e32 v4, v10
	v_cndmask_b32_e32 v3, v15, v3, vcc
	v_cndmask_b32_e32 v2, v14, v2, vcc
	v_and_b32_e32 v5, v3, v7
	v_and_b32_e32 v6, v2, v6
	v_mul_lo_u32 v5, v5, 24
	v_mul_hi_u32 v7, v6, 24
	v_mul_lo_u32 v6, v6, 24
	v_add_u32_e32 v7, v7, v5
	s_waitcnt vmcnt(0)
	v_lshl_add_u64 v[6:7], v[12:13], 0, v[6:7]
	global_store_dwordx2 v[6:7], v[10:11], off
	v_mov_b32_e32 v5, v11
	buffer_wbl2 sc0 sc1
	s_waitcnt vmcnt(0)
	global_atomic_cmpswap_x2 v[4:5], v8, v[2:5], s[44:45] offset:24 sc0 sc1
	s_waitcnt vmcnt(0)
	v_cmp_ne_u64_e32 vcc, v[4:5], v[10:11]
	s_and_b64 exec, exec, vcc
	s_cbranch_execz .LBB11_299
.LBB11_298:                             ; =>This Inner Loop Header: Depth=1
	s_sleep 1
	global_store_dwordx2 v[6:7], v[4:5], off
	buffer_wbl2 sc0 sc1
	s_waitcnt vmcnt(0)
	global_atomic_cmpswap_x2 v[10:11], v8, v[2:5], s[44:45] offset:24 sc0 sc1
	s_waitcnt vmcnt(0)
	v_cmp_eq_u64_e32 vcc, v[10:11], v[4:5]
	s_or_b64 s[0:1], vcc, s[0:1]
	v_mov_b64_e32 v[4:5], v[10:11]
	s_andn2_b64 exec, exec, s[0:1]
	s_cbranch_execnz .LBB11_298
.LBB11_299:
	s_or_b64 exec, exec, s[6:7]
	s_getpc_b64 s[4:5]
	s_add_u32 s4, s4, .str.6@rel32@lo+4
	s_addc_u32 s5, s5, .str.6@rel32@hi+12
	s_cmp_lg_u64 s[4:5], 0
	s_cselect_b64 s[46:47], -1, 0
	s_and_b64 vcc, exec, s[46:47]
	s_cbranch_vccz .LBB11_384
; %bb.300:
	s_waitcnt vmcnt(0)
	v_and_b32_e32 v28, 2, v0
	v_mov_b32_e32 v31, 0
	v_and_b32_e32 v2, -3, v0
	v_mov_b32_e32 v3, v1
	s_mov_b64 s[6:7], 3
	v_mov_b32_e32 v6, 2
	v_mov_b32_e32 v7, 1
	s_branch .LBB11_302
.LBB11_301:                             ;   in Loop: Header=BB11_302 Depth=1
	s_or_b64 exec, exec, s[18:19]
	s_sub_u32 s6, s6, s10
	s_subb_u32 s7, s7, s11
	s_add_u32 s4, s4, s10
	s_addc_u32 s5, s5, s11
	s_cmp_lg_u64 s[6:7], 0
	s_cbranch_scc0 .LBB11_383
.LBB11_302:                             ; =>This Loop Header: Depth=1
                                        ;     Child Loop BB11_305 Depth 2
                                        ;     Child Loop BB11_312 Depth 2
	;; [unrolled: 1-line block ×11, first 2 shown]
	v_cmp_lt_u64_e64 s[0:1], s[6:7], 56
	s_and_b64 s[0:1], s[0:1], exec
	v_cmp_gt_u64_e64 s[0:1], s[6:7], 7
	s_cselect_b32 s11, s7, 0
	s_cselect_b32 s10, s6, 56
	s_and_b64 vcc, exec, s[0:1]
	s_cbranch_vccnz .LBB11_307
; %bb.303:                              ;   in Loop: Header=BB11_302 Depth=1
	s_mov_b64 s[0:1], 0
	s_cmp_eq_u64 s[6:7], 0
	v_mov_b64_e32 v[10:11], 0
	s_cbranch_scc1 .LBB11_306
; %bb.304:                              ;   in Loop: Header=BB11_302 Depth=1
	s_lshl_b64 s[16:17], s[10:11], 3
	s_mov_b64 s[18:19], 0
	v_mov_b64_e32 v[10:11], 0
	s_mov_b64 s[20:21], s[4:5]
.LBB11_305:                             ;   Parent Loop BB11_302 Depth=1
                                        ; =>  This Inner Loop Header: Depth=2
	global_load_ubyte v4, v31, s[20:21]
	s_waitcnt vmcnt(0)
	v_and_b32_e32 v30, 0xffff, v4
	v_lshlrev_b64 v[4:5], s18, v[30:31]
	s_add_u32 s18, s18, 8
	s_addc_u32 s19, s19, 0
	s_add_u32 s20, s20, 1
	s_addc_u32 s21, s21, 0
	v_or_b32_e32 v10, v4, v10
	s_cmp_lg_u32 s16, s18
	v_or_b32_e32 v11, v5, v11
	s_cbranch_scc1 .LBB11_305
.LBB11_306:                             ;   in Loop: Header=BB11_302 Depth=1
	s_mov_b32 s15, 0
	s_andn2_b64 vcc, exec, s[0:1]
	s_mov_b64 s[0:1], s[4:5]
	s_cbranch_vccz .LBB11_308
	s_branch .LBB11_309
.LBB11_307:                             ;   in Loop: Header=BB11_302 Depth=1
                                        ; implicit-def: $vgpr10_vgpr11
                                        ; implicit-def: $sgpr15
	s_mov_b64 s[0:1], s[4:5]
.LBB11_308:                             ;   in Loop: Header=BB11_302 Depth=1
	global_load_dwordx2 v[10:11], v31, s[4:5]
	s_add_i32 s15, s10, -8
	s_add_u32 s0, s4, 8
	s_addc_u32 s1, s5, 0
.LBB11_309:                             ;   in Loop: Header=BB11_302 Depth=1
	s_cmp_gt_u32 s15, 7
	s_cbranch_scc1 .LBB11_313
; %bb.310:                              ;   in Loop: Header=BB11_302 Depth=1
	s_cmp_eq_u32 s15, 0
	s_cbranch_scc1 .LBB11_314
; %bb.311:                              ;   in Loop: Header=BB11_302 Depth=1
	s_mov_b64 s[16:17], 0
	v_mov_b64_e32 v[12:13], 0
	s_mov_b64 s[18:19], 0
.LBB11_312:                             ;   Parent Loop BB11_302 Depth=1
                                        ; =>  This Inner Loop Header: Depth=2
	s_add_u32 s20, s0, s18
	s_addc_u32 s21, s1, s19
	global_load_ubyte v4, v31, s[20:21]
	s_add_u32 s18, s18, 1
	s_addc_u32 s19, s19, 0
	s_waitcnt vmcnt(0)
	v_and_b32_e32 v30, 0xffff, v4
	v_lshlrev_b64 v[4:5], s16, v[30:31]
	s_add_u32 s16, s16, 8
	s_addc_u32 s17, s17, 0
	v_or_b32_e32 v12, v4, v12
	s_cmp_lg_u32 s15, s18
	v_or_b32_e32 v13, v5, v13
	s_cbranch_scc1 .LBB11_312
	s_branch .LBB11_315
.LBB11_313:                             ;   in Loop: Header=BB11_302 Depth=1
                                        ; implicit-def: $vgpr12_vgpr13
                                        ; implicit-def: $sgpr20
	s_branch .LBB11_316
.LBB11_314:                             ;   in Loop: Header=BB11_302 Depth=1
	v_mov_b64_e32 v[12:13], 0
.LBB11_315:                             ;   in Loop: Header=BB11_302 Depth=1
	s_mov_b32 s20, 0
	s_cbranch_execnz .LBB11_317
.LBB11_316:                             ;   in Loop: Header=BB11_302 Depth=1
	global_load_dwordx2 v[12:13], v31, s[0:1]
	s_add_i32 s20, s15, -8
	s_add_u32 s0, s0, 8
	s_addc_u32 s1, s1, 0
.LBB11_317:                             ;   in Loop: Header=BB11_302 Depth=1
	s_cmp_gt_u32 s20, 7
	s_cbranch_scc1 .LBB11_321
; %bb.318:                              ;   in Loop: Header=BB11_302 Depth=1
	s_cmp_eq_u32 s20, 0
	s_cbranch_scc1 .LBB11_322
; %bb.319:                              ;   in Loop: Header=BB11_302 Depth=1
	s_mov_b64 s[16:17], 0
	v_mov_b64_e32 v[14:15], 0
	s_mov_b64 s[18:19], 0
.LBB11_320:                             ;   Parent Loop BB11_302 Depth=1
                                        ; =>  This Inner Loop Header: Depth=2
	s_add_u32 s22, s0, s18
	s_addc_u32 s23, s1, s19
	global_load_ubyte v4, v31, s[22:23]
	s_add_u32 s18, s18, 1
	s_addc_u32 s19, s19, 0
	s_waitcnt vmcnt(0)
	v_and_b32_e32 v30, 0xffff, v4
	v_lshlrev_b64 v[4:5], s16, v[30:31]
	s_add_u32 s16, s16, 8
	s_addc_u32 s17, s17, 0
	v_or_b32_e32 v14, v4, v14
	s_cmp_lg_u32 s20, s18
	v_or_b32_e32 v15, v5, v15
	s_cbranch_scc1 .LBB11_320
	s_branch .LBB11_323
.LBB11_321:                             ;   in Loop: Header=BB11_302 Depth=1
                                        ; implicit-def: $sgpr15
	s_branch .LBB11_324
.LBB11_322:                             ;   in Loop: Header=BB11_302 Depth=1
	v_mov_b64_e32 v[14:15], 0
.LBB11_323:                             ;   in Loop: Header=BB11_302 Depth=1
	s_mov_b32 s15, 0
	s_cbranch_execnz .LBB11_325
.LBB11_324:                             ;   in Loop: Header=BB11_302 Depth=1
	global_load_dwordx2 v[14:15], v31, s[0:1]
	s_add_i32 s15, s20, -8
	s_add_u32 s0, s0, 8
	s_addc_u32 s1, s1, 0
.LBB11_325:                             ;   in Loop: Header=BB11_302 Depth=1
	s_cmp_gt_u32 s15, 7
	s_cbranch_scc1 .LBB11_329
; %bb.326:                              ;   in Loop: Header=BB11_302 Depth=1
	s_cmp_eq_u32 s15, 0
	s_cbranch_scc1 .LBB11_330
; %bb.327:                              ;   in Loop: Header=BB11_302 Depth=1
	s_mov_b64 s[16:17], 0
	v_mov_b64_e32 v[16:17], 0
	s_mov_b64 s[18:19], 0
.LBB11_328:                             ;   Parent Loop BB11_302 Depth=1
                                        ; =>  This Inner Loop Header: Depth=2
	s_add_u32 s20, s0, s18
	s_addc_u32 s21, s1, s19
	global_load_ubyte v4, v31, s[20:21]
	s_add_u32 s18, s18, 1
	s_addc_u32 s19, s19, 0
	s_waitcnt vmcnt(0)
	v_and_b32_e32 v30, 0xffff, v4
	v_lshlrev_b64 v[4:5], s16, v[30:31]
	s_add_u32 s16, s16, 8
	s_addc_u32 s17, s17, 0
	v_or_b32_e32 v16, v4, v16
	s_cmp_lg_u32 s15, s18
	v_or_b32_e32 v17, v5, v17
	s_cbranch_scc1 .LBB11_328
	s_branch .LBB11_331
.LBB11_329:                             ;   in Loop: Header=BB11_302 Depth=1
                                        ; implicit-def: $vgpr16_vgpr17
                                        ; implicit-def: $sgpr20
	s_branch .LBB11_332
.LBB11_330:                             ;   in Loop: Header=BB11_302 Depth=1
	v_mov_b64_e32 v[16:17], 0
.LBB11_331:                             ;   in Loop: Header=BB11_302 Depth=1
	s_mov_b32 s20, 0
	s_cbranch_execnz .LBB11_333
.LBB11_332:                             ;   in Loop: Header=BB11_302 Depth=1
	global_load_dwordx2 v[16:17], v31, s[0:1]
	s_add_i32 s20, s15, -8
	s_add_u32 s0, s0, 8
	s_addc_u32 s1, s1, 0
.LBB11_333:                             ;   in Loop: Header=BB11_302 Depth=1
	s_cmp_gt_u32 s20, 7
	s_cbranch_scc1 .LBB11_337
; %bb.334:                              ;   in Loop: Header=BB11_302 Depth=1
	s_cmp_eq_u32 s20, 0
	s_cbranch_scc1 .LBB11_338
; %bb.335:                              ;   in Loop: Header=BB11_302 Depth=1
	s_mov_b64 s[16:17], 0
	v_mov_b64_e32 v[18:19], 0
	s_mov_b64 s[18:19], 0
.LBB11_336:                             ;   Parent Loop BB11_302 Depth=1
                                        ; =>  This Inner Loop Header: Depth=2
	s_add_u32 s22, s0, s18
	s_addc_u32 s23, s1, s19
	global_load_ubyte v4, v31, s[22:23]
	s_add_u32 s18, s18, 1
	s_addc_u32 s19, s19, 0
	s_waitcnt vmcnt(0)
	v_and_b32_e32 v30, 0xffff, v4
	v_lshlrev_b64 v[4:5], s16, v[30:31]
	s_add_u32 s16, s16, 8
	s_addc_u32 s17, s17, 0
	v_or_b32_e32 v18, v4, v18
	s_cmp_lg_u32 s20, s18
	v_or_b32_e32 v19, v5, v19
	s_cbranch_scc1 .LBB11_336
	s_branch .LBB11_339
.LBB11_337:                             ;   in Loop: Header=BB11_302 Depth=1
                                        ; implicit-def: $sgpr15
	s_branch .LBB11_340
.LBB11_338:                             ;   in Loop: Header=BB11_302 Depth=1
	v_mov_b64_e32 v[18:19], 0
.LBB11_339:                             ;   in Loop: Header=BB11_302 Depth=1
	s_mov_b32 s15, 0
	s_cbranch_execnz .LBB11_341
.LBB11_340:                             ;   in Loop: Header=BB11_302 Depth=1
	global_load_dwordx2 v[18:19], v31, s[0:1]
	s_add_i32 s15, s20, -8
	s_add_u32 s0, s0, 8
	s_addc_u32 s1, s1, 0
.LBB11_341:                             ;   in Loop: Header=BB11_302 Depth=1
	s_cmp_gt_u32 s15, 7
	s_cbranch_scc1 .LBB11_345
; %bb.342:                              ;   in Loop: Header=BB11_302 Depth=1
	s_cmp_eq_u32 s15, 0
	s_cbranch_scc1 .LBB11_346
; %bb.343:                              ;   in Loop: Header=BB11_302 Depth=1
	s_mov_b64 s[16:17], 0
	v_mov_b64_e32 v[20:21], 0
	s_mov_b64 s[18:19], 0
.LBB11_344:                             ;   Parent Loop BB11_302 Depth=1
                                        ; =>  This Inner Loop Header: Depth=2
	s_add_u32 s20, s0, s18
	s_addc_u32 s21, s1, s19
	global_load_ubyte v4, v31, s[20:21]
	s_add_u32 s18, s18, 1
	s_addc_u32 s19, s19, 0
	s_waitcnt vmcnt(0)
	v_and_b32_e32 v30, 0xffff, v4
	v_lshlrev_b64 v[4:5], s16, v[30:31]
	s_add_u32 s16, s16, 8
	s_addc_u32 s17, s17, 0
	v_or_b32_e32 v20, v4, v20
	s_cmp_lg_u32 s15, s18
	v_or_b32_e32 v21, v5, v21
	s_cbranch_scc1 .LBB11_344
	s_branch .LBB11_347
.LBB11_345:                             ;   in Loop: Header=BB11_302 Depth=1
                                        ; implicit-def: $vgpr20_vgpr21
                                        ; implicit-def: $sgpr20
	s_branch .LBB11_348
.LBB11_346:                             ;   in Loop: Header=BB11_302 Depth=1
	v_mov_b64_e32 v[20:21], 0
.LBB11_347:                             ;   in Loop: Header=BB11_302 Depth=1
	s_mov_b32 s20, 0
	s_cbranch_execnz .LBB11_349
.LBB11_348:                             ;   in Loop: Header=BB11_302 Depth=1
	global_load_dwordx2 v[20:21], v31, s[0:1]
	s_add_i32 s20, s15, -8
	s_add_u32 s0, s0, 8
	s_addc_u32 s1, s1, 0
.LBB11_349:                             ;   in Loop: Header=BB11_302 Depth=1
	s_cmp_gt_u32 s20, 7
	s_cbranch_scc1 .LBB11_353
; %bb.350:                              ;   in Loop: Header=BB11_302 Depth=1
	s_cmp_eq_u32 s20, 0
	s_cbranch_scc1 .LBB11_354
; %bb.351:                              ;   in Loop: Header=BB11_302 Depth=1
	s_mov_b64 s[16:17], 0
	v_mov_b64_e32 v[22:23], 0
	s_mov_b64 s[18:19], s[0:1]
.LBB11_352:                             ;   Parent Loop BB11_302 Depth=1
                                        ; =>  This Inner Loop Header: Depth=2
	global_load_ubyte v4, v31, s[18:19]
	s_add_i32 s20, s20, -1
	s_waitcnt vmcnt(0)
	v_and_b32_e32 v30, 0xffff, v4
	v_lshlrev_b64 v[4:5], s16, v[30:31]
	s_add_u32 s16, s16, 8
	s_addc_u32 s17, s17, 0
	s_add_u32 s18, s18, 1
	s_addc_u32 s19, s19, 0
	v_or_b32_e32 v22, v4, v22
	s_cmp_lg_u32 s20, 0
	v_or_b32_e32 v23, v5, v23
	s_cbranch_scc1 .LBB11_352
	s_branch .LBB11_355
.LBB11_353:                             ;   in Loop: Header=BB11_302 Depth=1
	s_branch .LBB11_356
.LBB11_354:                             ;   in Loop: Header=BB11_302 Depth=1
	v_mov_b64_e32 v[22:23], 0
.LBB11_355:                             ;   in Loop: Header=BB11_302 Depth=1
	s_cbranch_execnz .LBB11_357
.LBB11_356:                             ;   in Loop: Header=BB11_302 Depth=1
	global_load_dwordx2 v[22:23], v31, s[0:1]
.LBB11_357:                             ;   in Loop: Header=BB11_302 Depth=1
	v_readfirstlane_b32 s0, v47
	s_waitcnt vmcnt(0)
	v_mov_b64_e32 v[4:5], 0
	v_cmp_eq_u32_e64 s[0:1], s0, v47
	s_and_saveexec_b64 s[16:17], s[0:1]
	s_cbranch_execz .LBB11_363
; %bb.358:                              ;   in Loop: Header=BB11_302 Depth=1
	global_load_dwordx2 v[26:27], v31, s[44:45] offset:24 sc0 sc1
	s_waitcnt vmcnt(0)
	buffer_inv sc0 sc1
	global_load_dwordx2 v[4:5], v31, s[44:45] offset:40
	global_load_dwordx2 v[8:9], v31, s[44:45]
	s_waitcnt vmcnt(1)
	v_and_b32_e32 v4, v4, v26
	v_and_b32_e32 v5, v5, v27
	v_mul_lo_u32 v5, v5, 24
	v_mul_hi_u32 v24, v4, 24
	v_add_u32_e32 v5, v24, v5
	v_mul_lo_u32 v4, v4, 24
	s_waitcnt vmcnt(0)
	v_lshl_add_u64 v[4:5], v[8:9], 0, v[4:5]
	global_load_dwordx2 v[24:25], v[4:5], off sc0 sc1
	s_waitcnt vmcnt(0)
	global_atomic_cmpswap_x2 v[4:5], v31, v[24:27], s[44:45] offset:24 sc0 sc1
	s_waitcnt vmcnt(0)
	buffer_inv sc0 sc1
	v_cmp_ne_u64_e32 vcc, v[4:5], v[26:27]
	s_and_saveexec_b64 s[18:19], vcc
	s_cbranch_execz .LBB11_362
; %bb.359:                              ;   in Loop: Header=BB11_302 Depth=1
	s_mov_b64 s[20:21], 0
.LBB11_360:                             ;   Parent Loop BB11_302 Depth=1
                                        ; =>  This Inner Loop Header: Depth=2
	s_sleep 1
	global_load_dwordx2 v[8:9], v31, s[44:45] offset:40
	global_load_dwordx2 v[24:25], v31, s[44:45]
	v_mov_b64_e32 v[26:27], v[4:5]
	s_waitcnt vmcnt(1)
	v_and_b32_e32 v4, v8, v26
	s_waitcnt vmcnt(0)
	v_mad_u64_u32 v[4:5], s[22:23], v4, 24, v[24:25]
	v_and_b32_e32 v9, v9, v27
	v_mov_b32_e32 v8, v5
	v_mad_u64_u32 v[8:9], s[22:23], v9, 24, v[8:9]
	v_mov_b32_e32 v5, v8
	global_load_dwordx2 v[24:25], v[4:5], off sc0 sc1
	s_waitcnt vmcnt(0)
	global_atomic_cmpswap_x2 v[4:5], v31, v[24:27], s[44:45] offset:24 sc0 sc1
	s_waitcnt vmcnt(0)
	buffer_inv sc0 sc1
	v_cmp_eq_u64_e32 vcc, v[4:5], v[26:27]
	s_or_b64 s[20:21], vcc, s[20:21]
	s_andn2_b64 exec, exec, s[20:21]
	s_cbranch_execnz .LBB11_360
; %bb.361:                              ;   in Loop: Header=BB11_302 Depth=1
	s_or_b64 exec, exec, s[20:21]
.LBB11_362:                             ;   in Loop: Header=BB11_302 Depth=1
	s_or_b64 exec, exec, s[18:19]
.LBB11_363:                             ;   in Loop: Header=BB11_302 Depth=1
	s_or_b64 exec, exec, s[16:17]
	global_load_dwordx2 v[8:9], v31, s[44:45] offset:40
	global_load_dwordx4 v[24:27], v31, s[44:45]
	v_readfirstlane_b32 s16, v4
	v_readfirstlane_b32 s17, v5
	s_mov_b64 s[18:19], exec
	s_waitcnt vmcnt(1)
	v_readfirstlane_b32 s20, v8
	v_readfirstlane_b32 s21, v9
	s_and_b64 s[20:21], s[16:17], s[20:21]
	s_mul_i32 s15, s21, 24
	s_mul_hi_u32 s22, s20, 24
	s_add_i32 s23, s22, s15
	s_mul_i32 s22, s20, 24
	s_waitcnt vmcnt(0)
	v_lshl_add_u64 v[32:33], v[24:25], 0, s[22:23]
	s_and_saveexec_b64 s[22:23], s[0:1]
	s_cbranch_execz .LBB11_365
; %bb.364:                              ;   in Loop: Header=BB11_302 Depth=1
	v_mov_b64_e32 v[4:5], s[18:19]
	global_store_dwordx4 v[32:33], v[4:7], off offset:8
.LBB11_365:                             ;   in Loop: Header=BB11_302 Depth=1
	s_or_b64 exec, exec, s[22:23]
	s_nop 0
	v_or_b32_e32 v5, v2, v28
	v_cmp_gt_u64_e64 vcc, s[6:7], 56
	s_lshl_b32 s15, s10, 2
	s_lshl_b64 s[18:19], s[20:21], 12
	v_cndmask_b32_e32 v2, v5, v2, vcc
	s_add_i32 s15, s15, 28
	v_lshl_add_u64 v[26:27], v[26:27], 0, s[18:19]
	v_or_b32_e32 v4, 0, v3
	s_and_b32 s15, s15, 0x1e0
	v_and_b32_e32 v2, 0xffffff1f, v2
	v_cndmask_b32_e32 v9, v4, v3, vcc
	v_or_b32_e32 v8, s15, v2
	v_readfirstlane_b32 s18, v26
	v_readfirstlane_b32 s19, v27
	s_nop 4
	global_store_dwordx4 v60, v[8:11], s[18:19]
	global_store_dwordx4 v60, v[12:15], s[18:19] offset:16
	global_store_dwordx4 v60, v[16:19], s[18:19] offset:32
	;; [unrolled: 1-line block ×3, first 2 shown]
	s_and_saveexec_b64 s[18:19], s[0:1]
	s_cbranch_execz .LBB11_373
; %bb.366:                              ;   in Loop: Header=BB11_302 Depth=1
	global_load_dwordx2 v[12:13], v31, s[44:45] offset:32 sc0 sc1
	global_load_dwordx2 v[2:3], v31, s[44:45] offset:40
	v_mov_b32_e32 v10, s16
	v_mov_b32_e32 v11, s17
	s_waitcnt vmcnt(0)
	v_readfirstlane_b32 s20, v2
	v_readfirstlane_b32 s21, v3
	s_and_b64 s[20:21], s[20:21], s[16:17]
	s_mul_i32 s15, s21, 24
	s_mul_hi_u32 s21, s20, 24
	s_mul_i32 s20, s20, 24
	s_add_i32 s21, s21, s15
	v_lshl_add_u64 v[8:9], v[24:25], 0, s[20:21]
	global_store_dwordx2 v[8:9], v[12:13], off
	buffer_wbl2 sc0 sc1
	s_waitcnt vmcnt(0)
	global_atomic_cmpswap_x2 v[4:5], v31, v[10:13], s[44:45] offset:32 sc0 sc1
	s_waitcnt vmcnt(0)
	v_cmp_ne_u64_e32 vcc, v[4:5], v[12:13]
	s_and_saveexec_b64 s[20:21], vcc
	s_cbranch_execz .LBB11_369
; %bb.367:                              ;   in Loop: Header=BB11_302 Depth=1
	s_mov_b64 s[22:23], 0
.LBB11_368:                             ;   Parent Loop BB11_302 Depth=1
                                        ; =>  This Inner Loop Header: Depth=2
	s_sleep 1
	global_store_dwordx2 v[8:9], v[4:5], off
	v_mov_b32_e32 v2, s16
	v_mov_b32_e32 v3, s17
	buffer_wbl2 sc0 sc1
	s_waitcnt vmcnt(0)
	global_atomic_cmpswap_x2 v[2:3], v31, v[2:5], s[44:45] offset:32 sc0 sc1
	s_waitcnt vmcnt(0)
	v_cmp_eq_u64_e32 vcc, v[2:3], v[4:5]
	s_or_b64 s[22:23], vcc, s[22:23]
	v_mov_b64_e32 v[4:5], v[2:3]
	s_andn2_b64 exec, exec, s[22:23]
	s_cbranch_execnz .LBB11_368
.LBB11_369:                             ;   in Loop: Header=BB11_302 Depth=1
	s_or_b64 exec, exec, s[20:21]
	global_load_dwordx2 v[2:3], v31, s[44:45] offset:16
	s_mov_b64 s[22:23], exec
	v_mbcnt_lo_u32_b32 v4, s22, 0
	v_mbcnt_hi_u32_b32 v4, s23, v4
	v_cmp_eq_u32_e32 vcc, 0, v4
	s_and_saveexec_b64 s[20:21], vcc
	s_cbranch_execz .LBB11_371
; %bb.370:                              ;   in Loop: Header=BB11_302 Depth=1
	s_bcnt1_i32_b64 s15, s[22:23]
	v_mov_b32_e32 v30, s15
	buffer_wbl2 sc0 sc1
	s_waitcnt vmcnt(0)
	global_atomic_add_x2 v[2:3], v[30:31], off offset:8 sc1
.LBB11_371:                             ;   in Loop: Header=BB11_302 Depth=1
	s_or_b64 exec, exec, s[20:21]
	s_waitcnt vmcnt(0)
	global_load_dwordx2 v[4:5], v[2:3], off offset:16
	s_waitcnt vmcnt(0)
	v_cmp_eq_u64_e32 vcc, 0, v[4:5]
	s_cbranch_vccnz .LBB11_373
; %bb.372:                              ;   in Loop: Header=BB11_302 Depth=1
	global_load_dword v30, v[2:3], off offset:24
	s_waitcnt vmcnt(0)
	v_and_b32_e32 v2, 0xffffff, v30
	s_nop 0
	v_readfirstlane_b32 m0, v2
	buffer_wbl2 sc0 sc1
	global_store_dwordx2 v[4:5], v[30:31], off sc0 sc1
	s_sendmsg sendmsg(MSG_INTERRUPT)
.LBB11_373:                             ;   in Loop: Header=BB11_302 Depth=1
	s_or_b64 exec, exec, s[18:19]
	v_mov_b32_e32 v61, v31
	v_lshl_add_u64 v[2:3], v[26:27], 0, v[60:61]
	s_branch .LBB11_377
.LBB11_374:                             ;   in Loop: Header=BB11_377 Depth=2
	s_or_b64 exec, exec, s[18:19]
	v_readfirstlane_b32 s15, v4
	s_cmp_eq_u32 s15, 0
	s_cbranch_scc1 .LBB11_376
; %bb.375:                              ;   in Loop: Header=BB11_377 Depth=2
	s_sleep 1
	s_cbranch_execnz .LBB11_377
	s_branch .LBB11_379
.LBB11_376:                             ;   in Loop: Header=BB11_302 Depth=1
	s_branch .LBB11_379
.LBB11_377:                             ;   Parent Loop BB11_302 Depth=1
                                        ; =>  This Inner Loop Header: Depth=2
	v_mov_b32_e32 v4, 1
	s_and_saveexec_b64 s[18:19], s[0:1]
	s_cbranch_execz .LBB11_374
; %bb.378:                              ;   in Loop: Header=BB11_377 Depth=2
	global_load_dword v4, v[32:33], off offset:20 sc0 sc1
	s_waitcnt vmcnt(0)
	buffer_inv sc0 sc1
	v_and_b32_e32 v4, 1, v4
	s_branch .LBB11_374
.LBB11_379:                             ;   in Loop: Header=BB11_302 Depth=1
	global_load_dwordx4 v[2:5], v[2:3], off
	s_and_saveexec_b64 s[18:19], s[0:1]
	s_cbranch_execz .LBB11_301
; %bb.380:                              ;   in Loop: Header=BB11_302 Depth=1
	global_load_dwordx2 v[4:5], v31, s[44:45] offset:40
	global_load_dwordx2 v[12:13], v31, s[44:45] offset:24 sc0 sc1
	global_load_dwordx2 v[14:15], v31, s[44:45]
	s_waitcnt vmcnt(2)
	v_lshl_add_u64 v[8:9], v[4:5], 0, 1
	v_lshl_add_u64 v[16:17], v[8:9], 0, s[16:17]
	v_cmp_eq_u64_e32 vcc, 0, v[16:17]
	s_waitcnt vmcnt(1)
	v_mov_b32_e32 v10, v12
	v_cndmask_b32_e32 v9, v17, v9, vcc
	v_cndmask_b32_e32 v8, v16, v8, vcc
	v_and_b32_e32 v5, v9, v5
	v_and_b32_e32 v4, v8, v4
	v_mul_lo_u32 v5, v5, 24
	v_mul_hi_u32 v11, v4, 24
	v_mul_lo_u32 v4, v4, 24
	v_add_u32_e32 v5, v11, v5
	s_waitcnt vmcnt(0)
	v_lshl_add_u64 v[4:5], v[14:15], 0, v[4:5]
	global_store_dwordx2 v[4:5], v[12:13], off
	v_mov_b32_e32 v11, v13
	buffer_wbl2 sc0 sc1
	s_waitcnt vmcnt(0)
	global_atomic_cmpswap_x2 v[10:11], v31, v[8:11], s[44:45] offset:24 sc0 sc1
	s_waitcnt vmcnt(0)
	v_cmp_ne_u64_e32 vcc, v[10:11], v[12:13]
	s_and_b64 exec, exec, vcc
	s_cbranch_execz .LBB11_301
; %bb.381:                              ;   in Loop: Header=BB11_302 Depth=1
	s_mov_b64 s[0:1], 0
.LBB11_382:                             ;   Parent Loop BB11_302 Depth=1
                                        ; =>  This Inner Loop Header: Depth=2
	s_sleep 1
	global_store_dwordx2 v[4:5], v[10:11], off
	buffer_wbl2 sc0 sc1
	s_waitcnt vmcnt(0)
	global_atomic_cmpswap_x2 v[12:13], v31, v[8:11], s[44:45] offset:24 sc0 sc1
	s_waitcnt vmcnt(0)
	v_cmp_eq_u64_e32 vcc, v[12:13], v[10:11]
	s_or_b64 s[0:1], vcc, s[0:1]
	v_mov_b64_e32 v[10:11], v[12:13]
	s_andn2_b64 exec, exec, s[0:1]
	s_cbranch_execnz .LBB11_382
	s_branch .LBB11_301
.LBB11_383:
	s_branch .LBB11_411
.LBB11_384:
                                        ; implicit-def: $vgpr2_vgpr3
	s_cbranch_execz .LBB11_411
; %bb.385:
	v_readfirstlane_b32 s0, v47
	s_waitcnt vmcnt(0)
	v_mov_b64_e32 v[2:3], 0
	v_cmp_eq_u32_e64 s[0:1], s0, v47
	s_and_saveexec_b64 s[4:5], s[0:1]
	s_cbranch_execz .LBB11_391
; %bb.386:
	v_mov_b32_e32 v4, 0
	global_load_dwordx2 v[8:9], v4, s[44:45] offset:24 sc0 sc1
	s_waitcnt vmcnt(0)
	buffer_inv sc0 sc1
	global_load_dwordx2 v[2:3], v4, s[44:45] offset:40
	global_load_dwordx2 v[6:7], v4, s[44:45]
	s_waitcnt vmcnt(1)
	v_and_b32_e32 v2, v2, v8
	v_and_b32_e32 v3, v3, v9
	v_mul_lo_u32 v3, v3, 24
	v_mul_hi_u32 v5, v2, 24
	v_add_u32_e32 v3, v5, v3
	v_mul_lo_u32 v2, v2, 24
	s_waitcnt vmcnt(0)
	v_lshl_add_u64 v[2:3], v[6:7], 0, v[2:3]
	global_load_dwordx2 v[6:7], v[2:3], off sc0 sc1
	s_waitcnt vmcnt(0)
	global_atomic_cmpswap_x2 v[2:3], v4, v[6:9], s[44:45] offset:24 sc0 sc1
	s_waitcnt vmcnt(0)
	buffer_inv sc0 sc1
	v_cmp_ne_u64_e32 vcc, v[2:3], v[8:9]
	s_and_saveexec_b64 s[6:7], vcc
	s_cbranch_execz .LBB11_390
; %bb.387:
	s_mov_b64 s[10:11], 0
.LBB11_388:                             ; =>This Inner Loop Header: Depth=1
	s_sleep 1
	global_load_dwordx2 v[6:7], v4, s[44:45] offset:40
	global_load_dwordx2 v[10:11], v4, s[44:45]
	v_mov_b64_e32 v[8:9], v[2:3]
	s_waitcnt vmcnt(1)
	v_and_b32_e32 v2, v6, v8
	s_waitcnt vmcnt(0)
	v_mad_u64_u32 v[2:3], s[16:17], v2, 24, v[10:11]
	v_and_b32_e32 v5, v7, v9
	v_mov_b32_e32 v6, v3
	v_mad_u64_u32 v[6:7], s[16:17], v5, 24, v[6:7]
	v_mov_b32_e32 v3, v6
	global_load_dwordx2 v[6:7], v[2:3], off sc0 sc1
	s_waitcnt vmcnt(0)
	global_atomic_cmpswap_x2 v[2:3], v4, v[6:9], s[44:45] offset:24 sc0 sc1
	s_waitcnt vmcnt(0)
	buffer_inv sc0 sc1
	v_cmp_eq_u64_e32 vcc, v[2:3], v[8:9]
	s_or_b64 s[10:11], vcc, s[10:11]
	s_andn2_b64 exec, exec, s[10:11]
	s_cbranch_execnz .LBB11_388
; %bb.389:
	s_or_b64 exec, exec, s[10:11]
.LBB11_390:
	s_or_b64 exec, exec, s[6:7]
.LBB11_391:
	s_or_b64 exec, exec, s[4:5]
	v_mov_b32_e32 v61, 0
	global_load_dwordx2 v[8:9], v61, s[44:45] offset:40
	global_load_dwordx4 v[4:7], v61, s[44:45]
	v_readfirstlane_b32 s4, v2
	v_readfirstlane_b32 s5, v3
	s_mov_b64 s[6:7], exec
	s_waitcnt vmcnt(1)
	v_readfirstlane_b32 s10, v8
	v_readfirstlane_b32 s11, v9
	s_and_b64 s[10:11], s[4:5], s[10:11]
	s_mul_i32 s15, s11, 24
	s_mul_hi_u32 s16, s10, 24
	s_add_i32 s17, s16, s15
	s_mul_i32 s16, s10, 24
	s_waitcnt vmcnt(0)
	v_lshl_add_u64 v[8:9], v[4:5], 0, s[16:17]
	s_and_saveexec_b64 s[16:17], s[0:1]
	s_cbranch_execz .LBB11_393
; %bb.392:
	v_mov_b64_e32 v[10:11], s[6:7]
	v_mov_b32_e32 v12, 2
	v_mov_b32_e32 v13, 1
	global_store_dwordx4 v[8:9], v[10:13], off offset:8
.LBB11_393:
	s_or_b64 exec, exec, s[16:17]
	s_lshl_b64 s[6:7], s[10:11], 12
	v_lshl_add_u64 v[6:7], v[6:7], 0, s[6:7]
	s_movk_i32 s6, 0xff1f
	s_mov_b32 s16, 0
	v_and_or_b32 v0, v0, s6, 32
	v_mov_b32_e32 v2, v61
	v_mov_b32_e32 v3, v61
	v_readfirstlane_b32 s6, v6
	v_readfirstlane_b32 s7, v7
	s_mov_b32 s17, s16
	s_mov_b32 s18, s16
	;; [unrolled: 1-line block ×3, first 2 shown]
	s_nop 1
	global_store_dwordx4 v60, v[0:3], s[6:7]
	s_nop 1
	v_mov_b64_e32 v[0:1], s[16:17]
	v_mov_b64_e32 v[2:3], s[18:19]
	global_store_dwordx4 v60, v[0:3], s[6:7] offset:16
	global_store_dwordx4 v60, v[0:3], s[6:7] offset:32
	;; [unrolled: 1-line block ×3, first 2 shown]
	s_and_saveexec_b64 s[6:7], s[0:1]
	s_cbranch_execz .LBB11_401
; %bb.394:
	v_mov_b32_e32 v10, 0
	global_load_dwordx2 v[14:15], v10, s[44:45] offset:32 sc0 sc1
	global_load_dwordx2 v[0:1], v10, s[44:45] offset:40
	v_mov_b32_e32 v12, s4
	v_mov_b32_e32 v13, s5
	s_waitcnt vmcnt(0)
	v_readfirstlane_b32 s10, v0
	v_readfirstlane_b32 s11, v1
	s_and_b64 s[10:11], s[10:11], s[4:5]
	s_mul_i32 s11, s11, 24
	s_mul_hi_u32 s15, s10, 24
	s_mul_i32 s10, s10, 24
	s_add_i32 s11, s15, s11
	v_lshl_add_u64 v[4:5], v[4:5], 0, s[10:11]
	global_store_dwordx2 v[4:5], v[14:15], off
	buffer_wbl2 sc0 sc1
	s_waitcnt vmcnt(0)
	global_atomic_cmpswap_x2 v[2:3], v10, v[12:15], s[44:45] offset:32 sc0 sc1
	s_waitcnt vmcnt(0)
	v_cmp_ne_u64_e32 vcc, v[2:3], v[14:15]
	s_and_saveexec_b64 s[10:11], vcc
	s_cbranch_execz .LBB11_397
; %bb.395:
	s_mov_b64 s[16:17], 0
.LBB11_396:                             ; =>This Inner Loop Header: Depth=1
	s_sleep 1
	global_store_dwordx2 v[4:5], v[2:3], off
	v_mov_b32_e32 v0, s4
	v_mov_b32_e32 v1, s5
	buffer_wbl2 sc0 sc1
	s_waitcnt vmcnt(0)
	global_atomic_cmpswap_x2 v[0:1], v10, v[0:3], s[44:45] offset:32 sc0 sc1
	s_waitcnt vmcnt(0)
	v_cmp_eq_u64_e32 vcc, v[0:1], v[2:3]
	s_or_b64 s[16:17], vcc, s[16:17]
	v_mov_b64_e32 v[2:3], v[0:1]
	s_andn2_b64 exec, exec, s[16:17]
	s_cbranch_execnz .LBB11_396
.LBB11_397:
	s_or_b64 exec, exec, s[10:11]
	v_mov_b32_e32 v3, 0
	global_load_dwordx2 v[0:1], v3, s[44:45] offset:16
	s_mov_b64 s[10:11], exec
	v_mbcnt_lo_u32_b32 v2, s10, 0
	v_mbcnt_hi_u32_b32 v2, s11, v2
	v_cmp_eq_u32_e32 vcc, 0, v2
	s_and_saveexec_b64 s[16:17], vcc
	s_cbranch_execz .LBB11_399
; %bb.398:
	s_bcnt1_i32_b64 s10, s[10:11]
	v_mov_b32_e32 v2, s10
	buffer_wbl2 sc0 sc1
	s_waitcnt vmcnt(0)
	global_atomic_add_x2 v[0:1], v[2:3], off offset:8 sc1
.LBB11_399:
	s_or_b64 exec, exec, s[16:17]
	s_waitcnt vmcnt(0)
	global_load_dwordx2 v[2:3], v[0:1], off offset:16
	s_waitcnt vmcnt(0)
	v_cmp_eq_u64_e32 vcc, 0, v[2:3]
	s_cbranch_vccnz .LBB11_401
; %bb.400:
	global_load_dword v0, v[0:1], off offset:24
	v_mov_b32_e32 v1, 0
	buffer_wbl2 sc0 sc1
	s_waitcnt vmcnt(0)
	global_store_dwordx2 v[2:3], v[0:1], off sc0 sc1
	v_and_b32_e32 v0, 0xffffff, v0
	s_nop 0
	v_readfirstlane_b32 m0, v0
	s_sendmsg sendmsg(MSG_INTERRUPT)
.LBB11_401:
	s_or_b64 exec, exec, s[6:7]
	v_lshl_add_u64 v[0:1], v[6:7], 0, v[60:61]
	s_branch .LBB11_405
.LBB11_402:                             ;   in Loop: Header=BB11_405 Depth=1
	s_or_b64 exec, exec, s[6:7]
	v_readfirstlane_b32 s6, v2
	s_cmp_eq_u32 s6, 0
	s_cbranch_scc1 .LBB11_404
; %bb.403:                              ;   in Loop: Header=BB11_405 Depth=1
	s_sleep 1
	s_cbranch_execnz .LBB11_405
	s_branch .LBB11_407
.LBB11_404:
	s_branch .LBB11_407
.LBB11_405:                             ; =>This Inner Loop Header: Depth=1
	v_mov_b32_e32 v2, 1
	s_and_saveexec_b64 s[6:7], s[0:1]
	s_cbranch_execz .LBB11_402
; %bb.406:                              ;   in Loop: Header=BB11_405 Depth=1
	global_load_dword v2, v[8:9], off offset:20 sc0 sc1
	s_waitcnt vmcnt(0)
	buffer_inv sc0 sc1
	v_and_b32_e32 v2, 1, v2
	s_branch .LBB11_402
.LBB11_407:
	global_load_dwordx2 v[2:3], v[0:1], off
	s_and_saveexec_b64 s[6:7], s[0:1]
	s_cbranch_execz .LBB11_410
; %bb.408:
	v_mov_b32_e32 v8, 0
	global_load_dwordx2 v[0:1], v8, s[44:45] offset:40
	global_load_dwordx2 v[10:11], v8, s[44:45] offset:24 sc0 sc1
	global_load_dwordx2 v[12:13], v8, s[44:45]
	s_mov_b64 s[0:1], 0
	s_waitcnt vmcnt(2)
	v_lshl_add_u64 v[4:5], v[0:1], 0, 1
	v_lshl_add_u64 v[14:15], v[4:5], 0, s[4:5]
	v_cmp_eq_u64_e32 vcc, 0, v[14:15]
	s_waitcnt vmcnt(1)
	v_mov_b32_e32 v6, v10
	v_cndmask_b32_e32 v5, v15, v5, vcc
	v_cndmask_b32_e32 v4, v14, v4, vcc
	v_and_b32_e32 v1, v5, v1
	v_and_b32_e32 v0, v4, v0
	v_mul_lo_u32 v1, v1, 24
	v_mul_hi_u32 v7, v0, 24
	v_mul_lo_u32 v0, v0, 24
	v_add_u32_e32 v1, v7, v1
	s_waitcnt vmcnt(0)
	v_lshl_add_u64 v[0:1], v[12:13], 0, v[0:1]
	global_store_dwordx2 v[0:1], v[10:11], off
	v_mov_b32_e32 v7, v11
	buffer_wbl2 sc0 sc1
	s_waitcnt vmcnt(0)
	global_atomic_cmpswap_x2 v[6:7], v8, v[4:7], s[44:45] offset:24 sc0 sc1
	s_waitcnt vmcnt(0)
	v_cmp_ne_u64_e32 vcc, v[6:7], v[10:11]
	s_and_b64 exec, exec, vcc
	s_cbranch_execz .LBB11_410
.LBB11_409:                             ; =>This Inner Loop Header: Depth=1
	s_sleep 1
	global_store_dwordx2 v[0:1], v[6:7], off
	buffer_wbl2 sc0 sc1
	s_waitcnt vmcnt(0)
	global_atomic_cmpswap_x2 v[10:11], v8, v[4:7], s[44:45] offset:24 sc0 sc1
	s_waitcnt vmcnt(0)
	v_cmp_eq_u64_e32 vcc, v[10:11], v[6:7]
	s_or_b64 s[0:1], vcc, s[0:1]
	v_mov_b64_e32 v[6:7], v[10:11]
	s_andn2_b64 exec, exec, s[0:1]
	s_cbranch_execnz .LBB11_409
.LBB11_410:
	s_or_b64 exec, exec, s[6:7]
.LBB11_411:
	v_readfirstlane_b32 s0, v47
	s_waitcnt vmcnt(0)
	v_mov_b64_e32 v[0:1], 0
	v_cmp_eq_u32_e64 s[0:1], s0, v47
	s_and_saveexec_b64 s[4:5], s[0:1]
	s_cbranch_execz .LBB11_417
; %bb.412:
	v_mov_b32_e32 v4, 0
	global_load_dwordx2 v[8:9], v4, s[44:45] offset:24 sc0 sc1
	s_waitcnt vmcnt(0)
	buffer_inv sc0 sc1
	global_load_dwordx2 v[0:1], v4, s[44:45] offset:40
	global_load_dwordx2 v[6:7], v4, s[44:45]
	s_waitcnt vmcnt(1)
	v_and_b32_e32 v0, v0, v8
	v_and_b32_e32 v1, v1, v9
	v_mul_lo_u32 v1, v1, 24
	v_mul_hi_u32 v5, v0, 24
	v_add_u32_e32 v1, v5, v1
	v_mul_lo_u32 v0, v0, 24
	s_waitcnt vmcnt(0)
	v_lshl_add_u64 v[0:1], v[6:7], 0, v[0:1]
	global_load_dwordx2 v[6:7], v[0:1], off sc0 sc1
	s_waitcnt vmcnt(0)
	global_atomic_cmpswap_x2 v[0:1], v4, v[6:9], s[44:45] offset:24 sc0 sc1
	s_waitcnt vmcnt(0)
	buffer_inv sc0 sc1
	v_cmp_ne_u64_e32 vcc, v[0:1], v[8:9]
	s_and_saveexec_b64 s[6:7], vcc
	s_cbranch_execz .LBB11_416
; %bb.413:
	s_mov_b64 s[10:11], 0
.LBB11_414:                             ; =>This Inner Loop Header: Depth=1
	s_sleep 1
	global_load_dwordx2 v[6:7], v4, s[44:45] offset:40
	global_load_dwordx2 v[10:11], v4, s[44:45]
	v_mov_b64_e32 v[8:9], v[0:1]
	s_waitcnt vmcnt(1)
	v_and_b32_e32 v0, v6, v8
	s_waitcnt vmcnt(0)
	v_mad_u64_u32 v[0:1], s[16:17], v0, 24, v[10:11]
	v_and_b32_e32 v5, v7, v9
	v_mov_b32_e32 v6, v1
	v_mad_u64_u32 v[6:7], s[16:17], v5, 24, v[6:7]
	v_mov_b32_e32 v1, v6
	global_load_dwordx2 v[6:7], v[0:1], off sc0 sc1
	s_waitcnt vmcnt(0)
	global_atomic_cmpswap_x2 v[0:1], v4, v[6:9], s[44:45] offset:24 sc0 sc1
	s_waitcnt vmcnt(0)
	buffer_inv sc0 sc1
	v_cmp_eq_u64_e32 vcc, v[0:1], v[8:9]
	s_or_b64 s[10:11], vcc, s[10:11]
	s_andn2_b64 exec, exec, s[10:11]
	s_cbranch_execnz .LBB11_414
; %bb.415:
	s_or_b64 exec, exec, s[10:11]
.LBB11_416:
	s_or_b64 exec, exec, s[6:7]
.LBB11_417:
	s_or_b64 exec, exec, s[4:5]
	v_mov_b32_e32 v5, 0
	global_load_dwordx2 v[10:11], v5, s[44:45] offset:40
	global_load_dwordx4 v[6:9], v5, s[44:45]
	v_readfirstlane_b32 s4, v0
	v_readfirstlane_b32 s5, v1
	s_mov_b64 s[6:7], exec
	s_waitcnt vmcnt(1)
	v_readfirstlane_b32 s10, v10
	v_readfirstlane_b32 s11, v11
	s_and_b64 s[10:11], s[4:5], s[10:11]
	s_mul_i32 s15, s11, 24
	s_mul_hi_u32 s16, s10, 24
	s_add_i32 s17, s16, s15
	s_mul_i32 s16, s10, 24
	s_waitcnt vmcnt(0)
	v_lshl_add_u64 v[10:11], v[6:7], 0, s[16:17]
	s_and_saveexec_b64 s[16:17], s[0:1]
	s_cbranch_execz .LBB11_419
; %bb.418:
	v_mov_b64_e32 v[12:13], s[6:7]
	v_mov_b32_e32 v14, 2
	v_mov_b32_e32 v15, 1
	global_store_dwordx4 v[10:11], v[12:15], off offset:8
.LBB11_419:
	s_or_b64 exec, exec, s[16:17]
	s_lshl_b64 s[6:7], s[10:11], 12
	v_lshl_add_u64 v[0:1], v[8:9], 0, s[6:7]
	s_movk_i32 s6, 0xff1d
	s_mov_b32 s16, 0
	v_and_or_b32 v2, v2, s6, 34
	v_mov_b32_e32 v4, 10
	v_readfirstlane_b32 s6, v0
	v_readfirstlane_b32 s7, v1
	s_mov_b32 s17, s16
	s_mov_b32 s18, s16
	;; [unrolled: 1-line block ×3, first 2 shown]
	s_nop 1
	global_store_dwordx4 v60, v[2:5], s[6:7]
	v_mov_b64_e32 v[0:1], s[16:17]
	s_nop 0
	v_mov_b64_e32 v[2:3], s[18:19]
	global_store_dwordx4 v60, v[0:3], s[6:7] offset:16
	global_store_dwordx4 v60, v[0:3], s[6:7] offset:32
	;; [unrolled: 1-line block ×3, first 2 shown]
	s_and_saveexec_b64 s[6:7], s[0:1]
	s_cbranch_execz .LBB11_427
; %bb.420:
	v_mov_b32_e32 v8, 0
	global_load_dwordx2 v[14:15], v8, s[44:45] offset:32 sc0 sc1
	global_load_dwordx2 v[0:1], v8, s[44:45] offset:40
	v_mov_b32_e32 v12, s4
	v_mov_b32_e32 v13, s5
	s_waitcnt vmcnt(0)
	v_readfirstlane_b32 s10, v0
	v_readfirstlane_b32 s11, v1
	s_and_b64 s[10:11], s[10:11], s[4:5]
	s_mul_i32 s11, s11, 24
	s_mul_hi_u32 s15, s10, 24
	s_mul_i32 s10, s10, 24
	s_add_i32 s11, s15, s11
	v_lshl_add_u64 v[4:5], v[6:7], 0, s[10:11]
	global_store_dwordx2 v[4:5], v[14:15], off
	buffer_wbl2 sc0 sc1
	s_waitcnt vmcnt(0)
	global_atomic_cmpswap_x2 v[2:3], v8, v[12:15], s[44:45] offset:32 sc0 sc1
	s_waitcnt vmcnt(0)
	v_cmp_ne_u64_e32 vcc, v[2:3], v[14:15]
	s_and_saveexec_b64 s[10:11], vcc
	s_cbranch_execz .LBB11_423
; %bb.421:
	s_mov_b64 s[16:17], 0
.LBB11_422:                             ; =>This Inner Loop Header: Depth=1
	s_sleep 1
	global_store_dwordx2 v[4:5], v[2:3], off
	v_mov_b32_e32 v0, s4
	v_mov_b32_e32 v1, s5
	buffer_wbl2 sc0 sc1
	s_waitcnt vmcnt(0)
	global_atomic_cmpswap_x2 v[0:1], v8, v[0:3], s[44:45] offset:32 sc0 sc1
	s_waitcnt vmcnt(0)
	v_cmp_eq_u64_e32 vcc, v[0:1], v[2:3]
	s_or_b64 s[16:17], vcc, s[16:17]
	v_mov_b64_e32 v[2:3], v[0:1]
	s_andn2_b64 exec, exec, s[16:17]
	s_cbranch_execnz .LBB11_422
.LBB11_423:
	s_or_b64 exec, exec, s[10:11]
	v_mov_b32_e32 v3, 0
	global_load_dwordx2 v[0:1], v3, s[44:45] offset:16
	s_mov_b64 s[10:11], exec
	v_mbcnt_lo_u32_b32 v2, s10, 0
	v_mbcnt_hi_u32_b32 v2, s11, v2
	v_cmp_eq_u32_e32 vcc, 0, v2
	s_and_saveexec_b64 s[16:17], vcc
	s_cbranch_execz .LBB11_425
; %bb.424:
	s_bcnt1_i32_b64 s10, s[10:11]
	v_mov_b32_e32 v2, s10
	buffer_wbl2 sc0 sc1
	s_waitcnt vmcnt(0)
	global_atomic_add_x2 v[0:1], v[2:3], off offset:8 sc1
.LBB11_425:
	s_or_b64 exec, exec, s[16:17]
	s_waitcnt vmcnt(0)
	global_load_dwordx2 v[2:3], v[0:1], off offset:16
	s_waitcnt vmcnt(0)
	v_cmp_eq_u64_e32 vcc, 0, v[2:3]
	s_cbranch_vccnz .LBB11_427
; %bb.426:
	global_load_dword v0, v[0:1], off offset:24
	v_mov_b32_e32 v1, 0
	buffer_wbl2 sc0 sc1
	s_waitcnt vmcnt(0)
	global_store_dwordx2 v[2:3], v[0:1], off sc0 sc1
	v_and_b32_e32 v0, 0xffffff, v0
	s_nop 0
	v_readfirstlane_b32 m0, v0
	s_sendmsg sendmsg(MSG_INTERRUPT)
.LBB11_427:
	s_or_b64 exec, exec, s[6:7]
	s_branch .LBB11_431
.LBB11_428:                             ;   in Loop: Header=BB11_431 Depth=1
	s_or_b64 exec, exec, s[6:7]
	v_readfirstlane_b32 s6, v0
	s_cmp_eq_u32 s6, 0
	s_cbranch_scc1 .LBB11_430
; %bb.429:                              ;   in Loop: Header=BB11_431 Depth=1
	s_sleep 1
	s_cbranch_execnz .LBB11_431
	s_branch .LBB11_433
.LBB11_430:
	s_branch .LBB11_433
.LBB11_431:                             ; =>This Inner Loop Header: Depth=1
	v_mov_b32_e32 v0, 1
	s_and_saveexec_b64 s[6:7], s[0:1]
	s_cbranch_execz .LBB11_428
; %bb.432:                              ;   in Loop: Header=BB11_431 Depth=1
	global_load_dword v0, v[10:11], off offset:20 sc0 sc1
	s_waitcnt vmcnt(0)
	buffer_inv sc0 sc1
	v_and_b32_e32 v0, 1, v0
	s_branch .LBB11_428
.LBB11_433:
	s_and_saveexec_b64 s[6:7], s[0:1]
	s_cbranch_execz .LBB11_436
; %bb.434:
	v_mov_b32_e32 v6, 0
	global_load_dwordx2 v[4:5], v6, s[44:45] offset:40
	global_load_dwordx2 v[8:9], v6, s[44:45] offset:24 sc0 sc1
	global_load_dwordx2 v[10:11], v6, s[44:45]
	s_mov_b64 s[0:1], 0
	s_waitcnt vmcnt(2)
	v_lshl_add_u64 v[0:1], v[4:5], 0, 1
	v_lshl_add_u64 v[12:13], v[0:1], 0, s[4:5]
	v_cmp_eq_u64_e32 vcc, 0, v[12:13]
	s_waitcnt vmcnt(1)
	v_mov_b32_e32 v2, v8
	v_cndmask_b32_e32 v1, v13, v1, vcc
	v_cndmask_b32_e32 v0, v12, v0, vcc
	v_and_b32_e32 v3, v1, v5
	v_and_b32_e32 v4, v0, v4
	v_mul_lo_u32 v3, v3, 24
	v_mul_hi_u32 v5, v4, 24
	v_mul_lo_u32 v4, v4, 24
	v_add_u32_e32 v5, v5, v3
	s_waitcnt vmcnt(0)
	v_lshl_add_u64 v[4:5], v[10:11], 0, v[4:5]
	global_store_dwordx2 v[4:5], v[8:9], off
	v_mov_b32_e32 v3, v9
	buffer_wbl2 sc0 sc1
	s_waitcnt vmcnt(0)
	global_atomic_cmpswap_x2 v[2:3], v6, v[0:3], s[44:45] offset:24 sc0 sc1
	s_waitcnt vmcnt(0)
	v_cmp_ne_u64_e32 vcc, v[2:3], v[8:9]
	s_and_b64 exec, exec, vcc
	s_cbranch_execz .LBB11_436
.LBB11_435:                             ; =>This Inner Loop Header: Depth=1
	s_sleep 1
	global_store_dwordx2 v[4:5], v[2:3], off
	buffer_wbl2 sc0 sc1
	s_waitcnt vmcnt(0)
	global_atomic_cmpswap_x2 v[8:9], v6, v[0:3], s[44:45] offset:24 sc0 sc1
	s_waitcnt vmcnt(0)
	v_cmp_eq_u64_e32 vcc, v[8:9], v[2:3]
	s_or_b64 s[0:1], vcc, s[0:1]
	v_mov_b64_e32 v[2:3], v[8:9]
	s_andn2_b64 exec, exec, s[0:1]
	s_cbranch_execnz .LBB11_435
.LBB11_436:
	s_or_b64 exec, exec, s[6:7]
	v_readfirstlane_b32 s0, v47
	v_mov_b64_e32 v[4:5], 0
	s_nop 0
	v_cmp_eq_u32_e64 s[0:1], s0, v47
	s_and_saveexec_b64 s[4:5], s[0:1]
	s_cbranch_execz .LBB11_442
; %bb.437:
	v_mov_b32_e32 v0, 0
	global_load_dwordx2 v[6:7], v0, s[44:45] offset:24 sc0 sc1
	s_waitcnt vmcnt(0)
	buffer_inv sc0 sc1
	global_load_dwordx2 v[2:3], v0, s[44:45] offset:40
	global_load_dwordx2 v[4:5], v0, s[44:45]
	s_waitcnt vmcnt(1)
	v_and_b32_e32 v1, v2, v6
	v_and_b32_e32 v2, v3, v7
	v_mul_lo_u32 v2, v2, 24
	v_mul_hi_u32 v3, v1, 24
	v_add_u32_e32 v3, v3, v2
	v_mul_lo_u32 v2, v1, 24
	s_waitcnt vmcnt(0)
	v_lshl_add_u64 v[2:3], v[4:5], 0, v[2:3]
	global_load_dwordx2 v[4:5], v[2:3], off sc0 sc1
	s_waitcnt vmcnt(0)
	global_atomic_cmpswap_x2 v[4:5], v0, v[4:7], s[44:45] offset:24 sc0 sc1
	s_waitcnt vmcnt(0)
	buffer_inv sc0 sc1
	v_cmp_ne_u64_e32 vcc, v[4:5], v[6:7]
	s_and_saveexec_b64 s[6:7], vcc
	s_cbranch_execz .LBB11_441
; %bb.438:
	s_mov_b64 s[10:11], 0
.LBB11_439:                             ; =>This Inner Loop Header: Depth=1
	s_sleep 1
	global_load_dwordx2 v[2:3], v0, s[44:45] offset:40
	global_load_dwordx2 v[8:9], v0, s[44:45]
	v_mov_b64_e32 v[6:7], v[4:5]
	s_waitcnt vmcnt(1)
	v_and_b32_e32 v2, v2, v6
	v_and_b32_e32 v1, v3, v7
	s_waitcnt vmcnt(0)
	v_mad_u64_u32 v[2:3], s[16:17], v2, 24, v[8:9]
	v_mov_b32_e32 v4, v3
	v_mad_u64_u32 v[4:5], s[16:17], v1, 24, v[4:5]
	v_mov_b32_e32 v3, v4
	global_load_dwordx2 v[4:5], v[2:3], off sc0 sc1
	s_waitcnt vmcnt(0)
	global_atomic_cmpswap_x2 v[4:5], v0, v[4:7], s[44:45] offset:24 sc0 sc1
	s_waitcnt vmcnt(0)
	buffer_inv sc0 sc1
	v_cmp_eq_u64_e32 vcc, v[4:5], v[6:7]
	s_or_b64 s[10:11], vcc, s[10:11]
	s_andn2_b64 exec, exec, s[10:11]
	s_cbranch_execnz .LBB11_439
; %bb.440:
	s_or_b64 exec, exec, s[10:11]
.LBB11_441:
	s_or_b64 exec, exec, s[6:7]
.LBB11_442:
	s_or_b64 exec, exec, s[4:5]
	v_mov_b32_e32 v61, 0
	global_load_dwordx2 v[6:7], v61, s[44:45] offset:40
	global_load_dwordx4 v[0:3], v61, s[44:45]
	v_readfirstlane_b32 s4, v4
	v_readfirstlane_b32 s5, v5
	s_mov_b64 s[6:7], exec
	s_waitcnt vmcnt(1)
	v_readfirstlane_b32 s10, v6
	v_readfirstlane_b32 s11, v7
	s_and_b64 s[10:11], s[4:5], s[10:11]
	s_mul_i32 s15, s11, 24
	s_mul_hi_u32 s16, s10, 24
	s_add_i32 s17, s16, s15
	s_mul_i32 s16, s10, 24
	s_waitcnt vmcnt(0)
	v_lshl_add_u64 v[4:5], v[0:1], 0, s[16:17]
	s_and_saveexec_b64 s[16:17], s[0:1]
	s_cbranch_execz .LBB11_444
; %bb.443:
	v_mov_b64_e32 v[6:7], s[6:7]
	v_mov_b32_e32 v8, 2
	v_mov_b32_e32 v9, 1
	global_store_dwordx4 v[4:5], v[6:9], off offset:8
.LBB11_444:
	s_or_b64 exec, exec, s[16:17]
	s_lshl_b64 s[6:7], s[10:11], 12
	v_lshl_add_u64 v[6:7], v[2:3], 0, s[6:7]
	s_mov_b32 s16, 0
	v_mov_b32_e32 v8, 33
	v_mov_b32_e32 v9, v61
	v_mov_b32_e32 v10, v61
	v_mov_b32_e32 v11, v61
	v_readfirstlane_b32 s6, v6
	v_readfirstlane_b32 s7, v7
	s_mov_b32 s17, s16
	s_mov_b32 s18, s16
	;; [unrolled: 1-line block ×3, first 2 shown]
	s_nop 1
	global_store_dwordx4 v60, v[8:11], s[6:7]
	s_nop 1
	v_mov_b64_e32 v[8:9], s[16:17]
	v_mov_b64_e32 v[10:11], s[18:19]
	global_store_dwordx4 v60, v[8:11], s[6:7] offset:16
	global_store_dwordx4 v60, v[8:11], s[6:7] offset:32
	;; [unrolled: 1-line block ×3, first 2 shown]
	s_and_saveexec_b64 s[6:7], s[0:1]
	s_cbranch_execz .LBB11_452
; %bb.445:
	v_mov_b32_e32 v10, 0
	global_load_dwordx2 v[14:15], v10, s[44:45] offset:32 sc0 sc1
	global_load_dwordx2 v[2:3], v10, s[44:45] offset:40
	v_mov_b32_e32 v12, s4
	v_mov_b32_e32 v13, s5
	s_waitcnt vmcnt(0)
	v_readfirstlane_b32 s10, v2
	v_readfirstlane_b32 s11, v3
	s_and_b64 s[10:11], s[10:11], s[4:5]
	s_mul_i32 s11, s11, 24
	s_mul_hi_u32 s15, s10, 24
	s_mul_i32 s10, s10, 24
	s_add_i32 s11, s15, s11
	v_lshl_add_u64 v[8:9], v[0:1], 0, s[10:11]
	global_store_dwordx2 v[8:9], v[14:15], off
	buffer_wbl2 sc0 sc1
	s_waitcnt vmcnt(0)
	global_atomic_cmpswap_x2 v[2:3], v10, v[12:15], s[44:45] offset:32 sc0 sc1
	s_waitcnt vmcnt(0)
	v_cmp_ne_u64_e32 vcc, v[2:3], v[14:15]
	s_and_saveexec_b64 s[10:11], vcc
	s_cbranch_execz .LBB11_448
; %bb.446:
	s_mov_b64 s[16:17], 0
.LBB11_447:                             ; =>This Inner Loop Header: Depth=1
	s_sleep 1
	global_store_dwordx2 v[8:9], v[2:3], off
	v_mov_b32_e32 v0, s4
	v_mov_b32_e32 v1, s5
	buffer_wbl2 sc0 sc1
	s_waitcnt vmcnt(0)
	global_atomic_cmpswap_x2 v[0:1], v10, v[0:3], s[44:45] offset:32 sc0 sc1
	s_waitcnt vmcnt(0)
	v_cmp_eq_u64_e32 vcc, v[0:1], v[2:3]
	s_or_b64 s[16:17], vcc, s[16:17]
	v_mov_b64_e32 v[2:3], v[0:1]
	s_andn2_b64 exec, exec, s[16:17]
	s_cbranch_execnz .LBB11_447
.LBB11_448:
	s_or_b64 exec, exec, s[10:11]
	v_mov_b32_e32 v3, 0
	global_load_dwordx2 v[0:1], v3, s[44:45] offset:16
	s_mov_b64 s[10:11], exec
	v_mbcnt_lo_u32_b32 v2, s10, 0
	v_mbcnt_hi_u32_b32 v2, s11, v2
	v_cmp_eq_u32_e32 vcc, 0, v2
	s_and_saveexec_b64 s[16:17], vcc
	s_cbranch_execz .LBB11_450
; %bb.449:
	s_bcnt1_i32_b64 s10, s[10:11]
	v_mov_b32_e32 v2, s10
	buffer_wbl2 sc0 sc1
	s_waitcnt vmcnt(0)
	global_atomic_add_x2 v[0:1], v[2:3], off offset:8 sc1
.LBB11_450:
	s_or_b64 exec, exec, s[16:17]
	s_waitcnt vmcnt(0)
	global_load_dwordx2 v[2:3], v[0:1], off offset:16
	s_waitcnt vmcnt(0)
	v_cmp_eq_u64_e32 vcc, 0, v[2:3]
	s_cbranch_vccnz .LBB11_452
; %bb.451:
	global_load_dword v0, v[0:1], off offset:24
	v_mov_b32_e32 v1, 0
	buffer_wbl2 sc0 sc1
	s_waitcnt vmcnt(0)
	global_store_dwordx2 v[2:3], v[0:1], off sc0 sc1
	v_and_b32_e32 v0, 0xffffff, v0
	s_nop 0
	v_readfirstlane_b32 m0, v0
	s_sendmsg sendmsg(MSG_INTERRUPT)
.LBB11_452:
	s_or_b64 exec, exec, s[6:7]
	v_lshl_add_u64 v[0:1], v[6:7], 0, v[60:61]
	s_branch .LBB11_456
.LBB11_453:                             ;   in Loop: Header=BB11_456 Depth=1
	s_or_b64 exec, exec, s[6:7]
	v_readfirstlane_b32 s6, v2
	s_cmp_eq_u32 s6, 0
	s_cbranch_scc1 .LBB11_455
; %bb.454:                              ;   in Loop: Header=BB11_456 Depth=1
	s_sleep 1
	s_cbranch_execnz .LBB11_456
	s_branch .LBB11_458
.LBB11_455:
	s_branch .LBB11_458
.LBB11_456:                             ; =>This Inner Loop Header: Depth=1
	v_mov_b32_e32 v2, 1
	s_and_saveexec_b64 s[6:7], s[0:1]
	s_cbranch_execz .LBB11_453
; %bb.457:                              ;   in Loop: Header=BB11_456 Depth=1
	global_load_dword v2, v[4:5], off offset:20 sc0 sc1
	s_waitcnt vmcnt(0)
	buffer_inv sc0 sc1
	v_and_b32_e32 v2, 1, v2
	s_branch .LBB11_453
.LBB11_458:
	global_load_dwordx2 v[4:5], v[0:1], off
	s_and_saveexec_b64 s[6:7], s[0:1]
	s_cbranch_execz .LBB11_461
; %bb.459:
	v_mov_b32_e32 v8, 0
	global_load_dwordx2 v[6:7], v8, s[44:45] offset:40
	global_load_dwordx2 v[10:11], v8, s[44:45] offset:24 sc0 sc1
	global_load_dwordx2 v[12:13], v8, s[44:45]
	s_mov_b64 s[0:1], 0
	s_waitcnt vmcnt(2)
	v_lshl_add_u64 v[0:1], v[6:7], 0, 1
	v_lshl_add_u64 v[14:15], v[0:1], 0, s[4:5]
	v_cmp_eq_u64_e32 vcc, 0, v[14:15]
	s_waitcnt vmcnt(1)
	v_mov_b32_e32 v2, v10
	v_cndmask_b32_e32 v1, v15, v1, vcc
	v_cndmask_b32_e32 v0, v14, v0, vcc
	v_and_b32_e32 v3, v1, v7
	v_and_b32_e32 v6, v0, v6
	v_mul_lo_u32 v3, v3, 24
	v_mul_hi_u32 v7, v6, 24
	v_mul_lo_u32 v6, v6, 24
	v_add_u32_e32 v7, v7, v3
	s_waitcnt vmcnt(0)
	v_lshl_add_u64 v[6:7], v[12:13], 0, v[6:7]
	global_store_dwordx2 v[6:7], v[10:11], off
	v_mov_b32_e32 v3, v11
	buffer_wbl2 sc0 sc1
	s_waitcnt vmcnt(0)
	global_atomic_cmpswap_x2 v[2:3], v8, v[0:3], s[44:45] offset:24 sc0 sc1
	s_waitcnt vmcnt(0)
	v_cmp_ne_u64_e32 vcc, v[2:3], v[10:11]
	s_and_b64 exec, exec, vcc
	s_cbranch_execz .LBB11_461
.LBB11_460:                             ; =>This Inner Loop Header: Depth=1
	s_sleep 1
	global_store_dwordx2 v[6:7], v[2:3], off
	buffer_wbl2 sc0 sc1
	s_waitcnt vmcnt(0)
	global_atomic_cmpswap_x2 v[10:11], v8, v[0:3], s[44:45] offset:24 sc0 sc1
	s_waitcnt vmcnt(0)
	v_cmp_eq_u64_e32 vcc, v[10:11], v[2:3]
	s_or_b64 s[0:1], vcc, s[0:1]
	v_mov_b64_e32 v[2:3], v[10:11]
	s_andn2_b64 exec, exec, s[0:1]
	s_cbranch_execnz .LBB11_460
.LBB11_461:
	s_or_b64 exec, exec, s[6:7]
	s_and_b64 vcc, exec, s[2:3]
	s_cbranch_vccz .LBB11_546
; %bb.462:
	s_waitcnt vmcnt(0)
	v_and_b32_e32 v26, 2, v4
	v_mov_b32_e32 v29, 0
	v_and_b32_e32 v0, -3, v4
	v_mov_b32_e32 v1, v5
	s_mov_b64 s[6:7], 3
	v_mov_b32_e32 v8, 2
	v_mov_b32_e32 v9, 1
	s_getpc_b64 s[4:5]
	s_add_u32 s4, s4, .str.5@rel32@lo+4
	s_addc_u32 s5, s5, .str.5@rel32@hi+12
	s_branch .LBB11_464
.LBB11_463:                             ;   in Loop: Header=BB11_464 Depth=1
	s_or_b64 exec, exec, s[18:19]
	s_sub_u32 s6, s6, s10
	s_subb_u32 s7, s7, s11
	s_add_u32 s4, s4, s10
	s_addc_u32 s5, s5, s11
	s_cmp_lg_u64 s[6:7], 0
	s_cbranch_scc0 .LBB11_545
.LBB11_464:                             ; =>This Loop Header: Depth=1
                                        ;     Child Loop BB11_467 Depth 2
                                        ;     Child Loop BB11_474 Depth 2
	;; [unrolled: 1-line block ×11, first 2 shown]
	v_cmp_lt_u64_e64 s[0:1], s[6:7], 56
	s_and_b64 s[0:1], s[0:1], exec
	v_cmp_gt_u64_e64 s[0:1], s[6:7], 7
	s_cselect_b32 s11, s7, 0
	s_cselect_b32 s10, s6, 56
	s_and_b64 vcc, exec, s[0:1]
	s_cbranch_vccnz .LBB11_469
; %bb.465:                              ;   in Loop: Header=BB11_464 Depth=1
	s_mov_b64 s[0:1], 0
	s_cmp_eq_u64 s[6:7], 0
	s_waitcnt vmcnt(0)
	v_mov_b64_e32 v[2:3], 0
	s_cbranch_scc1 .LBB11_468
; %bb.466:                              ;   in Loop: Header=BB11_464 Depth=1
	s_lshl_b64 s[16:17], s[10:11], 3
	s_mov_b64 s[18:19], 0
	v_mov_b64_e32 v[2:3], 0
	s_mov_b64 s[20:21], s[4:5]
.LBB11_467:                             ;   Parent Loop BB11_464 Depth=1
                                        ; =>  This Inner Loop Header: Depth=2
	global_load_ubyte v6, v29, s[20:21]
	s_waitcnt vmcnt(0)
	v_and_b32_e32 v28, 0xffff, v6
	v_lshlrev_b64 v[6:7], s18, v[28:29]
	s_add_u32 s18, s18, 8
	s_addc_u32 s19, s19, 0
	s_add_u32 s20, s20, 1
	s_addc_u32 s21, s21, 0
	v_or_b32_e32 v2, v6, v2
	s_cmp_lg_u32 s16, s18
	v_or_b32_e32 v3, v7, v3
	s_cbranch_scc1 .LBB11_467
.LBB11_468:                             ;   in Loop: Header=BB11_464 Depth=1
	s_mov_b32 s15, 0
	s_andn2_b64 vcc, exec, s[0:1]
	s_mov_b64 s[0:1], s[4:5]
	s_cbranch_vccz .LBB11_470
	s_branch .LBB11_471
.LBB11_469:                             ;   in Loop: Header=BB11_464 Depth=1
                                        ; implicit-def: $vgpr2_vgpr3
                                        ; implicit-def: $sgpr15
	s_mov_b64 s[0:1], s[4:5]
.LBB11_470:                             ;   in Loop: Header=BB11_464 Depth=1
	global_load_dwordx2 v[2:3], v29, s[4:5]
	s_add_i32 s15, s10, -8
	s_add_u32 s0, s4, 8
	s_addc_u32 s1, s5, 0
.LBB11_471:                             ;   in Loop: Header=BB11_464 Depth=1
	s_cmp_gt_u32 s15, 7
	s_cbranch_scc1 .LBB11_475
; %bb.472:                              ;   in Loop: Header=BB11_464 Depth=1
	s_cmp_eq_u32 s15, 0
	s_cbranch_scc1 .LBB11_476
; %bb.473:                              ;   in Loop: Header=BB11_464 Depth=1
	s_mov_b64 s[16:17], 0
	v_mov_b64_e32 v[10:11], 0
	s_mov_b64 s[18:19], 0
.LBB11_474:                             ;   Parent Loop BB11_464 Depth=1
                                        ; =>  This Inner Loop Header: Depth=2
	s_add_u32 s20, s0, s18
	s_addc_u32 s21, s1, s19
	global_load_ubyte v6, v29, s[20:21]
	s_add_u32 s18, s18, 1
	s_addc_u32 s19, s19, 0
	s_waitcnt vmcnt(0)
	v_and_b32_e32 v28, 0xffff, v6
	v_lshlrev_b64 v[6:7], s16, v[28:29]
	s_add_u32 s16, s16, 8
	s_addc_u32 s17, s17, 0
	v_or_b32_e32 v10, v6, v10
	s_cmp_lg_u32 s15, s18
	v_or_b32_e32 v11, v7, v11
	s_cbranch_scc1 .LBB11_474
	s_branch .LBB11_477
.LBB11_475:                             ;   in Loop: Header=BB11_464 Depth=1
                                        ; implicit-def: $vgpr10_vgpr11
                                        ; implicit-def: $sgpr20
	s_branch .LBB11_478
.LBB11_476:                             ;   in Loop: Header=BB11_464 Depth=1
	v_mov_b64_e32 v[10:11], 0
.LBB11_477:                             ;   in Loop: Header=BB11_464 Depth=1
	s_mov_b32 s20, 0
	s_cbranch_execnz .LBB11_479
.LBB11_478:                             ;   in Loop: Header=BB11_464 Depth=1
	global_load_dwordx2 v[10:11], v29, s[0:1]
	s_add_i32 s20, s15, -8
	s_add_u32 s0, s0, 8
	s_addc_u32 s1, s1, 0
.LBB11_479:                             ;   in Loop: Header=BB11_464 Depth=1
	s_cmp_gt_u32 s20, 7
	s_cbranch_scc1 .LBB11_483
; %bb.480:                              ;   in Loop: Header=BB11_464 Depth=1
	s_cmp_eq_u32 s20, 0
	s_cbranch_scc1 .LBB11_484
; %bb.481:                              ;   in Loop: Header=BB11_464 Depth=1
	s_mov_b64 s[16:17], 0
	v_mov_b64_e32 v[12:13], 0
	s_mov_b64 s[18:19], 0
.LBB11_482:                             ;   Parent Loop BB11_464 Depth=1
                                        ; =>  This Inner Loop Header: Depth=2
	s_add_u32 s22, s0, s18
	s_addc_u32 s23, s1, s19
	global_load_ubyte v6, v29, s[22:23]
	s_add_u32 s18, s18, 1
	s_addc_u32 s19, s19, 0
	s_waitcnt vmcnt(0)
	v_and_b32_e32 v28, 0xffff, v6
	v_lshlrev_b64 v[6:7], s16, v[28:29]
	s_add_u32 s16, s16, 8
	s_addc_u32 s17, s17, 0
	v_or_b32_e32 v12, v6, v12
	s_cmp_lg_u32 s20, s18
	v_or_b32_e32 v13, v7, v13
	s_cbranch_scc1 .LBB11_482
	s_branch .LBB11_485
.LBB11_483:                             ;   in Loop: Header=BB11_464 Depth=1
                                        ; implicit-def: $sgpr15
	s_branch .LBB11_486
.LBB11_484:                             ;   in Loop: Header=BB11_464 Depth=1
	v_mov_b64_e32 v[12:13], 0
.LBB11_485:                             ;   in Loop: Header=BB11_464 Depth=1
	s_mov_b32 s15, 0
	s_cbranch_execnz .LBB11_487
.LBB11_486:                             ;   in Loop: Header=BB11_464 Depth=1
	global_load_dwordx2 v[12:13], v29, s[0:1]
	s_add_i32 s15, s20, -8
	s_add_u32 s0, s0, 8
	s_addc_u32 s1, s1, 0
.LBB11_487:                             ;   in Loop: Header=BB11_464 Depth=1
	s_cmp_gt_u32 s15, 7
	s_cbranch_scc1 .LBB11_491
; %bb.488:                              ;   in Loop: Header=BB11_464 Depth=1
	s_cmp_eq_u32 s15, 0
	s_cbranch_scc1 .LBB11_492
; %bb.489:                              ;   in Loop: Header=BB11_464 Depth=1
	s_mov_b64 s[16:17], 0
	v_mov_b64_e32 v[14:15], 0
	s_mov_b64 s[18:19], 0
.LBB11_490:                             ;   Parent Loop BB11_464 Depth=1
                                        ; =>  This Inner Loop Header: Depth=2
	s_add_u32 s20, s0, s18
	s_addc_u32 s21, s1, s19
	global_load_ubyte v6, v29, s[20:21]
	s_add_u32 s18, s18, 1
	s_addc_u32 s19, s19, 0
	s_waitcnt vmcnt(0)
	v_and_b32_e32 v28, 0xffff, v6
	v_lshlrev_b64 v[6:7], s16, v[28:29]
	s_add_u32 s16, s16, 8
	s_addc_u32 s17, s17, 0
	v_or_b32_e32 v14, v6, v14
	s_cmp_lg_u32 s15, s18
	v_or_b32_e32 v15, v7, v15
	s_cbranch_scc1 .LBB11_490
	s_branch .LBB11_493
.LBB11_491:                             ;   in Loop: Header=BB11_464 Depth=1
                                        ; implicit-def: $vgpr14_vgpr15
                                        ; implicit-def: $sgpr20
	s_branch .LBB11_494
.LBB11_492:                             ;   in Loop: Header=BB11_464 Depth=1
	v_mov_b64_e32 v[14:15], 0
.LBB11_493:                             ;   in Loop: Header=BB11_464 Depth=1
	s_mov_b32 s20, 0
	s_cbranch_execnz .LBB11_495
.LBB11_494:                             ;   in Loop: Header=BB11_464 Depth=1
	global_load_dwordx2 v[14:15], v29, s[0:1]
	s_add_i32 s20, s15, -8
	s_add_u32 s0, s0, 8
	s_addc_u32 s1, s1, 0
.LBB11_495:                             ;   in Loop: Header=BB11_464 Depth=1
	s_cmp_gt_u32 s20, 7
	s_cbranch_scc1 .LBB11_499
; %bb.496:                              ;   in Loop: Header=BB11_464 Depth=1
	s_cmp_eq_u32 s20, 0
	s_cbranch_scc1 .LBB11_500
; %bb.497:                              ;   in Loop: Header=BB11_464 Depth=1
	s_mov_b64 s[16:17], 0
	v_mov_b64_e32 v[16:17], 0
	s_mov_b64 s[18:19], 0
.LBB11_498:                             ;   Parent Loop BB11_464 Depth=1
                                        ; =>  This Inner Loop Header: Depth=2
	s_add_u32 s22, s0, s18
	s_addc_u32 s23, s1, s19
	global_load_ubyte v6, v29, s[22:23]
	s_add_u32 s18, s18, 1
	s_addc_u32 s19, s19, 0
	s_waitcnt vmcnt(0)
	v_and_b32_e32 v28, 0xffff, v6
	v_lshlrev_b64 v[6:7], s16, v[28:29]
	s_add_u32 s16, s16, 8
	s_addc_u32 s17, s17, 0
	v_or_b32_e32 v16, v6, v16
	s_cmp_lg_u32 s20, s18
	v_or_b32_e32 v17, v7, v17
	s_cbranch_scc1 .LBB11_498
	s_branch .LBB11_501
.LBB11_499:                             ;   in Loop: Header=BB11_464 Depth=1
                                        ; implicit-def: $sgpr15
	s_branch .LBB11_502
.LBB11_500:                             ;   in Loop: Header=BB11_464 Depth=1
	v_mov_b64_e32 v[16:17], 0
.LBB11_501:                             ;   in Loop: Header=BB11_464 Depth=1
	s_mov_b32 s15, 0
	s_cbranch_execnz .LBB11_503
.LBB11_502:                             ;   in Loop: Header=BB11_464 Depth=1
	global_load_dwordx2 v[16:17], v29, s[0:1]
	s_add_i32 s15, s20, -8
	s_add_u32 s0, s0, 8
	s_addc_u32 s1, s1, 0
.LBB11_503:                             ;   in Loop: Header=BB11_464 Depth=1
	s_cmp_gt_u32 s15, 7
	s_cbranch_scc1 .LBB11_507
; %bb.504:                              ;   in Loop: Header=BB11_464 Depth=1
	s_cmp_eq_u32 s15, 0
	s_cbranch_scc1 .LBB11_508
; %bb.505:                              ;   in Loop: Header=BB11_464 Depth=1
	s_mov_b64 s[16:17], 0
	v_mov_b64_e32 v[18:19], 0
	s_mov_b64 s[18:19], 0
.LBB11_506:                             ;   Parent Loop BB11_464 Depth=1
                                        ; =>  This Inner Loop Header: Depth=2
	s_add_u32 s20, s0, s18
	s_addc_u32 s21, s1, s19
	global_load_ubyte v6, v29, s[20:21]
	s_add_u32 s18, s18, 1
	s_addc_u32 s19, s19, 0
	s_waitcnt vmcnt(0)
	v_and_b32_e32 v28, 0xffff, v6
	v_lshlrev_b64 v[6:7], s16, v[28:29]
	s_add_u32 s16, s16, 8
	s_addc_u32 s17, s17, 0
	v_or_b32_e32 v18, v6, v18
	s_cmp_lg_u32 s15, s18
	v_or_b32_e32 v19, v7, v19
	s_cbranch_scc1 .LBB11_506
	s_branch .LBB11_509
.LBB11_507:                             ;   in Loop: Header=BB11_464 Depth=1
                                        ; implicit-def: $vgpr18_vgpr19
                                        ; implicit-def: $sgpr20
	s_branch .LBB11_510
.LBB11_508:                             ;   in Loop: Header=BB11_464 Depth=1
	v_mov_b64_e32 v[18:19], 0
.LBB11_509:                             ;   in Loop: Header=BB11_464 Depth=1
	s_mov_b32 s20, 0
	s_cbranch_execnz .LBB11_511
.LBB11_510:                             ;   in Loop: Header=BB11_464 Depth=1
	global_load_dwordx2 v[18:19], v29, s[0:1]
	s_add_i32 s20, s15, -8
	s_add_u32 s0, s0, 8
	s_addc_u32 s1, s1, 0
.LBB11_511:                             ;   in Loop: Header=BB11_464 Depth=1
	s_cmp_gt_u32 s20, 7
	s_cbranch_scc1 .LBB11_515
; %bb.512:                              ;   in Loop: Header=BB11_464 Depth=1
	s_cmp_eq_u32 s20, 0
	s_cbranch_scc1 .LBB11_516
; %bb.513:                              ;   in Loop: Header=BB11_464 Depth=1
	s_mov_b64 s[16:17], 0
	v_mov_b64_e32 v[20:21], 0
	s_mov_b64 s[18:19], s[0:1]
.LBB11_514:                             ;   Parent Loop BB11_464 Depth=1
                                        ; =>  This Inner Loop Header: Depth=2
	global_load_ubyte v6, v29, s[18:19]
	s_add_i32 s20, s20, -1
	s_waitcnt vmcnt(0)
	v_and_b32_e32 v28, 0xffff, v6
	v_lshlrev_b64 v[6:7], s16, v[28:29]
	s_add_u32 s16, s16, 8
	s_addc_u32 s17, s17, 0
	s_add_u32 s18, s18, 1
	s_addc_u32 s19, s19, 0
	v_or_b32_e32 v20, v6, v20
	s_cmp_lg_u32 s20, 0
	v_or_b32_e32 v21, v7, v21
	s_cbranch_scc1 .LBB11_514
	s_branch .LBB11_517
.LBB11_515:                             ;   in Loop: Header=BB11_464 Depth=1
	s_branch .LBB11_518
.LBB11_516:                             ;   in Loop: Header=BB11_464 Depth=1
	v_mov_b64_e32 v[20:21], 0
.LBB11_517:                             ;   in Loop: Header=BB11_464 Depth=1
	s_cbranch_execnz .LBB11_519
.LBB11_518:                             ;   in Loop: Header=BB11_464 Depth=1
	global_load_dwordx2 v[20:21], v29, s[0:1]
.LBB11_519:                             ;   in Loop: Header=BB11_464 Depth=1
	v_readfirstlane_b32 s0, v47
	v_mov_b64_e32 v[6:7], 0
	s_nop 0
	v_cmp_eq_u32_e64 s[0:1], s0, v47
	s_and_saveexec_b64 s[16:17], s[0:1]
	s_cbranch_execz .LBB11_525
; %bb.520:                              ;   in Loop: Header=BB11_464 Depth=1
	global_load_dwordx2 v[24:25], v29, s[44:45] offset:24 sc0 sc1
	s_waitcnt vmcnt(0)
	buffer_inv sc0 sc1
	global_load_dwordx2 v[6:7], v29, s[44:45] offset:40
	global_load_dwordx2 v[22:23], v29, s[44:45]
	s_waitcnt vmcnt(1)
	v_and_b32_e32 v6, v6, v24
	v_and_b32_e32 v7, v7, v25
	v_mul_lo_u32 v7, v7, 24
	v_mul_hi_u32 v27, v6, 24
	v_add_u32_e32 v7, v27, v7
	v_mul_lo_u32 v6, v6, 24
	s_waitcnt vmcnt(0)
	v_lshl_add_u64 v[6:7], v[22:23], 0, v[6:7]
	global_load_dwordx2 v[22:23], v[6:7], off sc0 sc1
	s_waitcnt vmcnt(0)
	global_atomic_cmpswap_x2 v[6:7], v29, v[22:25], s[44:45] offset:24 sc0 sc1
	s_waitcnt vmcnt(0)
	buffer_inv sc0 sc1
	v_cmp_ne_u64_e32 vcc, v[6:7], v[24:25]
	s_and_saveexec_b64 s[18:19], vcc
	s_cbranch_execz .LBB11_524
; %bb.521:                              ;   in Loop: Header=BB11_464 Depth=1
	s_mov_b64 s[20:21], 0
.LBB11_522:                             ;   Parent Loop BB11_464 Depth=1
                                        ; =>  This Inner Loop Header: Depth=2
	s_sleep 1
	global_load_dwordx2 v[22:23], v29, s[44:45] offset:40
	global_load_dwordx2 v[30:31], v29, s[44:45]
	v_mov_b64_e32 v[24:25], v[6:7]
	s_waitcnt vmcnt(1)
	v_and_b32_e32 v6, v22, v24
	s_waitcnt vmcnt(0)
	v_mad_u64_u32 v[6:7], s[22:23], v6, 24, v[30:31]
	v_and_b32_e32 v23, v23, v25
	v_mov_b32_e32 v22, v7
	v_mad_u64_u32 v[22:23], s[22:23], v23, 24, v[22:23]
	v_mov_b32_e32 v7, v22
	global_load_dwordx2 v[22:23], v[6:7], off sc0 sc1
	s_waitcnt vmcnt(0)
	global_atomic_cmpswap_x2 v[6:7], v29, v[22:25], s[44:45] offset:24 sc0 sc1
	s_waitcnt vmcnt(0)
	buffer_inv sc0 sc1
	v_cmp_eq_u64_e32 vcc, v[6:7], v[24:25]
	s_or_b64 s[20:21], vcc, s[20:21]
	s_andn2_b64 exec, exec, s[20:21]
	s_cbranch_execnz .LBB11_522
; %bb.523:                              ;   in Loop: Header=BB11_464 Depth=1
	s_or_b64 exec, exec, s[20:21]
.LBB11_524:                             ;   in Loop: Header=BB11_464 Depth=1
	s_or_b64 exec, exec, s[18:19]
.LBB11_525:                             ;   in Loop: Header=BB11_464 Depth=1
	s_or_b64 exec, exec, s[16:17]
	global_load_dwordx2 v[30:31], v29, s[44:45] offset:40
	global_load_dwordx4 v[22:25], v29, s[44:45]
	v_readfirstlane_b32 s16, v6
	v_readfirstlane_b32 s17, v7
	s_mov_b64 s[18:19], exec
	s_waitcnt vmcnt(1)
	v_readfirstlane_b32 s20, v30
	v_readfirstlane_b32 s21, v31
	s_and_b64 s[20:21], s[16:17], s[20:21]
	s_mul_i32 s15, s21, 24
	s_mul_hi_u32 s22, s20, 24
	s_add_i32 s23, s22, s15
	s_mul_i32 s22, s20, 24
	s_waitcnt vmcnt(0)
	v_lshl_add_u64 v[30:31], v[22:23], 0, s[22:23]
	s_and_saveexec_b64 s[22:23], s[0:1]
	s_cbranch_execz .LBB11_527
; %bb.526:                              ;   in Loop: Header=BB11_464 Depth=1
	v_mov_b64_e32 v[6:7], s[18:19]
	global_store_dwordx4 v[30:31], v[6:9], off offset:8
.LBB11_527:                             ;   in Loop: Header=BB11_464 Depth=1
	s_or_b64 exec, exec, s[22:23]
	s_lshl_b64 s[18:19], s[20:21], 12
	v_lshl_add_u64 v[6:7], v[24:25], 0, s[18:19]
	v_or_b32_e32 v25, v0, v26
	v_cmp_gt_u64_e64 vcc, s[6:7], 56
	s_lshl_b32 s15, s10, 2
	s_add_i32 s15, s15, 28
	v_cndmask_b32_e32 v0, v25, v0, vcc
	v_or_b32_e32 v24, 0, v1
	s_and_b32 s15, s15, 0x1e0
	v_and_b32_e32 v0, 0xffffff1f, v0
	v_cndmask_b32_e32 v1, v24, v1, vcc
	v_or_b32_e32 v0, s15, v0
	v_readfirstlane_b32 s18, v6
	v_readfirstlane_b32 s19, v7
	s_nop 4
	global_store_dwordx4 v60, v[0:3], s[18:19]
	global_store_dwordx4 v60, v[10:13], s[18:19] offset:16
	global_store_dwordx4 v60, v[14:17], s[18:19] offset:32
	;; [unrolled: 1-line block ×3, first 2 shown]
	s_and_saveexec_b64 s[18:19], s[0:1]
	s_cbranch_execz .LBB11_535
; %bb.528:                              ;   in Loop: Header=BB11_464 Depth=1
	global_load_dwordx2 v[14:15], v29, s[44:45] offset:32 sc0 sc1
	global_load_dwordx2 v[0:1], v29, s[44:45] offset:40
	v_mov_b32_e32 v12, s16
	v_mov_b32_e32 v13, s17
	s_waitcnt vmcnt(0)
	v_readfirstlane_b32 s20, v0
	v_readfirstlane_b32 s21, v1
	s_and_b64 s[20:21], s[20:21], s[16:17]
	s_mul_i32 s15, s21, 24
	s_mul_hi_u32 s21, s20, 24
	s_mul_i32 s20, s20, 24
	s_add_i32 s21, s21, s15
	v_lshl_add_u64 v[10:11], v[22:23], 0, s[20:21]
	global_store_dwordx2 v[10:11], v[14:15], off
	buffer_wbl2 sc0 sc1
	s_waitcnt vmcnt(0)
	global_atomic_cmpswap_x2 v[2:3], v29, v[12:15], s[44:45] offset:32 sc0 sc1
	s_waitcnt vmcnt(0)
	v_cmp_ne_u64_e32 vcc, v[2:3], v[14:15]
	s_and_saveexec_b64 s[20:21], vcc
	s_cbranch_execz .LBB11_531
; %bb.529:                              ;   in Loop: Header=BB11_464 Depth=1
	s_mov_b64 s[22:23], 0
.LBB11_530:                             ;   Parent Loop BB11_464 Depth=1
                                        ; =>  This Inner Loop Header: Depth=2
	s_sleep 1
	global_store_dwordx2 v[10:11], v[2:3], off
	v_mov_b32_e32 v0, s16
	v_mov_b32_e32 v1, s17
	buffer_wbl2 sc0 sc1
	s_waitcnt vmcnt(0)
	global_atomic_cmpswap_x2 v[0:1], v29, v[0:3], s[44:45] offset:32 sc0 sc1
	s_waitcnt vmcnt(0)
	v_cmp_eq_u64_e32 vcc, v[0:1], v[2:3]
	s_or_b64 s[22:23], vcc, s[22:23]
	v_mov_b64_e32 v[2:3], v[0:1]
	s_andn2_b64 exec, exec, s[22:23]
	s_cbranch_execnz .LBB11_530
.LBB11_531:                             ;   in Loop: Header=BB11_464 Depth=1
	s_or_b64 exec, exec, s[20:21]
	global_load_dwordx2 v[0:1], v29, s[44:45] offset:16
	s_mov_b64 s[22:23], exec
	v_mbcnt_lo_u32_b32 v2, s22, 0
	v_mbcnt_hi_u32_b32 v2, s23, v2
	v_cmp_eq_u32_e32 vcc, 0, v2
	s_and_saveexec_b64 s[20:21], vcc
	s_cbranch_execz .LBB11_533
; %bb.532:                              ;   in Loop: Header=BB11_464 Depth=1
	s_bcnt1_i32_b64 s15, s[22:23]
	v_mov_b32_e32 v28, s15
	buffer_wbl2 sc0 sc1
	s_waitcnt vmcnt(0)
	global_atomic_add_x2 v[0:1], v[28:29], off offset:8 sc1
.LBB11_533:                             ;   in Loop: Header=BB11_464 Depth=1
	s_or_b64 exec, exec, s[20:21]
	s_waitcnt vmcnt(0)
	global_load_dwordx2 v[2:3], v[0:1], off offset:16
	s_waitcnt vmcnt(0)
	v_cmp_eq_u64_e32 vcc, 0, v[2:3]
	s_cbranch_vccnz .LBB11_535
; %bb.534:                              ;   in Loop: Header=BB11_464 Depth=1
	global_load_dword v28, v[0:1], off offset:24
	s_waitcnt vmcnt(0)
	v_and_b32_e32 v0, 0xffffff, v28
	s_nop 0
	v_readfirstlane_b32 m0, v0
	buffer_wbl2 sc0 sc1
	global_store_dwordx2 v[2:3], v[28:29], off sc0 sc1
	s_sendmsg sendmsg(MSG_INTERRUPT)
.LBB11_535:                             ;   in Loop: Header=BB11_464 Depth=1
	s_or_b64 exec, exec, s[18:19]
	v_mov_b32_e32 v61, v29
	v_lshl_add_u64 v[0:1], v[6:7], 0, v[60:61]
	s_branch .LBB11_539
.LBB11_536:                             ;   in Loop: Header=BB11_539 Depth=2
	s_or_b64 exec, exec, s[18:19]
	v_readfirstlane_b32 s15, v2
	s_cmp_eq_u32 s15, 0
	s_cbranch_scc1 .LBB11_538
; %bb.537:                              ;   in Loop: Header=BB11_539 Depth=2
	s_sleep 1
	s_cbranch_execnz .LBB11_539
	s_branch .LBB11_541
.LBB11_538:                             ;   in Loop: Header=BB11_464 Depth=1
	s_branch .LBB11_541
.LBB11_539:                             ;   Parent Loop BB11_464 Depth=1
                                        ; =>  This Inner Loop Header: Depth=2
	v_mov_b32_e32 v2, 1
	s_and_saveexec_b64 s[18:19], s[0:1]
	s_cbranch_execz .LBB11_536
; %bb.540:                              ;   in Loop: Header=BB11_539 Depth=2
	global_load_dword v2, v[30:31], off offset:20 sc0 sc1
	s_waitcnt vmcnt(0)
	buffer_inv sc0 sc1
	v_and_b32_e32 v2, 1, v2
	s_branch .LBB11_536
.LBB11_541:                             ;   in Loop: Header=BB11_464 Depth=1
	global_load_dwordx4 v[0:3], v[0:1], off
	s_and_saveexec_b64 s[18:19], s[0:1]
	s_cbranch_execz .LBB11_463
; %bb.542:                              ;   in Loop: Header=BB11_464 Depth=1
	global_load_dwordx2 v[2:3], v29, s[44:45] offset:40
	global_load_dwordx2 v[6:7], v29, s[44:45] offset:24 sc0 sc1
	global_load_dwordx2 v[14:15], v29, s[44:45]
	s_waitcnt vmcnt(2)
	v_lshl_add_u64 v[10:11], v[2:3], 0, 1
	v_lshl_add_u64 v[16:17], v[10:11], 0, s[16:17]
	v_cmp_eq_u64_e32 vcc, 0, v[16:17]
	s_waitcnt vmcnt(1)
	v_mov_b32_e32 v12, v6
	v_cndmask_b32_e32 v11, v17, v11, vcc
	v_cndmask_b32_e32 v10, v16, v10, vcc
	v_and_b32_e32 v3, v11, v3
	v_and_b32_e32 v2, v10, v2
	v_mul_lo_u32 v3, v3, 24
	v_mul_hi_u32 v13, v2, 24
	v_mul_lo_u32 v2, v2, 24
	v_add_u32_e32 v3, v13, v3
	s_waitcnt vmcnt(0)
	v_lshl_add_u64 v[2:3], v[14:15], 0, v[2:3]
	global_store_dwordx2 v[2:3], v[6:7], off
	v_mov_b32_e32 v13, v7
	buffer_wbl2 sc0 sc1
	s_waitcnt vmcnt(0)
	global_atomic_cmpswap_x2 v[12:13], v29, v[10:13], s[44:45] offset:24 sc0 sc1
	s_waitcnt vmcnt(0)
	v_cmp_ne_u64_e32 vcc, v[12:13], v[6:7]
	s_and_b64 exec, exec, vcc
	s_cbranch_execz .LBB11_463
; %bb.543:                              ;   in Loop: Header=BB11_464 Depth=1
	s_mov_b64 s[0:1], 0
.LBB11_544:                             ;   Parent Loop BB11_464 Depth=1
                                        ; =>  This Inner Loop Header: Depth=2
	s_sleep 1
	global_store_dwordx2 v[2:3], v[12:13], off
	buffer_wbl2 sc0 sc1
	s_waitcnt vmcnt(0)
	global_atomic_cmpswap_x2 v[6:7], v29, v[10:13], s[44:45] offset:24 sc0 sc1
	s_waitcnt vmcnt(0)
	v_cmp_eq_u64_e32 vcc, v[6:7], v[12:13]
	s_or_b64 s[0:1], vcc, s[0:1]
	v_mov_b64_e32 v[12:13], v[6:7]
	s_andn2_b64 exec, exec, s[0:1]
	s_cbranch_execnz .LBB11_544
	s_branch .LBB11_463
.LBB11_545:
	s_branch .LBB11_573
.LBB11_546:
                                        ; implicit-def: $vgpr0_vgpr1
	s_cbranch_execz .LBB11_573
; %bb.547:
	v_readfirstlane_b32 s0, v47
	v_mov_b64_e32 v[6:7], 0
	s_nop 0
	v_cmp_eq_u32_e64 s[0:1], s0, v47
	s_and_saveexec_b64 s[4:5], s[0:1]
	s_cbranch_execz .LBB11_553
; %bb.548:
	s_waitcnt vmcnt(0)
	v_mov_b32_e32 v0, 0
	global_load_dwordx2 v[8:9], v0, s[44:45] offset:24 sc0 sc1
	s_waitcnt vmcnt(0)
	buffer_inv sc0 sc1
	global_load_dwordx2 v[2:3], v0, s[44:45] offset:40
	global_load_dwordx2 v[6:7], v0, s[44:45]
	s_waitcnt vmcnt(1)
	v_and_b32_e32 v1, v2, v8
	v_and_b32_e32 v2, v3, v9
	v_mul_lo_u32 v2, v2, 24
	v_mul_hi_u32 v3, v1, 24
	v_add_u32_e32 v3, v3, v2
	v_mul_lo_u32 v2, v1, 24
	s_waitcnt vmcnt(0)
	v_lshl_add_u64 v[2:3], v[6:7], 0, v[2:3]
	global_load_dwordx2 v[6:7], v[2:3], off sc0 sc1
	s_waitcnt vmcnt(0)
	global_atomic_cmpswap_x2 v[6:7], v0, v[6:9], s[44:45] offset:24 sc0 sc1
	s_waitcnt vmcnt(0)
	buffer_inv sc0 sc1
	v_cmp_ne_u64_e32 vcc, v[6:7], v[8:9]
	s_and_saveexec_b64 s[6:7], vcc
	s_cbranch_execz .LBB11_552
; %bb.549:
	s_mov_b64 s[10:11], 0
.LBB11_550:                             ; =>This Inner Loop Header: Depth=1
	s_sleep 1
	global_load_dwordx2 v[2:3], v0, s[44:45] offset:40
	global_load_dwordx2 v[10:11], v0, s[44:45]
	v_mov_b64_e32 v[8:9], v[6:7]
	s_waitcnt vmcnt(1)
	v_and_b32_e32 v2, v2, v8
	v_and_b32_e32 v1, v3, v9
	s_waitcnt vmcnt(0)
	v_mad_u64_u32 v[2:3], s[16:17], v2, 24, v[10:11]
	v_mov_b32_e32 v6, v3
	v_mad_u64_u32 v[6:7], s[16:17], v1, 24, v[6:7]
	v_mov_b32_e32 v3, v6
	global_load_dwordx2 v[6:7], v[2:3], off sc0 sc1
	s_waitcnt vmcnt(0)
	global_atomic_cmpswap_x2 v[6:7], v0, v[6:9], s[44:45] offset:24 sc0 sc1
	s_waitcnt vmcnt(0)
	buffer_inv sc0 sc1
	v_cmp_eq_u64_e32 vcc, v[6:7], v[8:9]
	s_or_b64 s[10:11], vcc, s[10:11]
	s_andn2_b64 exec, exec, s[10:11]
	s_cbranch_execnz .LBB11_550
; %bb.551:
	s_or_b64 exec, exec, s[10:11]
.LBB11_552:
	s_or_b64 exec, exec, s[6:7]
.LBB11_553:
	s_or_b64 exec, exec, s[4:5]
	v_mov_b32_e32 v61, 0
	global_load_dwordx2 v[8:9], v61, s[44:45] offset:40
	global_load_dwordx4 v[0:3], v61, s[44:45]
	v_readfirstlane_b32 s4, v6
	v_readfirstlane_b32 s5, v7
	s_mov_b64 s[6:7], exec
	s_waitcnt vmcnt(1)
	v_readfirstlane_b32 s10, v8
	v_readfirstlane_b32 s11, v9
	s_and_b64 s[10:11], s[4:5], s[10:11]
	s_mul_i32 s15, s11, 24
	s_mul_hi_u32 s16, s10, 24
	s_add_i32 s17, s16, s15
	s_mul_i32 s16, s10, 24
	s_waitcnt vmcnt(0)
	v_lshl_add_u64 v[8:9], v[0:1], 0, s[16:17]
	s_and_saveexec_b64 s[16:17], s[0:1]
	s_cbranch_execz .LBB11_555
; %bb.554:
	v_mov_b64_e32 v[10:11], s[6:7]
	v_mov_b32_e32 v12, 2
	v_mov_b32_e32 v13, 1
	global_store_dwordx4 v[8:9], v[10:13], off offset:8
.LBB11_555:
	s_or_b64 exec, exec, s[16:17]
	s_lshl_b64 s[6:7], s[10:11], 12
	v_lshl_add_u64 v[10:11], v[2:3], 0, s[6:7]
	s_movk_i32 s6, 0xff1f
	s_mov_b32 s16, 0
	v_and_or_b32 v4, v4, s6, 32
	v_mov_b32_e32 v6, v61
	v_mov_b32_e32 v7, v61
	v_readfirstlane_b32 s6, v10
	v_readfirstlane_b32 s7, v11
	s_mov_b32 s17, s16
	s_mov_b32 s18, s16
	;; [unrolled: 1-line block ×3, first 2 shown]
	s_nop 1
	global_store_dwordx4 v60, v[4:7], s[6:7]
	v_mov_b64_e32 v[2:3], s[16:17]
	s_nop 0
	v_mov_b64_e32 v[4:5], s[18:19]
	global_store_dwordx4 v60, v[2:5], s[6:7] offset:16
	global_store_dwordx4 v60, v[2:5], s[6:7] offset:32
	;; [unrolled: 1-line block ×3, first 2 shown]
	s_and_saveexec_b64 s[6:7], s[0:1]
	s_cbranch_execz .LBB11_563
; %bb.556:
	v_mov_b32_e32 v6, 0
	global_load_dwordx2 v[14:15], v6, s[44:45] offset:32 sc0 sc1
	global_load_dwordx2 v[2:3], v6, s[44:45] offset:40
	v_mov_b32_e32 v12, s4
	v_mov_b32_e32 v13, s5
	s_waitcnt vmcnt(0)
	v_readfirstlane_b32 s10, v2
	v_readfirstlane_b32 s11, v3
	s_and_b64 s[10:11], s[10:11], s[4:5]
	s_mul_i32 s11, s11, 24
	s_mul_hi_u32 s15, s10, 24
	s_mul_i32 s10, s10, 24
	s_add_i32 s11, s15, s11
	v_lshl_add_u64 v[4:5], v[0:1], 0, s[10:11]
	global_store_dwordx2 v[4:5], v[14:15], off
	buffer_wbl2 sc0 sc1
	s_waitcnt vmcnt(0)
	global_atomic_cmpswap_x2 v[2:3], v6, v[12:15], s[44:45] offset:32 sc0 sc1
	s_waitcnt vmcnt(0)
	v_cmp_ne_u64_e32 vcc, v[2:3], v[14:15]
	s_and_saveexec_b64 s[10:11], vcc
	s_cbranch_execz .LBB11_559
; %bb.557:
	s_mov_b64 s[16:17], 0
.LBB11_558:                             ; =>This Inner Loop Header: Depth=1
	s_sleep 1
	global_store_dwordx2 v[4:5], v[2:3], off
	v_mov_b32_e32 v0, s4
	v_mov_b32_e32 v1, s5
	buffer_wbl2 sc0 sc1
	s_waitcnt vmcnt(0)
	global_atomic_cmpswap_x2 v[0:1], v6, v[0:3], s[44:45] offset:32 sc0 sc1
	s_waitcnt vmcnt(0)
	v_cmp_eq_u64_e32 vcc, v[0:1], v[2:3]
	s_or_b64 s[16:17], vcc, s[16:17]
	v_mov_b64_e32 v[2:3], v[0:1]
	s_andn2_b64 exec, exec, s[16:17]
	s_cbranch_execnz .LBB11_558
.LBB11_559:
	s_or_b64 exec, exec, s[10:11]
	v_mov_b32_e32 v3, 0
	global_load_dwordx2 v[0:1], v3, s[44:45] offset:16
	s_mov_b64 s[10:11], exec
	v_mbcnt_lo_u32_b32 v2, s10, 0
	v_mbcnt_hi_u32_b32 v2, s11, v2
	v_cmp_eq_u32_e32 vcc, 0, v2
	s_and_saveexec_b64 s[16:17], vcc
	s_cbranch_execz .LBB11_561
; %bb.560:
	s_bcnt1_i32_b64 s10, s[10:11]
	v_mov_b32_e32 v2, s10
	buffer_wbl2 sc0 sc1
	s_waitcnt vmcnt(0)
	global_atomic_add_x2 v[0:1], v[2:3], off offset:8 sc1
.LBB11_561:
	s_or_b64 exec, exec, s[16:17]
	s_waitcnt vmcnt(0)
	global_load_dwordx2 v[2:3], v[0:1], off offset:16
	s_waitcnt vmcnt(0)
	v_cmp_eq_u64_e32 vcc, 0, v[2:3]
	s_cbranch_vccnz .LBB11_563
; %bb.562:
	global_load_dword v0, v[0:1], off offset:24
	v_mov_b32_e32 v1, 0
	buffer_wbl2 sc0 sc1
	s_waitcnt vmcnt(0)
	global_store_dwordx2 v[2:3], v[0:1], off sc0 sc1
	v_and_b32_e32 v0, 0xffffff, v0
	s_nop 0
	v_readfirstlane_b32 m0, v0
	s_sendmsg sendmsg(MSG_INTERRUPT)
.LBB11_563:
	s_or_b64 exec, exec, s[6:7]
	v_lshl_add_u64 v[0:1], v[10:11], 0, v[60:61]
	s_branch .LBB11_567
.LBB11_564:                             ;   in Loop: Header=BB11_567 Depth=1
	s_or_b64 exec, exec, s[6:7]
	v_readfirstlane_b32 s6, v2
	s_cmp_eq_u32 s6, 0
	s_cbranch_scc1 .LBB11_566
; %bb.565:                              ;   in Loop: Header=BB11_567 Depth=1
	s_sleep 1
	s_cbranch_execnz .LBB11_567
	s_branch .LBB11_569
.LBB11_566:
	s_branch .LBB11_569
.LBB11_567:                             ; =>This Inner Loop Header: Depth=1
	v_mov_b32_e32 v2, 1
	s_and_saveexec_b64 s[6:7], s[0:1]
	s_cbranch_execz .LBB11_564
; %bb.568:                              ;   in Loop: Header=BB11_567 Depth=1
	global_load_dword v2, v[8:9], off offset:20 sc0 sc1
	s_waitcnt vmcnt(0)
	buffer_inv sc0 sc1
	v_and_b32_e32 v2, 1, v2
	s_branch .LBB11_564
.LBB11_569:
	global_load_dwordx2 v[0:1], v[0:1], off
	s_and_saveexec_b64 s[6:7], s[0:1]
	s_cbranch_execz .LBB11_572
; %bb.570:
	v_mov_b32_e32 v8, 0
	global_load_dwordx2 v[6:7], v8, s[44:45] offset:40
	global_load_dwordx2 v[10:11], v8, s[44:45] offset:24 sc0 sc1
	global_load_dwordx2 v[12:13], v8, s[44:45]
	s_mov_b64 s[0:1], 0
	s_waitcnt vmcnt(2)
	v_lshl_add_u64 v[2:3], v[6:7], 0, 1
	v_lshl_add_u64 v[14:15], v[2:3], 0, s[4:5]
	v_cmp_eq_u64_e32 vcc, 0, v[14:15]
	s_waitcnt vmcnt(1)
	v_mov_b32_e32 v4, v10
	v_cndmask_b32_e32 v3, v15, v3, vcc
	v_cndmask_b32_e32 v2, v14, v2, vcc
	v_and_b32_e32 v5, v3, v7
	v_and_b32_e32 v6, v2, v6
	v_mul_lo_u32 v5, v5, 24
	v_mul_hi_u32 v7, v6, 24
	v_mul_lo_u32 v6, v6, 24
	v_add_u32_e32 v7, v7, v5
	s_waitcnt vmcnt(0)
	v_lshl_add_u64 v[6:7], v[12:13], 0, v[6:7]
	global_store_dwordx2 v[6:7], v[10:11], off
	v_mov_b32_e32 v5, v11
	buffer_wbl2 sc0 sc1
	s_waitcnt vmcnt(0)
	global_atomic_cmpswap_x2 v[4:5], v8, v[2:5], s[44:45] offset:24 sc0 sc1
	s_waitcnt vmcnt(0)
	v_cmp_ne_u64_e32 vcc, v[4:5], v[10:11]
	s_and_b64 exec, exec, vcc
	s_cbranch_execz .LBB11_572
.LBB11_571:                             ; =>This Inner Loop Header: Depth=1
	s_sleep 1
	global_store_dwordx2 v[6:7], v[4:5], off
	buffer_wbl2 sc0 sc1
	s_waitcnt vmcnt(0)
	global_atomic_cmpswap_x2 v[10:11], v8, v[2:5], s[44:45] offset:24 sc0 sc1
	s_waitcnt vmcnt(0)
	v_cmp_eq_u64_e32 vcc, v[10:11], v[4:5]
	s_or_b64 s[0:1], vcc, s[0:1]
	v_mov_b64_e32 v[4:5], v[10:11]
	s_andn2_b64 exec, exec, s[0:1]
	s_cbranch_execnz .LBB11_571
.LBB11_572:
	s_or_b64 exec, exec, s[6:7]
.LBB11_573:
	s_getpc_b64 s[4:5]
	s_add_u32 s4, s4, .str.1@rel32@lo+4
	s_addc_u32 s5, s5, .str.1@rel32@hi+12
	s_cmp_lg_u64 s[4:5], 0
	s_cbranch_scc0 .LBB11_658
; %bb.574:
	s_waitcnt vmcnt(0)
	v_and_b32_e32 v6, -3, v0
	v_mov_b32_e32 v7, v1
	s_mov_b64 s[6:7], 0x53
	v_mov_b32_e32 v27, 0
	v_mov_b32_e32 v4, 2
	;; [unrolled: 1-line block ×3, first 2 shown]
	s_branch .LBB11_576
.LBB11_575:                             ;   in Loop: Header=BB11_576 Depth=1
	s_or_b64 exec, exec, s[18:19]
	s_sub_u32 s6, s6, s10
	s_subb_u32 s7, s7, s11
	s_add_u32 s4, s4, s10
	s_addc_u32 s5, s5, s11
	s_cmp_lg_u64 s[6:7], 0
	s_cbranch_scc0 .LBB11_657
.LBB11_576:                             ; =>This Loop Header: Depth=1
                                        ;     Child Loop BB11_579 Depth 2
                                        ;     Child Loop BB11_586 Depth 2
	;; [unrolled: 1-line block ×11, first 2 shown]
	v_cmp_lt_u64_e64 s[0:1], s[6:7], 56
	s_and_b64 s[0:1], s[0:1], exec
	v_cmp_gt_u64_e64 s[0:1], s[6:7], 7
	s_cselect_b32 s11, s7, 0
	s_cselect_b32 s10, s6, 56
	s_and_b64 vcc, exec, s[0:1]
	s_cbranch_vccnz .LBB11_581
; %bb.577:                              ;   in Loop: Header=BB11_576 Depth=1
	s_mov_b64 s[0:1], 0
	s_cmp_eq_u64 s[6:7], 0
	s_waitcnt vmcnt(0)
	v_mov_b64_e32 v[8:9], 0
	s_cbranch_scc1 .LBB11_580
; %bb.578:                              ;   in Loop: Header=BB11_576 Depth=1
	s_lshl_b64 s[16:17], s[10:11], 3
	s_mov_b64 s[18:19], 0
	v_mov_b64_e32 v[8:9], 0
	s_mov_b64 s[20:21], s[4:5]
.LBB11_579:                             ;   Parent Loop BB11_576 Depth=1
                                        ; =>  This Inner Loop Header: Depth=2
	global_load_ubyte v2, v27, s[20:21]
	s_waitcnt vmcnt(0)
	v_and_b32_e32 v26, 0xffff, v2
	v_lshlrev_b64 v[2:3], s18, v[26:27]
	s_add_u32 s18, s18, 8
	s_addc_u32 s19, s19, 0
	s_add_u32 s20, s20, 1
	s_addc_u32 s21, s21, 0
	v_or_b32_e32 v8, v2, v8
	s_cmp_lg_u32 s16, s18
	v_or_b32_e32 v9, v3, v9
	s_cbranch_scc1 .LBB11_579
.LBB11_580:                             ;   in Loop: Header=BB11_576 Depth=1
	s_mov_b32 s15, 0
	s_andn2_b64 vcc, exec, s[0:1]
	s_mov_b64 s[0:1], s[4:5]
	s_cbranch_vccz .LBB11_582
	s_branch .LBB11_583
.LBB11_581:                             ;   in Loop: Header=BB11_576 Depth=1
                                        ; implicit-def: $sgpr15
	s_mov_b64 s[0:1], s[4:5]
.LBB11_582:                             ;   in Loop: Header=BB11_576 Depth=1
	global_load_dwordx2 v[8:9], v27, s[4:5]
	s_add_i32 s15, s10, -8
	s_add_u32 s0, s4, 8
	s_addc_u32 s1, s5, 0
.LBB11_583:                             ;   in Loop: Header=BB11_576 Depth=1
	s_cmp_gt_u32 s15, 7
	s_cbranch_scc1 .LBB11_587
; %bb.584:                              ;   in Loop: Header=BB11_576 Depth=1
	s_cmp_eq_u32 s15, 0
	s_cbranch_scc1 .LBB11_588
; %bb.585:                              ;   in Loop: Header=BB11_576 Depth=1
	s_mov_b64 s[16:17], 0
	v_mov_b64_e32 v[10:11], 0
	s_mov_b64 s[18:19], 0
.LBB11_586:                             ;   Parent Loop BB11_576 Depth=1
                                        ; =>  This Inner Loop Header: Depth=2
	s_add_u32 s20, s0, s18
	s_addc_u32 s21, s1, s19
	global_load_ubyte v2, v27, s[20:21]
	s_add_u32 s18, s18, 1
	s_addc_u32 s19, s19, 0
	s_waitcnt vmcnt(0)
	v_and_b32_e32 v26, 0xffff, v2
	v_lshlrev_b64 v[2:3], s16, v[26:27]
	s_add_u32 s16, s16, 8
	s_addc_u32 s17, s17, 0
	v_or_b32_e32 v10, v2, v10
	s_cmp_lg_u32 s15, s18
	v_or_b32_e32 v11, v3, v11
	s_cbranch_scc1 .LBB11_586
	s_branch .LBB11_589
.LBB11_587:                             ;   in Loop: Header=BB11_576 Depth=1
                                        ; implicit-def: $vgpr10_vgpr11
                                        ; implicit-def: $sgpr20
	s_branch .LBB11_590
.LBB11_588:                             ;   in Loop: Header=BB11_576 Depth=1
	v_mov_b64_e32 v[10:11], 0
.LBB11_589:                             ;   in Loop: Header=BB11_576 Depth=1
	s_mov_b32 s20, 0
	s_cbranch_execnz .LBB11_591
.LBB11_590:                             ;   in Loop: Header=BB11_576 Depth=1
	global_load_dwordx2 v[10:11], v27, s[0:1]
	s_add_i32 s20, s15, -8
	s_add_u32 s0, s0, 8
	s_addc_u32 s1, s1, 0
.LBB11_591:                             ;   in Loop: Header=BB11_576 Depth=1
	s_cmp_gt_u32 s20, 7
	s_cbranch_scc1 .LBB11_595
; %bb.592:                              ;   in Loop: Header=BB11_576 Depth=1
	s_cmp_eq_u32 s20, 0
	s_cbranch_scc1 .LBB11_596
; %bb.593:                              ;   in Loop: Header=BB11_576 Depth=1
	s_mov_b64 s[16:17], 0
	v_mov_b64_e32 v[12:13], 0
	s_mov_b64 s[18:19], 0
.LBB11_594:                             ;   Parent Loop BB11_576 Depth=1
                                        ; =>  This Inner Loop Header: Depth=2
	s_add_u32 s22, s0, s18
	s_addc_u32 s23, s1, s19
	global_load_ubyte v2, v27, s[22:23]
	s_add_u32 s18, s18, 1
	s_addc_u32 s19, s19, 0
	s_waitcnt vmcnt(0)
	v_and_b32_e32 v26, 0xffff, v2
	v_lshlrev_b64 v[2:3], s16, v[26:27]
	s_add_u32 s16, s16, 8
	s_addc_u32 s17, s17, 0
	v_or_b32_e32 v12, v2, v12
	s_cmp_lg_u32 s20, s18
	v_or_b32_e32 v13, v3, v13
	s_cbranch_scc1 .LBB11_594
	s_branch .LBB11_597
.LBB11_595:                             ;   in Loop: Header=BB11_576 Depth=1
                                        ; implicit-def: $sgpr15
	s_branch .LBB11_598
.LBB11_596:                             ;   in Loop: Header=BB11_576 Depth=1
	v_mov_b64_e32 v[12:13], 0
.LBB11_597:                             ;   in Loop: Header=BB11_576 Depth=1
	s_mov_b32 s15, 0
	s_cbranch_execnz .LBB11_599
.LBB11_598:                             ;   in Loop: Header=BB11_576 Depth=1
	global_load_dwordx2 v[12:13], v27, s[0:1]
	s_add_i32 s15, s20, -8
	s_add_u32 s0, s0, 8
	s_addc_u32 s1, s1, 0
.LBB11_599:                             ;   in Loop: Header=BB11_576 Depth=1
	s_cmp_gt_u32 s15, 7
	s_cbranch_scc1 .LBB11_603
; %bb.600:                              ;   in Loop: Header=BB11_576 Depth=1
	s_cmp_eq_u32 s15, 0
	s_cbranch_scc1 .LBB11_604
; %bb.601:                              ;   in Loop: Header=BB11_576 Depth=1
	s_mov_b64 s[16:17], 0
	v_mov_b64_e32 v[14:15], 0
	s_mov_b64 s[18:19], 0
.LBB11_602:                             ;   Parent Loop BB11_576 Depth=1
                                        ; =>  This Inner Loop Header: Depth=2
	s_add_u32 s20, s0, s18
	s_addc_u32 s21, s1, s19
	global_load_ubyte v2, v27, s[20:21]
	s_add_u32 s18, s18, 1
	s_addc_u32 s19, s19, 0
	s_waitcnt vmcnt(0)
	v_and_b32_e32 v26, 0xffff, v2
	v_lshlrev_b64 v[2:3], s16, v[26:27]
	s_add_u32 s16, s16, 8
	s_addc_u32 s17, s17, 0
	v_or_b32_e32 v14, v2, v14
	s_cmp_lg_u32 s15, s18
	v_or_b32_e32 v15, v3, v15
	s_cbranch_scc1 .LBB11_602
	s_branch .LBB11_605
.LBB11_603:                             ;   in Loop: Header=BB11_576 Depth=1
                                        ; implicit-def: $vgpr14_vgpr15
                                        ; implicit-def: $sgpr20
	s_branch .LBB11_606
.LBB11_604:                             ;   in Loop: Header=BB11_576 Depth=1
	v_mov_b64_e32 v[14:15], 0
.LBB11_605:                             ;   in Loop: Header=BB11_576 Depth=1
	s_mov_b32 s20, 0
	s_cbranch_execnz .LBB11_607
.LBB11_606:                             ;   in Loop: Header=BB11_576 Depth=1
	global_load_dwordx2 v[14:15], v27, s[0:1]
	s_add_i32 s20, s15, -8
	s_add_u32 s0, s0, 8
	s_addc_u32 s1, s1, 0
.LBB11_607:                             ;   in Loop: Header=BB11_576 Depth=1
	s_cmp_gt_u32 s20, 7
	s_cbranch_scc1 .LBB11_611
; %bb.608:                              ;   in Loop: Header=BB11_576 Depth=1
	s_cmp_eq_u32 s20, 0
	s_cbranch_scc1 .LBB11_612
; %bb.609:                              ;   in Loop: Header=BB11_576 Depth=1
	s_mov_b64 s[16:17], 0
	v_mov_b64_e32 v[16:17], 0
	s_mov_b64 s[18:19], 0
.LBB11_610:                             ;   Parent Loop BB11_576 Depth=1
                                        ; =>  This Inner Loop Header: Depth=2
	s_add_u32 s22, s0, s18
	s_addc_u32 s23, s1, s19
	global_load_ubyte v2, v27, s[22:23]
	s_add_u32 s18, s18, 1
	s_addc_u32 s19, s19, 0
	s_waitcnt vmcnt(0)
	v_and_b32_e32 v26, 0xffff, v2
	v_lshlrev_b64 v[2:3], s16, v[26:27]
	s_add_u32 s16, s16, 8
	s_addc_u32 s17, s17, 0
	v_or_b32_e32 v16, v2, v16
	s_cmp_lg_u32 s20, s18
	v_or_b32_e32 v17, v3, v17
	s_cbranch_scc1 .LBB11_610
	s_branch .LBB11_613
.LBB11_611:                             ;   in Loop: Header=BB11_576 Depth=1
                                        ; implicit-def: $sgpr15
	s_branch .LBB11_614
.LBB11_612:                             ;   in Loop: Header=BB11_576 Depth=1
	v_mov_b64_e32 v[16:17], 0
.LBB11_613:                             ;   in Loop: Header=BB11_576 Depth=1
	s_mov_b32 s15, 0
	s_cbranch_execnz .LBB11_615
.LBB11_614:                             ;   in Loop: Header=BB11_576 Depth=1
	global_load_dwordx2 v[16:17], v27, s[0:1]
	s_add_i32 s15, s20, -8
	s_add_u32 s0, s0, 8
	s_addc_u32 s1, s1, 0
.LBB11_615:                             ;   in Loop: Header=BB11_576 Depth=1
	s_cmp_gt_u32 s15, 7
	s_cbranch_scc1 .LBB11_619
; %bb.616:                              ;   in Loop: Header=BB11_576 Depth=1
	s_cmp_eq_u32 s15, 0
	s_cbranch_scc1 .LBB11_620
; %bb.617:                              ;   in Loop: Header=BB11_576 Depth=1
	s_mov_b64 s[16:17], 0
	v_mov_b64_e32 v[18:19], 0
	s_mov_b64 s[18:19], 0
.LBB11_618:                             ;   Parent Loop BB11_576 Depth=1
                                        ; =>  This Inner Loop Header: Depth=2
	s_add_u32 s20, s0, s18
	s_addc_u32 s21, s1, s19
	global_load_ubyte v2, v27, s[20:21]
	s_add_u32 s18, s18, 1
	s_addc_u32 s19, s19, 0
	s_waitcnt vmcnt(0)
	v_and_b32_e32 v26, 0xffff, v2
	v_lshlrev_b64 v[2:3], s16, v[26:27]
	s_add_u32 s16, s16, 8
	s_addc_u32 s17, s17, 0
	v_or_b32_e32 v18, v2, v18
	s_cmp_lg_u32 s15, s18
	v_or_b32_e32 v19, v3, v19
	s_cbranch_scc1 .LBB11_618
	s_branch .LBB11_621
.LBB11_619:                             ;   in Loop: Header=BB11_576 Depth=1
                                        ; implicit-def: $vgpr18_vgpr19
                                        ; implicit-def: $sgpr20
	s_branch .LBB11_622
.LBB11_620:                             ;   in Loop: Header=BB11_576 Depth=1
	v_mov_b64_e32 v[18:19], 0
.LBB11_621:                             ;   in Loop: Header=BB11_576 Depth=1
	s_mov_b32 s20, 0
	s_cbranch_execnz .LBB11_623
.LBB11_622:                             ;   in Loop: Header=BB11_576 Depth=1
	global_load_dwordx2 v[18:19], v27, s[0:1]
	s_add_i32 s20, s15, -8
	s_add_u32 s0, s0, 8
	s_addc_u32 s1, s1, 0
.LBB11_623:                             ;   in Loop: Header=BB11_576 Depth=1
	s_cmp_gt_u32 s20, 7
	s_cbranch_scc1 .LBB11_627
; %bb.624:                              ;   in Loop: Header=BB11_576 Depth=1
	s_cmp_eq_u32 s20, 0
	s_cbranch_scc1 .LBB11_628
; %bb.625:                              ;   in Loop: Header=BB11_576 Depth=1
	s_mov_b64 s[16:17], 0
	v_mov_b64_e32 v[20:21], 0
	s_mov_b64 s[18:19], s[0:1]
.LBB11_626:                             ;   Parent Loop BB11_576 Depth=1
                                        ; =>  This Inner Loop Header: Depth=2
	global_load_ubyte v2, v27, s[18:19]
	s_add_i32 s20, s20, -1
	s_waitcnt vmcnt(0)
	v_and_b32_e32 v26, 0xffff, v2
	v_lshlrev_b64 v[2:3], s16, v[26:27]
	s_add_u32 s16, s16, 8
	s_addc_u32 s17, s17, 0
	s_add_u32 s18, s18, 1
	s_addc_u32 s19, s19, 0
	v_or_b32_e32 v20, v2, v20
	s_cmp_lg_u32 s20, 0
	v_or_b32_e32 v21, v3, v21
	s_cbranch_scc1 .LBB11_626
	s_branch .LBB11_629
.LBB11_627:                             ;   in Loop: Header=BB11_576 Depth=1
	s_branch .LBB11_630
.LBB11_628:                             ;   in Loop: Header=BB11_576 Depth=1
	v_mov_b64_e32 v[20:21], 0
.LBB11_629:                             ;   in Loop: Header=BB11_576 Depth=1
	s_cbranch_execnz .LBB11_631
.LBB11_630:                             ;   in Loop: Header=BB11_576 Depth=1
	global_load_dwordx2 v[20:21], v27, s[0:1]
.LBB11_631:                             ;   in Loop: Header=BB11_576 Depth=1
	v_readfirstlane_b32 s0, v47
	v_mov_b64_e32 v[2:3], 0
	s_nop 0
	v_cmp_eq_u32_e64 s[0:1], s0, v47
	s_and_saveexec_b64 s[16:17], s[0:1]
	s_cbranch_execz .LBB11_637
; %bb.632:                              ;   in Loop: Header=BB11_576 Depth=1
	global_load_dwordx2 v[24:25], v27, s[44:45] offset:24 sc0 sc1
	s_waitcnt vmcnt(0)
	buffer_inv sc0 sc1
	global_load_dwordx2 v[2:3], v27, s[44:45] offset:40
	global_load_dwordx2 v[22:23], v27, s[44:45]
	s_waitcnt vmcnt(1)
	v_and_b32_e32 v2, v2, v24
	v_and_b32_e32 v3, v3, v25
	v_mul_lo_u32 v3, v3, 24
	v_mul_hi_u32 v26, v2, 24
	v_add_u32_e32 v3, v26, v3
	v_mul_lo_u32 v2, v2, 24
	s_waitcnt vmcnt(0)
	v_lshl_add_u64 v[2:3], v[22:23], 0, v[2:3]
	global_load_dwordx2 v[22:23], v[2:3], off sc0 sc1
	s_waitcnt vmcnt(0)
	global_atomic_cmpswap_x2 v[2:3], v27, v[22:25], s[44:45] offset:24 sc0 sc1
	s_waitcnt vmcnt(0)
	buffer_inv sc0 sc1
	v_cmp_ne_u64_e32 vcc, v[2:3], v[24:25]
	s_and_saveexec_b64 s[18:19], vcc
	s_cbranch_execz .LBB11_636
; %bb.633:                              ;   in Loop: Header=BB11_576 Depth=1
	s_mov_b64 s[20:21], 0
.LBB11_634:                             ;   Parent Loop BB11_576 Depth=1
                                        ; =>  This Inner Loop Header: Depth=2
	s_sleep 1
	global_load_dwordx2 v[22:23], v27, s[44:45] offset:40
	global_load_dwordx2 v[28:29], v27, s[44:45]
	v_mov_b64_e32 v[24:25], v[2:3]
	s_waitcnt vmcnt(1)
	v_and_b32_e32 v2, v22, v24
	s_waitcnt vmcnt(0)
	v_mad_u64_u32 v[2:3], s[22:23], v2, 24, v[28:29]
	v_and_b32_e32 v23, v23, v25
	v_mov_b32_e32 v22, v3
	v_mad_u64_u32 v[22:23], s[22:23], v23, 24, v[22:23]
	v_mov_b32_e32 v3, v22
	global_load_dwordx2 v[22:23], v[2:3], off sc0 sc1
	s_waitcnt vmcnt(0)
	global_atomic_cmpswap_x2 v[2:3], v27, v[22:25], s[44:45] offset:24 sc0 sc1
	s_waitcnt vmcnt(0)
	buffer_inv sc0 sc1
	v_cmp_eq_u64_e32 vcc, v[2:3], v[24:25]
	s_or_b64 s[20:21], vcc, s[20:21]
	s_andn2_b64 exec, exec, s[20:21]
	s_cbranch_execnz .LBB11_634
; %bb.635:                              ;   in Loop: Header=BB11_576 Depth=1
	s_or_b64 exec, exec, s[20:21]
.LBB11_636:                             ;   in Loop: Header=BB11_576 Depth=1
	s_or_b64 exec, exec, s[18:19]
.LBB11_637:                             ;   in Loop: Header=BB11_576 Depth=1
	s_or_b64 exec, exec, s[16:17]
	global_load_dwordx2 v[28:29], v27, s[44:45] offset:40
	global_load_dwordx4 v[22:25], v27, s[44:45]
	v_readfirstlane_b32 s16, v2
	v_readfirstlane_b32 s17, v3
	s_mov_b64 s[18:19], exec
	s_waitcnt vmcnt(1)
	v_readfirstlane_b32 s20, v28
	v_readfirstlane_b32 s21, v29
	s_and_b64 s[20:21], s[16:17], s[20:21]
	s_mul_i32 s15, s21, 24
	s_mul_hi_u32 s22, s20, 24
	s_add_i32 s23, s22, s15
	s_mul_i32 s22, s20, 24
	s_waitcnt vmcnt(0)
	v_lshl_add_u64 v[28:29], v[22:23], 0, s[22:23]
	s_and_saveexec_b64 s[22:23], s[0:1]
	s_cbranch_execz .LBB11_639
; %bb.638:                              ;   in Loop: Header=BB11_576 Depth=1
	v_mov_b64_e32 v[2:3], s[18:19]
	global_store_dwordx4 v[28:29], v[2:5], off offset:8
.LBB11_639:                             ;   in Loop: Header=BB11_576 Depth=1
	s_or_b64 exec, exec, s[22:23]
	s_lshl_b64 s[18:19], s[20:21], 12
	v_lshl_add_u64 v[2:3], v[24:25], 0, s[18:19]
	v_or_b32_e32 v24, 2, v6
	v_cmp_gt_u64_e64 vcc, s[6:7], 56
	s_lshl_b32 s15, s10, 2
	s_add_i32 s15, s15, 28
	v_cndmask_b32_e32 v6, v24, v6, vcc
	s_and_b32 s15, s15, 0x1e0
	v_and_b32_e32 v6, 0xffffff1f, v6
	v_or_b32_e32 v6, s15, v6
	v_readfirstlane_b32 s18, v2
	v_readfirstlane_b32 s19, v3
	s_nop 4
	global_store_dwordx4 v60, v[6:9], s[18:19]
	global_store_dwordx4 v60, v[10:13], s[18:19] offset:16
	global_store_dwordx4 v60, v[14:17], s[18:19] offset:32
	;; [unrolled: 1-line block ×3, first 2 shown]
	s_and_saveexec_b64 s[18:19], s[0:1]
	s_cbranch_execz .LBB11_647
; %bb.640:                              ;   in Loop: Header=BB11_576 Depth=1
	global_load_dwordx2 v[14:15], v27, s[44:45] offset:32 sc0 sc1
	global_load_dwordx2 v[6:7], v27, s[44:45] offset:40
	v_mov_b32_e32 v12, s16
	v_mov_b32_e32 v13, s17
	s_waitcnt vmcnt(0)
	v_readfirstlane_b32 s20, v6
	v_readfirstlane_b32 s21, v7
	s_and_b64 s[20:21], s[20:21], s[16:17]
	s_mul_i32 s15, s21, 24
	s_mul_hi_u32 s21, s20, 24
	s_mul_i32 s20, s20, 24
	s_add_i32 s21, s21, s15
	v_lshl_add_u64 v[10:11], v[22:23], 0, s[20:21]
	global_store_dwordx2 v[10:11], v[14:15], off
	buffer_wbl2 sc0 sc1
	s_waitcnt vmcnt(0)
	global_atomic_cmpswap_x2 v[8:9], v27, v[12:15], s[44:45] offset:32 sc0 sc1
	s_waitcnt vmcnt(0)
	v_cmp_ne_u64_e32 vcc, v[8:9], v[14:15]
	s_and_saveexec_b64 s[20:21], vcc
	s_cbranch_execz .LBB11_643
; %bb.641:                              ;   in Loop: Header=BB11_576 Depth=1
	s_mov_b64 s[22:23], 0
.LBB11_642:                             ;   Parent Loop BB11_576 Depth=1
                                        ; =>  This Inner Loop Header: Depth=2
	s_sleep 1
	global_store_dwordx2 v[10:11], v[8:9], off
	v_mov_b32_e32 v6, s16
	v_mov_b32_e32 v7, s17
	buffer_wbl2 sc0 sc1
	s_waitcnt vmcnt(0)
	global_atomic_cmpswap_x2 v[6:7], v27, v[6:9], s[44:45] offset:32 sc0 sc1
	s_waitcnt vmcnt(0)
	v_cmp_eq_u64_e32 vcc, v[6:7], v[8:9]
	s_or_b64 s[22:23], vcc, s[22:23]
	v_mov_b64_e32 v[8:9], v[6:7]
	s_andn2_b64 exec, exec, s[22:23]
	s_cbranch_execnz .LBB11_642
.LBB11_643:                             ;   in Loop: Header=BB11_576 Depth=1
	s_or_b64 exec, exec, s[20:21]
	global_load_dwordx2 v[6:7], v27, s[44:45] offset:16
	s_mov_b64 s[22:23], exec
	v_mbcnt_lo_u32_b32 v8, s22, 0
	v_mbcnt_hi_u32_b32 v8, s23, v8
	v_cmp_eq_u32_e32 vcc, 0, v8
	s_and_saveexec_b64 s[20:21], vcc
	s_cbranch_execz .LBB11_645
; %bb.644:                              ;   in Loop: Header=BB11_576 Depth=1
	s_bcnt1_i32_b64 s15, s[22:23]
	v_mov_b32_e32 v26, s15
	buffer_wbl2 sc0 sc1
	s_waitcnt vmcnt(0)
	global_atomic_add_x2 v[6:7], v[26:27], off offset:8 sc1
.LBB11_645:                             ;   in Loop: Header=BB11_576 Depth=1
	s_or_b64 exec, exec, s[20:21]
	s_waitcnt vmcnt(0)
	global_load_dwordx2 v[8:9], v[6:7], off offset:16
	s_waitcnt vmcnt(0)
	v_cmp_eq_u64_e32 vcc, 0, v[8:9]
	s_cbranch_vccnz .LBB11_647
; %bb.646:                              ;   in Loop: Header=BB11_576 Depth=1
	global_load_dword v26, v[6:7], off offset:24
	s_waitcnt vmcnt(0)
	v_and_b32_e32 v6, 0xffffff, v26
	s_nop 0
	v_readfirstlane_b32 m0, v6
	buffer_wbl2 sc0 sc1
	global_store_dwordx2 v[8:9], v[26:27], off sc0 sc1
	s_sendmsg sendmsg(MSG_INTERRUPT)
.LBB11_647:                             ;   in Loop: Header=BB11_576 Depth=1
	s_or_b64 exec, exec, s[18:19]
	v_mov_b32_e32 v61, v27
	v_lshl_add_u64 v[2:3], v[2:3], 0, v[60:61]
	s_branch .LBB11_651
.LBB11_648:                             ;   in Loop: Header=BB11_651 Depth=2
	s_or_b64 exec, exec, s[18:19]
	v_readfirstlane_b32 s15, v6
	s_cmp_eq_u32 s15, 0
	s_cbranch_scc1 .LBB11_650
; %bb.649:                              ;   in Loop: Header=BB11_651 Depth=2
	s_sleep 1
	s_cbranch_execnz .LBB11_651
	s_branch .LBB11_653
.LBB11_650:                             ;   in Loop: Header=BB11_576 Depth=1
	s_branch .LBB11_653
.LBB11_651:                             ;   Parent Loop BB11_576 Depth=1
                                        ; =>  This Inner Loop Header: Depth=2
	v_mov_b32_e32 v6, 1
	s_and_saveexec_b64 s[18:19], s[0:1]
	s_cbranch_execz .LBB11_648
; %bb.652:                              ;   in Loop: Header=BB11_651 Depth=2
	global_load_dword v6, v[28:29], off offset:20 sc0 sc1
	s_waitcnt vmcnt(0)
	buffer_inv sc0 sc1
	v_and_b32_e32 v6, 1, v6
	s_branch .LBB11_648
.LBB11_653:                             ;   in Loop: Header=BB11_576 Depth=1
	global_load_dwordx4 v[6:9], v[2:3], off
	s_and_saveexec_b64 s[18:19], s[0:1]
	s_cbranch_execz .LBB11_575
; %bb.654:                              ;   in Loop: Header=BB11_576 Depth=1
	global_load_dwordx2 v[2:3], v27, s[44:45] offset:40
	global_load_dwordx2 v[12:13], v27, s[44:45] offset:24 sc0 sc1
	global_load_dwordx2 v[14:15], v27, s[44:45]
	s_waitcnt vmcnt(2)
	v_lshl_add_u64 v[8:9], v[2:3], 0, 1
	v_lshl_add_u64 v[16:17], v[8:9], 0, s[16:17]
	v_cmp_eq_u64_e32 vcc, 0, v[16:17]
	s_waitcnt vmcnt(1)
	v_mov_b32_e32 v10, v12
	v_cndmask_b32_e32 v9, v17, v9, vcc
	v_cndmask_b32_e32 v8, v16, v8, vcc
	v_and_b32_e32 v3, v9, v3
	v_and_b32_e32 v2, v8, v2
	v_mul_lo_u32 v3, v3, 24
	v_mul_hi_u32 v11, v2, 24
	v_mul_lo_u32 v2, v2, 24
	v_add_u32_e32 v3, v11, v3
	s_waitcnt vmcnt(0)
	v_lshl_add_u64 v[2:3], v[14:15], 0, v[2:3]
	global_store_dwordx2 v[2:3], v[12:13], off
	v_mov_b32_e32 v11, v13
	buffer_wbl2 sc0 sc1
	s_waitcnt vmcnt(0)
	global_atomic_cmpswap_x2 v[10:11], v27, v[8:11], s[44:45] offset:24 sc0 sc1
	s_waitcnt vmcnt(0)
	v_cmp_ne_u64_e32 vcc, v[10:11], v[12:13]
	s_and_b64 exec, exec, vcc
	s_cbranch_execz .LBB11_575
; %bb.655:                              ;   in Loop: Header=BB11_576 Depth=1
	s_mov_b64 s[0:1], 0
.LBB11_656:                             ;   Parent Loop BB11_576 Depth=1
                                        ; =>  This Inner Loop Header: Depth=2
	s_sleep 1
	global_store_dwordx2 v[2:3], v[10:11], off
	buffer_wbl2 sc0 sc1
	s_waitcnt vmcnt(0)
	global_atomic_cmpswap_x2 v[12:13], v27, v[8:11], s[44:45] offset:24 sc0 sc1
	s_waitcnt vmcnt(0)
	v_cmp_eq_u64_e32 vcc, v[12:13], v[10:11]
	s_or_b64 s[0:1], vcc, s[0:1]
	v_mov_b64_e32 v[10:11], v[12:13]
	s_andn2_b64 exec, exec, s[0:1]
	s_cbranch_execnz .LBB11_656
	s_branch .LBB11_575
.LBB11_657:
	s_branch .LBB11_685
.LBB11_658:
	s_cbranch_execz .LBB11_685
; %bb.659:
	v_readfirstlane_b32 s0, v47
	s_waitcnt vmcnt(0)
	v_mov_b64_e32 v[8:9], 0
	v_cmp_eq_u32_e64 s[0:1], s0, v47
	s_and_saveexec_b64 s[4:5], s[0:1]
	s_cbranch_execz .LBB11_665
; %bb.660:
	v_mov_b32_e32 v2, 0
	global_load_dwordx2 v[6:7], v2, s[44:45] offset:24 sc0 sc1
	s_waitcnt vmcnt(0)
	buffer_inv sc0 sc1
	global_load_dwordx2 v[4:5], v2, s[44:45] offset:40
	global_load_dwordx2 v[8:9], v2, s[44:45]
	s_waitcnt vmcnt(1)
	v_and_b32_e32 v3, v4, v6
	v_and_b32_e32 v4, v5, v7
	v_mul_lo_u32 v4, v4, 24
	v_mul_hi_u32 v5, v3, 24
	v_add_u32_e32 v5, v5, v4
	v_mul_lo_u32 v4, v3, 24
	s_waitcnt vmcnt(0)
	v_lshl_add_u64 v[4:5], v[8:9], 0, v[4:5]
	global_load_dwordx2 v[4:5], v[4:5], off sc0 sc1
	s_waitcnt vmcnt(0)
	global_atomic_cmpswap_x2 v[8:9], v2, v[4:7], s[44:45] offset:24 sc0 sc1
	s_waitcnt vmcnt(0)
	buffer_inv sc0 sc1
	v_cmp_ne_u64_e32 vcc, v[8:9], v[6:7]
	s_and_saveexec_b64 s[6:7], vcc
	s_cbranch_execz .LBB11_664
; %bb.661:
	s_mov_b64 s[10:11], 0
.LBB11_662:                             ; =>This Inner Loop Header: Depth=1
	s_sleep 1
	global_load_dwordx2 v[4:5], v2, s[44:45] offset:40
	global_load_dwordx2 v[10:11], v2, s[44:45]
	v_mov_b64_e32 v[6:7], v[8:9]
	s_waitcnt vmcnt(1)
	v_and_b32_e32 v4, v4, v6
	v_and_b32_e32 v3, v5, v7
	s_waitcnt vmcnt(0)
	v_mad_u64_u32 v[4:5], s[16:17], v4, 24, v[10:11]
	v_mov_b32_e32 v8, v5
	v_mad_u64_u32 v[8:9], s[16:17], v3, 24, v[8:9]
	v_mov_b32_e32 v5, v8
	global_load_dwordx2 v[4:5], v[4:5], off sc0 sc1
	s_waitcnt vmcnt(0)
	global_atomic_cmpswap_x2 v[8:9], v2, v[4:7], s[44:45] offset:24 sc0 sc1
	s_waitcnt vmcnt(0)
	buffer_inv sc0 sc1
	v_cmp_eq_u64_e32 vcc, v[8:9], v[6:7]
	s_or_b64 s[10:11], vcc, s[10:11]
	s_andn2_b64 exec, exec, s[10:11]
	s_cbranch_execnz .LBB11_662
; %bb.663:
	s_or_b64 exec, exec, s[10:11]
.LBB11_664:
	s_or_b64 exec, exec, s[6:7]
.LBB11_665:
	s_or_b64 exec, exec, s[4:5]
	v_mov_b32_e32 v2, 0
	global_load_dwordx2 v[10:11], v2, s[44:45] offset:40
	global_load_dwordx4 v[4:7], v2, s[44:45]
	v_readfirstlane_b32 s4, v8
	v_readfirstlane_b32 s5, v9
	s_mov_b64 s[6:7], exec
	s_waitcnt vmcnt(1)
	v_readfirstlane_b32 s10, v10
	v_readfirstlane_b32 s11, v11
	s_and_b64 s[10:11], s[4:5], s[10:11]
	s_mul_i32 s15, s11, 24
	s_mul_hi_u32 s16, s10, 24
	s_add_i32 s17, s16, s15
	s_mul_i32 s16, s10, 24
	s_waitcnt vmcnt(0)
	v_lshl_add_u64 v[8:9], v[4:5], 0, s[16:17]
	s_and_saveexec_b64 s[16:17], s[0:1]
	s_cbranch_execz .LBB11_667
; %bb.666:
	v_mov_b64_e32 v[10:11], s[6:7]
	v_mov_b32_e32 v12, 2
	v_mov_b32_e32 v13, 1
	global_store_dwordx4 v[8:9], v[10:13], off offset:8
.LBB11_667:
	s_or_b64 exec, exec, s[16:17]
	s_lshl_b64 s[6:7], s[10:11], 12
	v_lshl_add_u64 v[6:7], v[6:7], 0, s[6:7]
	s_movk_i32 s6, 0xff1d
	s_mov_b32 s16, 0
	v_and_or_b32 v0, v0, s6, 34
	v_mov_b32_e32 v3, v2
	v_readfirstlane_b32 s6, v6
	v_readfirstlane_b32 s7, v7
	s_mov_b32 s17, s16
	s_mov_b32 s18, s16
	;; [unrolled: 1-line block ×3, first 2 shown]
	s_nop 1
	global_store_dwordx4 v60, v[0:3], s[6:7]
	s_nop 1
	v_mov_b64_e32 v[0:1], s[16:17]
	v_mov_b64_e32 v[2:3], s[18:19]
	global_store_dwordx4 v60, v[0:3], s[6:7] offset:16
	global_store_dwordx4 v60, v[0:3], s[6:7] offset:32
	;; [unrolled: 1-line block ×3, first 2 shown]
	s_and_saveexec_b64 s[6:7], s[0:1]
	s_cbranch_execz .LBB11_675
; %bb.668:
	v_mov_b32_e32 v6, 0
	global_load_dwordx2 v[12:13], v6, s[44:45] offset:32 sc0 sc1
	global_load_dwordx2 v[0:1], v6, s[44:45] offset:40
	v_mov_b32_e32 v10, s4
	v_mov_b32_e32 v11, s5
	s_waitcnt vmcnt(0)
	v_readfirstlane_b32 s10, v0
	v_readfirstlane_b32 s11, v1
	s_and_b64 s[10:11], s[10:11], s[4:5]
	s_mul_i32 s11, s11, 24
	s_mul_hi_u32 s15, s10, 24
	s_mul_i32 s10, s10, 24
	s_add_i32 s11, s15, s11
	v_lshl_add_u64 v[4:5], v[4:5], 0, s[10:11]
	global_store_dwordx2 v[4:5], v[12:13], off
	buffer_wbl2 sc0 sc1
	s_waitcnt vmcnt(0)
	global_atomic_cmpswap_x2 v[2:3], v6, v[10:13], s[44:45] offset:32 sc0 sc1
	s_waitcnt vmcnt(0)
	v_cmp_ne_u64_e32 vcc, v[2:3], v[12:13]
	s_and_saveexec_b64 s[10:11], vcc
	s_cbranch_execz .LBB11_671
; %bb.669:
	s_mov_b64 s[16:17], 0
.LBB11_670:                             ; =>This Inner Loop Header: Depth=1
	s_sleep 1
	global_store_dwordx2 v[4:5], v[2:3], off
	v_mov_b32_e32 v0, s4
	v_mov_b32_e32 v1, s5
	buffer_wbl2 sc0 sc1
	s_waitcnt vmcnt(0)
	global_atomic_cmpswap_x2 v[0:1], v6, v[0:3], s[44:45] offset:32 sc0 sc1
	s_waitcnt vmcnt(0)
	v_cmp_eq_u64_e32 vcc, v[0:1], v[2:3]
	s_or_b64 s[16:17], vcc, s[16:17]
	v_mov_b64_e32 v[2:3], v[0:1]
	s_andn2_b64 exec, exec, s[16:17]
	s_cbranch_execnz .LBB11_670
.LBB11_671:
	s_or_b64 exec, exec, s[10:11]
	v_mov_b32_e32 v3, 0
	global_load_dwordx2 v[0:1], v3, s[44:45] offset:16
	s_mov_b64 s[10:11], exec
	v_mbcnt_lo_u32_b32 v2, s10, 0
	v_mbcnt_hi_u32_b32 v2, s11, v2
	v_cmp_eq_u32_e32 vcc, 0, v2
	s_and_saveexec_b64 s[16:17], vcc
	s_cbranch_execz .LBB11_673
; %bb.672:
	s_bcnt1_i32_b64 s10, s[10:11]
	v_mov_b32_e32 v2, s10
	buffer_wbl2 sc0 sc1
	s_waitcnt vmcnt(0)
	global_atomic_add_x2 v[0:1], v[2:3], off offset:8 sc1
.LBB11_673:
	s_or_b64 exec, exec, s[16:17]
	s_waitcnt vmcnt(0)
	global_load_dwordx2 v[2:3], v[0:1], off offset:16
	s_waitcnt vmcnt(0)
	v_cmp_eq_u64_e32 vcc, 0, v[2:3]
	s_cbranch_vccnz .LBB11_675
; %bb.674:
	global_load_dword v0, v[0:1], off offset:24
	v_mov_b32_e32 v1, 0
	buffer_wbl2 sc0 sc1
	s_waitcnt vmcnt(0)
	global_store_dwordx2 v[2:3], v[0:1], off sc0 sc1
	v_and_b32_e32 v0, 0xffffff, v0
	s_nop 0
	v_readfirstlane_b32 m0, v0
	s_sendmsg sendmsg(MSG_INTERRUPT)
.LBB11_675:
	s_or_b64 exec, exec, s[6:7]
	s_branch .LBB11_679
.LBB11_676:                             ;   in Loop: Header=BB11_679 Depth=1
	s_or_b64 exec, exec, s[6:7]
	v_readfirstlane_b32 s6, v0
	s_cmp_eq_u32 s6, 0
	s_cbranch_scc1 .LBB11_678
; %bb.677:                              ;   in Loop: Header=BB11_679 Depth=1
	s_sleep 1
	s_cbranch_execnz .LBB11_679
	s_branch .LBB11_681
.LBB11_678:
	s_branch .LBB11_681
.LBB11_679:                             ; =>This Inner Loop Header: Depth=1
	v_mov_b32_e32 v0, 1
	s_and_saveexec_b64 s[6:7], s[0:1]
	s_cbranch_execz .LBB11_676
; %bb.680:                              ;   in Loop: Header=BB11_679 Depth=1
	global_load_dword v0, v[8:9], off offset:20 sc0 sc1
	s_waitcnt vmcnt(0)
	buffer_inv sc0 sc1
	v_and_b32_e32 v0, 1, v0
	s_branch .LBB11_676
.LBB11_681:
	s_and_saveexec_b64 s[6:7], s[0:1]
	s_cbranch_execz .LBB11_684
; %bb.682:
	v_mov_b32_e32 v6, 0
	global_load_dwordx2 v[4:5], v6, s[44:45] offset:40
	global_load_dwordx2 v[8:9], v6, s[44:45] offset:24 sc0 sc1
	global_load_dwordx2 v[10:11], v6, s[44:45]
	s_mov_b64 s[0:1], 0
	s_waitcnt vmcnt(2)
	v_lshl_add_u64 v[0:1], v[4:5], 0, 1
	v_lshl_add_u64 v[12:13], v[0:1], 0, s[4:5]
	v_cmp_eq_u64_e32 vcc, 0, v[12:13]
	s_waitcnt vmcnt(1)
	v_mov_b32_e32 v2, v8
	v_cndmask_b32_e32 v1, v13, v1, vcc
	v_cndmask_b32_e32 v0, v12, v0, vcc
	v_and_b32_e32 v3, v1, v5
	v_and_b32_e32 v4, v0, v4
	v_mul_lo_u32 v3, v3, 24
	v_mul_hi_u32 v5, v4, 24
	v_mul_lo_u32 v4, v4, 24
	v_add_u32_e32 v5, v5, v3
	s_waitcnt vmcnt(0)
	v_lshl_add_u64 v[4:5], v[10:11], 0, v[4:5]
	global_store_dwordx2 v[4:5], v[8:9], off
	v_mov_b32_e32 v3, v9
	buffer_wbl2 sc0 sc1
	s_waitcnt vmcnt(0)
	global_atomic_cmpswap_x2 v[2:3], v6, v[0:3], s[44:45] offset:24 sc0 sc1
	s_waitcnt vmcnt(0)
	v_cmp_ne_u64_e32 vcc, v[2:3], v[8:9]
	s_and_b64 exec, exec, vcc
	s_cbranch_execz .LBB11_684
.LBB11_683:                             ; =>This Inner Loop Header: Depth=1
	s_sleep 1
	global_store_dwordx2 v[4:5], v[2:3], off
	buffer_wbl2 sc0 sc1
	s_waitcnt vmcnt(0)
	global_atomic_cmpswap_x2 v[8:9], v6, v[0:3], s[44:45] offset:24 sc0 sc1
	s_waitcnt vmcnt(0)
	v_cmp_eq_u64_e32 vcc, v[8:9], v[2:3]
	s_or_b64 s[0:1], vcc, s[0:1]
	v_mov_b64_e32 v[2:3], v[8:9]
	s_andn2_b64 exec, exec, s[0:1]
	s_cbranch_execnz .LBB11_683
.LBB11_684:
	s_or_b64 exec, exec, s[6:7]
.LBB11_685:
	v_readfirstlane_b32 s0, v47
	s_waitcnt vmcnt(0)
	v_mov_b64_e32 v[4:5], 0
	v_cmp_eq_u32_e64 s[0:1], s0, v47
	s_and_saveexec_b64 s[4:5], s[0:1]
	s_cbranch_execz .LBB11_691
; %bb.686:
	v_mov_b32_e32 v0, 0
	global_load_dwordx2 v[6:7], v0, s[44:45] offset:24 sc0 sc1
	s_waitcnt vmcnt(0)
	buffer_inv sc0 sc1
	global_load_dwordx2 v[2:3], v0, s[44:45] offset:40
	global_load_dwordx2 v[4:5], v0, s[44:45]
	s_waitcnt vmcnt(1)
	v_and_b32_e32 v1, v2, v6
	v_and_b32_e32 v2, v3, v7
	v_mul_lo_u32 v2, v2, 24
	v_mul_hi_u32 v3, v1, 24
	v_add_u32_e32 v3, v3, v2
	v_mul_lo_u32 v2, v1, 24
	s_waitcnt vmcnt(0)
	v_lshl_add_u64 v[2:3], v[4:5], 0, v[2:3]
	global_load_dwordx2 v[4:5], v[2:3], off sc0 sc1
	s_waitcnt vmcnt(0)
	global_atomic_cmpswap_x2 v[4:5], v0, v[4:7], s[44:45] offset:24 sc0 sc1
	s_waitcnt vmcnt(0)
	buffer_inv sc0 sc1
	v_cmp_ne_u64_e32 vcc, v[4:5], v[6:7]
	s_and_saveexec_b64 s[6:7], vcc
	s_cbranch_execz .LBB11_690
; %bb.687:
	s_mov_b64 s[10:11], 0
.LBB11_688:                             ; =>This Inner Loop Header: Depth=1
	s_sleep 1
	global_load_dwordx2 v[2:3], v0, s[44:45] offset:40
	global_load_dwordx2 v[8:9], v0, s[44:45]
	v_mov_b64_e32 v[6:7], v[4:5]
	s_waitcnt vmcnt(1)
	v_and_b32_e32 v2, v2, v6
	v_and_b32_e32 v1, v3, v7
	s_waitcnt vmcnt(0)
	v_mad_u64_u32 v[2:3], s[16:17], v2, 24, v[8:9]
	v_mov_b32_e32 v4, v3
	v_mad_u64_u32 v[4:5], s[16:17], v1, 24, v[4:5]
	v_mov_b32_e32 v3, v4
	global_load_dwordx2 v[4:5], v[2:3], off sc0 sc1
	s_waitcnt vmcnt(0)
	global_atomic_cmpswap_x2 v[4:5], v0, v[4:7], s[44:45] offset:24 sc0 sc1
	s_waitcnt vmcnt(0)
	buffer_inv sc0 sc1
	v_cmp_eq_u64_e32 vcc, v[4:5], v[6:7]
	s_or_b64 s[10:11], vcc, s[10:11]
	s_andn2_b64 exec, exec, s[10:11]
	s_cbranch_execnz .LBB11_688
; %bb.689:
	s_or_b64 exec, exec, s[10:11]
.LBB11_690:
	s_or_b64 exec, exec, s[6:7]
.LBB11_691:
	s_or_b64 exec, exec, s[4:5]
	v_mov_b32_e32 v61, 0
	global_load_dwordx2 v[6:7], v61, s[44:45] offset:40
	global_load_dwordx4 v[0:3], v61, s[44:45]
	v_readfirstlane_b32 s4, v4
	v_readfirstlane_b32 s5, v5
	s_mov_b64 s[6:7], exec
	s_waitcnt vmcnt(1)
	v_readfirstlane_b32 s10, v6
	v_readfirstlane_b32 s11, v7
	s_and_b64 s[10:11], s[4:5], s[10:11]
	s_mul_i32 s15, s11, 24
	s_mul_hi_u32 s16, s10, 24
	s_add_i32 s17, s16, s15
	s_mul_i32 s16, s10, 24
	s_waitcnt vmcnt(0)
	v_lshl_add_u64 v[4:5], v[0:1], 0, s[16:17]
	s_and_saveexec_b64 s[16:17], s[0:1]
	s_cbranch_execz .LBB11_693
; %bb.692:
	v_mov_b64_e32 v[6:7], s[6:7]
	v_mov_b32_e32 v8, 2
	v_mov_b32_e32 v9, 1
	global_store_dwordx4 v[4:5], v[6:9], off offset:8
.LBB11_693:
	s_or_b64 exec, exec, s[16:17]
	s_lshl_b64 s[6:7], s[10:11], 12
	v_lshl_add_u64 v[6:7], v[2:3], 0, s[6:7]
	s_mov_b32 s16, 0
	v_mov_b32_e32 v8, 33
	v_mov_b32_e32 v9, v61
	;; [unrolled: 1-line block ×4, first 2 shown]
	v_readfirstlane_b32 s6, v6
	v_readfirstlane_b32 s7, v7
	s_mov_b32 s17, s16
	s_mov_b32 s18, s16
	;; [unrolled: 1-line block ×3, first 2 shown]
	s_nop 1
	global_store_dwordx4 v60, v[8:11], s[6:7]
	s_nop 1
	v_mov_b64_e32 v[8:9], s[16:17]
	v_mov_b64_e32 v[10:11], s[18:19]
	global_store_dwordx4 v60, v[8:11], s[6:7] offset:16
	global_store_dwordx4 v60, v[8:11], s[6:7] offset:32
	;; [unrolled: 1-line block ×3, first 2 shown]
	s_and_saveexec_b64 s[6:7], s[0:1]
	s_cbranch_execz .LBB11_701
; %bb.694:
	v_mov_b32_e32 v10, 0
	global_load_dwordx2 v[14:15], v10, s[44:45] offset:32 sc0 sc1
	global_load_dwordx2 v[2:3], v10, s[44:45] offset:40
	v_mov_b32_e32 v12, s4
	v_mov_b32_e32 v13, s5
	s_waitcnt vmcnt(0)
	v_readfirstlane_b32 s10, v2
	v_readfirstlane_b32 s11, v3
	s_and_b64 s[10:11], s[10:11], s[4:5]
	s_mul_i32 s11, s11, 24
	s_mul_hi_u32 s15, s10, 24
	s_mul_i32 s10, s10, 24
	s_add_i32 s11, s15, s11
	v_lshl_add_u64 v[8:9], v[0:1], 0, s[10:11]
	global_store_dwordx2 v[8:9], v[14:15], off
	buffer_wbl2 sc0 sc1
	s_waitcnt vmcnt(0)
	global_atomic_cmpswap_x2 v[2:3], v10, v[12:15], s[44:45] offset:32 sc0 sc1
	s_waitcnt vmcnt(0)
	v_cmp_ne_u64_e32 vcc, v[2:3], v[14:15]
	s_and_saveexec_b64 s[10:11], vcc
	s_cbranch_execz .LBB11_697
; %bb.695:
	s_mov_b64 s[16:17], 0
.LBB11_696:                             ; =>This Inner Loop Header: Depth=1
	s_sleep 1
	global_store_dwordx2 v[8:9], v[2:3], off
	v_mov_b32_e32 v0, s4
	v_mov_b32_e32 v1, s5
	buffer_wbl2 sc0 sc1
	s_waitcnt vmcnt(0)
	global_atomic_cmpswap_x2 v[0:1], v10, v[0:3], s[44:45] offset:32 sc0 sc1
	s_waitcnt vmcnt(0)
	v_cmp_eq_u64_e32 vcc, v[0:1], v[2:3]
	s_or_b64 s[16:17], vcc, s[16:17]
	v_mov_b64_e32 v[2:3], v[0:1]
	s_andn2_b64 exec, exec, s[16:17]
	s_cbranch_execnz .LBB11_696
.LBB11_697:
	s_or_b64 exec, exec, s[10:11]
	v_mov_b32_e32 v3, 0
	global_load_dwordx2 v[0:1], v3, s[44:45] offset:16
	s_mov_b64 s[10:11], exec
	v_mbcnt_lo_u32_b32 v2, s10, 0
	v_mbcnt_hi_u32_b32 v2, s11, v2
	v_cmp_eq_u32_e32 vcc, 0, v2
	s_and_saveexec_b64 s[16:17], vcc
	s_cbranch_execz .LBB11_699
; %bb.698:
	s_bcnt1_i32_b64 s10, s[10:11]
	v_mov_b32_e32 v2, s10
	buffer_wbl2 sc0 sc1
	s_waitcnt vmcnt(0)
	global_atomic_add_x2 v[0:1], v[2:3], off offset:8 sc1
.LBB11_699:
	s_or_b64 exec, exec, s[16:17]
	s_waitcnt vmcnt(0)
	global_load_dwordx2 v[2:3], v[0:1], off offset:16
	s_waitcnt vmcnt(0)
	v_cmp_eq_u64_e32 vcc, 0, v[2:3]
	s_cbranch_vccnz .LBB11_701
; %bb.700:
	global_load_dword v0, v[0:1], off offset:24
	v_mov_b32_e32 v1, 0
	buffer_wbl2 sc0 sc1
	s_waitcnt vmcnt(0)
	global_store_dwordx2 v[2:3], v[0:1], off sc0 sc1
	v_and_b32_e32 v0, 0xffffff, v0
	s_nop 0
	v_readfirstlane_b32 m0, v0
	s_sendmsg sendmsg(MSG_INTERRUPT)
.LBB11_701:
	s_or_b64 exec, exec, s[6:7]
	v_lshl_add_u64 v[0:1], v[6:7], 0, v[60:61]
	s_branch .LBB11_705
.LBB11_702:                             ;   in Loop: Header=BB11_705 Depth=1
	s_or_b64 exec, exec, s[6:7]
	v_readfirstlane_b32 s6, v2
	s_cmp_eq_u32 s6, 0
	s_cbranch_scc1 .LBB11_704
; %bb.703:                              ;   in Loop: Header=BB11_705 Depth=1
	s_sleep 1
	s_cbranch_execnz .LBB11_705
	s_branch .LBB11_707
.LBB11_704:
	s_branch .LBB11_707
.LBB11_705:                             ; =>This Inner Loop Header: Depth=1
	v_mov_b32_e32 v2, 1
	s_and_saveexec_b64 s[6:7], s[0:1]
	s_cbranch_execz .LBB11_702
; %bb.706:                              ;   in Loop: Header=BB11_705 Depth=1
	global_load_dword v2, v[4:5], off offset:20 sc0 sc1
	s_waitcnt vmcnt(0)
	buffer_inv sc0 sc1
	v_and_b32_e32 v2, 1, v2
	s_branch .LBB11_702
.LBB11_707:
	global_load_dwordx2 v[0:1], v[0:1], off
	s_and_saveexec_b64 s[6:7], s[0:1]
	s_cbranch_execz .LBB11_710
; %bb.708:
	v_mov_b32_e32 v8, 0
	global_load_dwordx2 v[6:7], v8, s[44:45] offset:40
	global_load_dwordx2 v[10:11], v8, s[44:45] offset:24 sc0 sc1
	global_load_dwordx2 v[12:13], v8, s[44:45]
	s_mov_b64 s[0:1], 0
	s_waitcnt vmcnt(2)
	v_lshl_add_u64 v[2:3], v[6:7], 0, 1
	v_lshl_add_u64 v[14:15], v[2:3], 0, s[4:5]
	v_cmp_eq_u64_e32 vcc, 0, v[14:15]
	s_waitcnt vmcnt(1)
	v_mov_b32_e32 v4, v10
	v_cndmask_b32_e32 v3, v15, v3, vcc
	v_cndmask_b32_e32 v2, v14, v2, vcc
	v_and_b32_e32 v5, v3, v7
	v_and_b32_e32 v6, v2, v6
	v_mul_lo_u32 v5, v5, 24
	v_mul_hi_u32 v7, v6, 24
	v_mul_lo_u32 v6, v6, 24
	v_add_u32_e32 v7, v7, v5
	s_waitcnt vmcnt(0)
	v_lshl_add_u64 v[6:7], v[12:13], 0, v[6:7]
	global_store_dwordx2 v[6:7], v[10:11], off
	v_mov_b32_e32 v5, v11
	buffer_wbl2 sc0 sc1
	s_waitcnt vmcnt(0)
	global_atomic_cmpswap_x2 v[4:5], v8, v[2:5], s[44:45] offset:24 sc0 sc1
	s_waitcnt vmcnt(0)
	v_cmp_ne_u64_e32 vcc, v[4:5], v[10:11]
	s_and_b64 exec, exec, vcc
	s_cbranch_execz .LBB11_710
.LBB11_709:                             ; =>This Inner Loop Header: Depth=1
	s_sleep 1
	global_store_dwordx2 v[6:7], v[4:5], off
	buffer_wbl2 sc0 sc1
	s_waitcnt vmcnt(0)
	global_atomic_cmpswap_x2 v[10:11], v8, v[2:5], s[44:45] offset:24 sc0 sc1
	s_waitcnt vmcnt(0)
	v_cmp_eq_u64_e32 vcc, v[10:11], v[4:5]
	s_or_b64 s[0:1], vcc, s[0:1]
	v_mov_b64_e32 v[4:5], v[10:11]
	s_andn2_b64 exec, exec, s[0:1]
	s_cbranch_execnz .LBB11_709
.LBB11_710:
	s_or_b64 exec, exec, s[6:7]
	s_and_b64 vcc, exec, s[46:47]
	s_cbranch_vccz .LBB11_795
; %bb.711:
	s_waitcnt vmcnt(0)
	v_and_b32_e32 v28, 2, v0
	v_mov_b32_e32 v31, 0
	v_and_b32_e32 v2, -3, v0
	v_mov_b32_e32 v3, v1
	s_mov_b64 s[6:7], 3
	v_mov_b32_e32 v6, 2
	v_mov_b32_e32 v7, 1
	s_getpc_b64 s[4:5]
	s_add_u32 s4, s4, .str.6@rel32@lo+4
	s_addc_u32 s5, s5, .str.6@rel32@hi+12
	s_branch .LBB11_713
.LBB11_712:                             ;   in Loop: Header=BB11_713 Depth=1
	s_or_b64 exec, exec, s[18:19]
	s_sub_u32 s6, s6, s10
	s_subb_u32 s7, s7, s11
	s_add_u32 s4, s4, s10
	s_addc_u32 s5, s5, s11
	s_cmp_lg_u64 s[6:7], 0
	s_cbranch_scc0 .LBB11_794
.LBB11_713:                             ; =>This Loop Header: Depth=1
                                        ;     Child Loop BB11_716 Depth 2
                                        ;     Child Loop BB11_723 Depth 2
	;; [unrolled: 1-line block ×11, first 2 shown]
	v_cmp_lt_u64_e64 s[0:1], s[6:7], 56
	s_and_b64 s[0:1], s[0:1], exec
	v_cmp_gt_u64_e64 s[0:1], s[6:7], 7
	s_cselect_b32 s11, s7, 0
	s_cselect_b32 s10, s6, 56
	s_and_b64 vcc, exec, s[0:1]
	s_cbranch_vccnz .LBB11_718
; %bb.714:                              ;   in Loop: Header=BB11_713 Depth=1
	s_mov_b64 s[0:1], 0
	s_cmp_eq_u64 s[6:7], 0
	v_mov_b64_e32 v[10:11], 0
	s_cbranch_scc1 .LBB11_717
; %bb.715:                              ;   in Loop: Header=BB11_713 Depth=1
	s_lshl_b64 s[16:17], s[10:11], 3
	s_mov_b64 s[18:19], 0
	v_mov_b64_e32 v[10:11], 0
	s_mov_b64 s[20:21], s[4:5]
.LBB11_716:                             ;   Parent Loop BB11_713 Depth=1
                                        ; =>  This Inner Loop Header: Depth=2
	global_load_ubyte v4, v31, s[20:21]
	s_waitcnt vmcnt(0)
	v_and_b32_e32 v30, 0xffff, v4
	v_lshlrev_b64 v[4:5], s18, v[30:31]
	s_add_u32 s18, s18, 8
	s_addc_u32 s19, s19, 0
	s_add_u32 s20, s20, 1
	s_addc_u32 s21, s21, 0
	v_or_b32_e32 v10, v4, v10
	s_cmp_lg_u32 s16, s18
	v_or_b32_e32 v11, v5, v11
	s_cbranch_scc1 .LBB11_716
.LBB11_717:                             ;   in Loop: Header=BB11_713 Depth=1
	s_mov_b32 s15, 0
	s_andn2_b64 vcc, exec, s[0:1]
	s_mov_b64 s[0:1], s[4:5]
	s_cbranch_vccz .LBB11_719
	s_branch .LBB11_720
.LBB11_718:                             ;   in Loop: Header=BB11_713 Depth=1
                                        ; implicit-def: $vgpr10_vgpr11
                                        ; implicit-def: $sgpr15
	s_mov_b64 s[0:1], s[4:5]
.LBB11_719:                             ;   in Loop: Header=BB11_713 Depth=1
	global_load_dwordx2 v[10:11], v31, s[4:5]
	s_add_i32 s15, s10, -8
	s_add_u32 s0, s4, 8
	s_addc_u32 s1, s5, 0
.LBB11_720:                             ;   in Loop: Header=BB11_713 Depth=1
	s_cmp_gt_u32 s15, 7
	s_cbranch_scc1 .LBB11_724
; %bb.721:                              ;   in Loop: Header=BB11_713 Depth=1
	s_cmp_eq_u32 s15, 0
	s_cbranch_scc1 .LBB11_725
; %bb.722:                              ;   in Loop: Header=BB11_713 Depth=1
	s_mov_b64 s[16:17], 0
	v_mov_b64_e32 v[12:13], 0
	s_mov_b64 s[18:19], 0
.LBB11_723:                             ;   Parent Loop BB11_713 Depth=1
                                        ; =>  This Inner Loop Header: Depth=2
	s_add_u32 s20, s0, s18
	s_addc_u32 s21, s1, s19
	global_load_ubyte v4, v31, s[20:21]
	s_add_u32 s18, s18, 1
	s_addc_u32 s19, s19, 0
	s_waitcnt vmcnt(0)
	v_and_b32_e32 v30, 0xffff, v4
	v_lshlrev_b64 v[4:5], s16, v[30:31]
	s_add_u32 s16, s16, 8
	s_addc_u32 s17, s17, 0
	v_or_b32_e32 v12, v4, v12
	s_cmp_lg_u32 s15, s18
	v_or_b32_e32 v13, v5, v13
	s_cbranch_scc1 .LBB11_723
	s_branch .LBB11_726
.LBB11_724:                             ;   in Loop: Header=BB11_713 Depth=1
                                        ; implicit-def: $vgpr12_vgpr13
                                        ; implicit-def: $sgpr20
	s_branch .LBB11_727
.LBB11_725:                             ;   in Loop: Header=BB11_713 Depth=1
	v_mov_b64_e32 v[12:13], 0
.LBB11_726:                             ;   in Loop: Header=BB11_713 Depth=1
	s_mov_b32 s20, 0
	s_cbranch_execnz .LBB11_728
.LBB11_727:                             ;   in Loop: Header=BB11_713 Depth=1
	global_load_dwordx2 v[12:13], v31, s[0:1]
	s_add_i32 s20, s15, -8
	s_add_u32 s0, s0, 8
	s_addc_u32 s1, s1, 0
.LBB11_728:                             ;   in Loop: Header=BB11_713 Depth=1
	s_cmp_gt_u32 s20, 7
	s_cbranch_scc1 .LBB11_732
; %bb.729:                              ;   in Loop: Header=BB11_713 Depth=1
	s_cmp_eq_u32 s20, 0
	s_cbranch_scc1 .LBB11_733
; %bb.730:                              ;   in Loop: Header=BB11_713 Depth=1
	s_mov_b64 s[16:17], 0
	v_mov_b64_e32 v[14:15], 0
	s_mov_b64 s[18:19], 0
.LBB11_731:                             ;   Parent Loop BB11_713 Depth=1
                                        ; =>  This Inner Loop Header: Depth=2
	s_add_u32 s22, s0, s18
	s_addc_u32 s23, s1, s19
	global_load_ubyte v4, v31, s[22:23]
	s_add_u32 s18, s18, 1
	s_addc_u32 s19, s19, 0
	s_waitcnt vmcnt(0)
	v_and_b32_e32 v30, 0xffff, v4
	v_lshlrev_b64 v[4:5], s16, v[30:31]
	s_add_u32 s16, s16, 8
	s_addc_u32 s17, s17, 0
	v_or_b32_e32 v14, v4, v14
	s_cmp_lg_u32 s20, s18
	v_or_b32_e32 v15, v5, v15
	s_cbranch_scc1 .LBB11_731
	s_branch .LBB11_734
.LBB11_732:                             ;   in Loop: Header=BB11_713 Depth=1
                                        ; implicit-def: $sgpr15
	s_branch .LBB11_735
.LBB11_733:                             ;   in Loop: Header=BB11_713 Depth=1
	v_mov_b64_e32 v[14:15], 0
.LBB11_734:                             ;   in Loop: Header=BB11_713 Depth=1
	s_mov_b32 s15, 0
	s_cbranch_execnz .LBB11_736
.LBB11_735:                             ;   in Loop: Header=BB11_713 Depth=1
	global_load_dwordx2 v[14:15], v31, s[0:1]
	s_add_i32 s15, s20, -8
	s_add_u32 s0, s0, 8
	s_addc_u32 s1, s1, 0
.LBB11_736:                             ;   in Loop: Header=BB11_713 Depth=1
	s_cmp_gt_u32 s15, 7
	s_cbranch_scc1 .LBB11_740
; %bb.737:                              ;   in Loop: Header=BB11_713 Depth=1
	s_cmp_eq_u32 s15, 0
	s_cbranch_scc1 .LBB11_741
; %bb.738:                              ;   in Loop: Header=BB11_713 Depth=1
	s_mov_b64 s[16:17], 0
	v_mov_b64_e32 v[16:17], 0
	s_mov_b64 s[18:19], 0
.LBB11_739:                             ;   Parent Loop BB11_713 Depth=1
                                        ; =>  This Inner Loop Header: Depth=2
	s_add_u32 s20, s0, s18
	s_addc_u32 s21, s1, s19
	global_load_ubyte v4, v31, s[20:21]
	s_add_u32 s18, s18, 1
	s_addc_u32 s19, s19, 0
	s_waitcnt vmcnt(0)
	v_and_b32_e32 v30, 0xffff, v4
	v_lshlrev_b64 v[4:5], s16, v[30:31]
	s_add_u32 s16, s16, 8
	s_addc_u32 s17, s17, 0
	v_or_b32_e32 v16, v4, v16
	s_cmp_lg_u32 s15, s18
	v_or_b32_e32 v17, v5, v17
	s_cbranch_scc1 .LBB11_739
	s_branch .LBB11_742
.LBB11_740:                             ;   in Loop: Header=BB11_713 Depth=1
                                        ; implicit-def: $vgpr16_vgpr17
                                        ; implicit-def: $sgpr20
	s_branch .LBB11_743
.LBB11_741:                             ;   in Loop: Header=BB11_713 Depth=1
	v_mov_b64_e32 v[16:17], 0
.LBB11_742:                             ;   in Loop: Header=BB11_713 Depth=1
	s_mov_b32 s20, 0
	s_cbranch_execnz .LBB11_744
.LBB11_743:                             ;   in Loop: Header=BB11_713 Depth=1
	global_load_dwordx2 v[16:17], v31, s[0:1]
	s_add_i32 s20, s15, -8
	s_add_u32 s0, s0, 8
	s_addc_u32 s1, s1, 0
.LBB11_744:                             ;   in Loop: Header=BB11_713 Depth=1
	s_cmp_gt_u32 s20, 7
	s_cbranch_scc1 .LBB11_748
; %bb.745:                              ;   in Loop: Header=BB11_713 Depth=1
	s_cmp_eq_u32 s20, 0
	s_cbranch_scc1 .LBB11_749
; %bb.746:                              ;   in Loop: Header=BB11_713 Depth=1
	s_mov_b64 s[16:17], 0
	v_mov_b64_e32 v[18:19], 0
	s_mov_b64 s[18:19], 0
.LBB11_747:                             ;   Parent Loop BB11_713 Depth=1
                                        ; =>  This Inner Loop Header: Depth=2
	s_add_u32 s22, s0, s18
	s_addc_u32 s23, s1, s19
	global_load_ubyte v4, v31, s[22:23]
	s_add_u32 s18, s18, 1
	s_addc_u32 s19, s19, 0
	s_waitcnt vmcnt(0)
	v_and_b32_e32 v30, 0xffff, v4
	v_lshlrev_b64 v[4:5], s16, v[30:31]
	s_add_u32 s16, s16, 8
	s_addc_u32 s17, s17, 0
	v_or_b32_e32 v18, v4, v18
	s_cmp_lg_u32 s20, s18
	v_or_b32_e32 v19, v5, v19
	s_cbranch_scc1 .LBB11_747
	s_branch .LBB11_750
.LBB11_748:                             ;   in Loop: Header=BB11_713 Depth=1
                                        ; implicit-def: $sgpr15
	s_branch .LBB11_751
.LBB11_749:                             ;   in Loop: Header=BB11_713 Depth=1
	v_mov_b64_e32 v[18:19], 0
.LBB11_750:                             ;   in Loop: Header=BB11_713 Depth=1
	s_mov_b32 s15, 0
	s_cbranch_execnz .LBB11_752
.LBB11_751:                             ;   in Loop: Header=BB11_713 Depth=1
	global_load_dwordx2 v[18:19], v31, s[0:1]
	s_add_i32 s15, s20, -8
	s_add_u32 s0, s0, 8
	s_addc_u32 s1, s1, 0
.LBB11_752:                             ;   in Loop: Header=BB11_713 Depth=1
	s_cmp_gt_u32 s15, 7
	s_cbranch_scc1 .LBB11_756
; %bb.753:                              ;   in Loop: Header=BB11_713 Depth=1
	s_cmp_eq_u32 s15, 0
	s_cbranch_scc1 .LBB11_757
; %bb.754:                              ;   in Loop: Header=BB11_713 Depth=1
	s_mov_b64 s[16:17], 0
	v_mov_b64_e32 v[20:21], 0
	s_mov_b64 s[18:19], 0
.LBB11_755:                             ;   Parent Loop BB11_713 Depth=1
                                        ; =>  This Inner Loop Header: Depth=2
	s_add_u32 s20, s0, s18
	s_addc_u32 s21, s1, s19
	global_load_ubyte v4, v31, s[20:21]
	s_add_u32 s18, s18, 1
	s_addc_u32 s19, s19, 0
	s_waitcnt vmcnt(0)
	v_and_b32_e32 v30, 0xffff, v4
	v_lshlrev_b64 v[4:5], s16, v[30:31]
	s_add_u32 s16, s16, 8
	s_addc_u32 s17, s17, 0
	v_or_b32_e32 v20, v4, v20
	s_cmp_lg_u32 s15, s18
	v_or_b32_e32 v21, v5, v21
	s_cbranch_scc1 .LBB11_755
	s_branch .LBB11_758
.LBB11_756:                             ;   in Loop: Header=BB11_713 Depth=1
                                        ; implicit-def: $vgpr20_vgpr21
                                        ; implicit-def: $sgpr20
	s_branch .LBB11_759
.LBB11_757:                             ;   in Loop: Header=BB11_713 Depth=1
	v_mov_b64_e32 v[20:21], 0
.LBB11_758:                             ;   in Loop: Header=BB11_713 Depth=1
	s_mov_b32 s20, 0
	s_cbranch_execnz .LBB11_760
.LBB11_759:                             ;   in Loop: Header=BB11_713 Depth=1
	global_load_dwordx2 v[20:21], v31, s[0:1]
	s_add_i32 s20, s15, -8
	s_add_u32 s0, s0, 8
	s_addc_u32 s1, s1, 0
.LBB11_760:                             ;   in Loop: Header=BB11_713 Depth=1
	s_cmp_gt_u32 s20, 7
	s_cbranch_scc1 .LBB11_764
; %bb.761:                              ;   in Loop: Header=BB11_713 Depth=1
	s_cmp_eq_u32 s20, 0
	s_cbranch_scc1 .LBB11_765
; %bb.762:                              ;   in Loop: Header=BB11_713 Depth=1
	s_mov_b64 s[16:17], 0
	v_mov_b64_e32 v[22:23], 0
	s_mov_b64 s[18:19], s[0:1]
.LBB11_763:                             ;   Parent Loop BB11_713 Depth=1
                                        ; =>  This Inner Loop Header: Depth=2
	global_load_ubyte v4, v31, s[18:19]
	s_add_i32 s20, s20, -1
	s_waitcnt vmcnt(0)
	v_and_b32_e32 v30, 0xffff, v4
	v_lshlrev_b64 v[4:5], s16, v[30:31]
	s_add_u32 s16, s16, 8
	s_addc_u32 s17, s17, 0
	s_add_u32 s18, s18, 1
	s_addc_u32 s19, s19, 0
	v_or_b32_e32 v22, v4, v22
	s_cmp_lg_u32 s20, 0
	v_or_b32_e32 v23, v5, v23
	s_cbranch_scc1 .LBB11_763
	s_branch .LBB11_766
.LBB11_764:                             ;   in Loop: Header=BB11_713 Depth=1
	s_branch .LBB11_767
.LBB11_765:                             ;   in Loop: Header=BB11_713 Depth=1
	v_mov_b64_e32 v[22:23], 0
.LBB11_766:                             ;   in Loop: Header=BB11_713 Depth=1
	s_cbranch_execnz .LBB11_768
.LBB11_767:                             ;   in Loop: Header=BB11_713 Depth=1
	global_load_dwordx2 v[22:23], v31, s[0:1]
.LBB11_768:                             ;   in Loop: Header=BB11_713 Depth=1
	v_readfirstlane_b32 s0, v47
	s_waitcnt vmcnt(0)
	v_mov_b64_e32 v[4:5], 0
	v_cmp_eq_u32_e64 s[0:1], s0, v47
	s_and_saveexec_b64 s[16:17], s[0:1]
	s_cbranch_execz .LBB11_774
; %bb.769:                              ;   in Loop: Header=BB11_713 Depth=1
	global_load_dwordx2 v[26:27], v31, s[44:45] offset:24 sc0 sc1
	s_waitcnt vmcnt(0)
	buffer_inv sc0 sc1
	global_load_dwordx2 v[4:5], v31, s[44:45] offset:40
	global_load_dwordx2 v[8:9], v31, s[44:45]
	s_waitcnt vmcnt(1)
	v_and_b32_e32 v4, v4, v26
	v_and_b32_e32 v5, v5, v27
	v_mul_lo_u32 v5, v5, 24
	v_mul_hi_u32 v24, v4, 24
	v_add_u32_e32 v5, v24, v5
	v_mul_lo_u32 v4, v4, 24
	s_waitcnt vmcnt(0)
	v_lshl_add_u64 v[4:5], v[8:9], 0, v[4:5]
	global_load_dwordx2 v[24:25], v[4:5], off sc0 sc1
	s_waitcnt vmcnt(0)
	global_atomic_cmpswap_x2 v[4:5], v31, v[24:27], s[44:45] offset:24 sc0 sc1
	s_waitcnt vmcnt(0)
	buffer_inv sc0 sc1
	v_cmp_ne_u64_e32 vcc, v[4:5], v[26:27]
	s_and_saveexec_b64 s[18:19], vcc
	s_cbranch_execz .LBB11_773
; %bb.770:                              ;   in Loop: Header=BB11_713 Depth=1
	s_mov_b64 s[20:21], 0
.LBB11_771:                             ;   Parent Loop BB11_713 Depth=1
                                        ; =>  This Inner Loop Header: Depth=2
	s_sleep 1
	global_load_dwordx2 v[8:9], v31, s[44:45] offset:40
	global_load_dwordx2 v[24:25], v31, s[44:45]
	v_mov_b64_e32 v[26:27], v[4:5]
	s_waitcnt vmcnt(1)
	v_and_b32_e32 v4, v8, v26
	s_waitcnt vmcnt(0)
	v_mad_u64_u32 v[4:5], s[22:23], v4, 24, v[24:25]
	v_and_b32_e32 v9, v9, v27
	v_mov_b32_e32 v8, v5
	v_mad_u64_u32 v[8:9], s[22:23], v9, 24, v[8:9]
	v_mov_b32_e32 v5, v8
	global_load_dwordx2 v[24:25], v[4:5], off sc0 sc1
	s_waitcnt vmcnt(0)
	global_atomic_cmpswap_x2 v[4:5], v31, v[24:27], s[44:45] offset:24 sc0 sc1
	s_waitcnt vmcnt(0)
	buffer_inv sc0 sc1
	v_cmp_eq_u64_e32 vcc, v[4:5], v[26:27]
	s_or_b64 s[20:21], vcc, s[20:21]
	s_andn2_b64 exec, exec, s[20:21]
	s_cbranch_execnz .LBB11_771
; %bb.772:                              ;   in Loop: Header=BB11_713 Depth=1
	s_or_b64 exec, exec, s[20:21]
.LBB11_773:                             ;   in Loop: Header=BB11_713 Depth=1
	s_or_b64 exec, exec, s[18:19]
.LBB11_774:                             ;   in Loop: Header=BB11_713 Depth=1
	s_or_b64 exec, exec, s[16:17]
	global_load_dwordx2 v[8:9], v31, s[44:45] offset:40
	global_load_dwordx4 v[24:27], v31, s[44:45]
	v_readfirstlane_b32 s16, v4
	v_readfirstlane_b32 s17, v5
	s_mov_b64 s[18:19], exec
	s_waitcnt vmcnt(1)
	v_readfirstlane_b32 s20, v8
	v_readfirstlane_b32 s21, v9
	s_and_b64 s[20:21], s[16:17], s[20:21]
	s_mul_i32 s15, s21, 24
	s_mul_hi_u32 s22, s20, 24
	s_add_i32 s23, s22, s15
	s_mul_i32 s22, s20, 24
	s_waitcnt vmcnt(0)
	v_lshl_add_u64 v[32:33], v[24:25], 0, s[22:23]
	s_and_saveexec_b64 s[22:23], s[0:1]
	s_cbranch_execz .LBB11_776
; %bb.775:                              ;   in Loop: Header=BB11_713 Depth=1
	v_mov_b64_e32 v[4:5], s[18:19]
	global_store_dwordx4 v[32:33], v[4:7], off offset:8
.LBB11_776:                             ;   in Loop: Header=BB11_713 Depth=1
	s_or_b64 exec, exec, s[22:23]
	s_nop 0
	v_or_b32_e32 v5, v2, v28
	v_cmp_gt_u64_e64 vcc, s[6:7], 56
	s_lshl_b32 s15, s10, 2
	s_lshl_b64 s[18:19], s[20:21], 12
	v_cndmask_b32_e32 v2, v5, v2, vcc
	s_add_i32 s15, s15, 28
	v_lshl_add_u64 v[26:27], v[26:27], 0, s[18:19]
	v_or_b32_e32 v4, 0, v3
	s_and_b32 s15, s15, 0x1e0
	v_and_b32_e32 v2, 0xffffff1f, v2
	v_cndmask_b32_e32 v9, v4, v3, vcc
	v_or_b32_e32 v8, s15, v2
	v_readfirstlane_b32 s18, v26
	v_readfirstlane_b32 s19, v27
	s_nop 4
	global_store_dwordx4 v60, v[8:11], s[18:19]
	global_store_dwordx4 v60, v[12:15], s[18:19] offset:16
	global_store_dwordx4 v60, v[16:19], s[18:19] offset:32
	;; [unrolled: 1-line block ×3, first 2 shown]
	s_and_saveexec_b64 s[18:19], s[0:1]
	s_cbranch_execz .LBB11_784
; %bb.777:                              ;   in Loop: Header=BB11_713 Depth=1
	global_load_dwordx2 v[12:13], v31, s[44:45] offset:32 sc0 sc1
	global_load_dwordx2 v[2:3], v31, s[44:45] offset:40
	v_mov_b32_e32 v10, s16
	v_mov_b32_e32 v11, s17
	s_waitcnt vmcnt(0)
	v_readfirstlane_b32 s20, v2
	v_readfirstlane_b32 s21, v3
	s_and_b64 s[20:21], s[20:21], s[16:17]
	s_mul_i32 s15, s21, 24
	s_mul_hi_u32 s21, s20, 24
	s_mul_i32 s20, s20, 24
	s_add_i32 s21, s21, s15
	v_lshl_add_u64 v[8:9], v[24:25], 0, s[20:21]
	global_store_dwordx2 v[8:9], v[12:13], off
	buffer_wbl2 sc0 sc1
	s_waitcnt vmcnt(0)
	global_atomic_cmpswap_x2 v[4:5], v31, v[10:13], s[44:45] offset:32 sc0 sc1
	s_waitcnt vmcnt(0)
	v_cmp_ne_u64_e32 vcc, v[4:5], v[12:13]
	s_and_saveexec_b64 s[20:21], vcc
	s_cbranch_execz .LBB11_780
; %bb.778:                              ;   in Loop: Header=BB11_713 Depth=1
	s_mov_b64 s[22:23], 0
.LBB11_779:                             ;   Parent Loop BB11_713 Depth=1
                                        ; =>  This Inner Loop Header: Depth=2
	s_sleep 1
	global_store_dwordx2 v[8:9], v[4:5], off
	v_mov_b32_e32 v2, s16
	v_mov_b32_e32 v3, s17
	buffer_wbl2 sc0 sc1
	s_waitcnt vmcnt(0)
	global_atomic_cmpswap_x2 v[2:3], v31, v[2:5], s[44:45] offset:32 sc0 sc1
	s_waitcnt vmcnt(0)
	v_cmp_eq_u64_e32 vcc, v[2:3], v[4:5]
	s_or_b64 s[22:23], vcc, s[22:23]
	v_mov_b64_e32 v[4:5], v[2:3]
	s_andn2_b64 exec, exec, s[22:23]
	s_cbranch_execnz .LBB11_779
.LBB11_780:                             ;   in Loop: Header=BB11_713 Depth=1
	s_or_b64 exec, exec, s[20:21]
	global_load_dwordx2 v[2:3], v31, s[44:45] offset:16
	s_mov_b64 s[22:23], exec
	v_mbcnt_lo_u32_b32 v4, s22, 0
	v_mbcnt_hi_u32_b32 v4, s23, v4
	v_cmp_eq_u32_e32 vcc, 0, v4
	s_and_saveexec_b64 s[20:21], vcc
	s_cbranch_execz .LBB11_782
; %bb.781:                              ;   in Loop: Header=BB11_713 Depth=1
	s_bcnt1_i32_b64 s15, s[22:23]
	v_mov_b32_e32 v30, s15
	buffer_wbl2 sc0 sc1
	s_waitcnt vmcnt(0)
	global_atomic_add_x2 v[2:3], v[30:31], off offset:8 sc1
.LBB11_782:                             ;   in Loop: Header=BB11_713 Depth=1
	s_or_b64 exec, exec, s[20:21]
	s_waitcnt vmcnt(0)
	global_load_dwordx2 v[4:5], v[2:3], off offset:16
	s_waitcnt vmcnt(0)
	v_cmp_eq_u64_e32 vcc, 0, v[4:5]
	s_cbranch_vccnz .LBB11_784
; %bb.783:                              ;   in Loop: Header=BB11_713 Depth=1
	global_load_dword v30, v[2:3], off offset:24
	s_waitcnt vmcnt(0)
	v_and_b32_e32 v2, 0xffffff, v30
	s_nop 0
	v_readfirstlane_b32 m0, v2
	buffer_wbl2 sc0 sc1
	global_store_dwordx2 v[4:5], v[30:31], off sc0 sc1
	s_sendmsg sendmsg(MSG_INTERRUPT)
.LBB11_784:                             ;   in Loop: Header=BB11_713 Depth=1
	s_or_b64 exec, exec, s[18:19]
	v_mov_b32_e32 v61, v31
	v_lshl_add_u64 v[2:3], v[26:27], 0, v[60:61]
	s_branch .LBB11_788
.LBB11_785:                             ;   in Loop: Header=BB11_788 Depth=2
	s_or_b64 exec, exec, s[18:19]
	v_readfirstlane_b32 s15, v4
	s_cmp_eq_u32 s15, 0
	s_cbranch_scc1 .LBB11_787
; %bb.786:                              ;   in Loop: Header=BB11_788 Depth=2
	s_sleep 1
	s_cbranch_execnz .LBB11_788
	s_branch .LBB11_790
.LBB11_787:                             ;   in Loop: Header=BB11_713 Depth=1
	s_branch .LBB11_790
.LBB11_788:                             ;   Parent Loop BB11_713 Depth=1
                                        ; =>  This Inner Loop Header: Depth=2
	v_mov_b32_e32 v4, 1
	s_and_saveexec_b64 s[18:19], s[0:1]
	s_cbranch_execz .LBB11_785
; %bb.789:                              ;   in Loop: Header=BB11_788 Depth=2
	global_load_dword v4, v[32:33], off offset:20 sc0 sc1
	s_waitcnt vmcnt(0)
	buffer_inv sc0 sc1
	v_and_b32_e32 v4, 1, v4
	s_branch .LBB11_785
.LBB11_790:                             ;   in Loop: Header=BB11_713 Depth=1
	global_load_dwordx4 v[2:5], v[2:3], off
	s_and_saveexec_b64 s[18:19], s[0:1]
	s_cbranch_execz .LBB11_712
; %bb.791:                              ;   in Loop: Header=BB11_713 Depth=1
	global_load_dwordx2 v[4:5], v31, s[44:45] offset:40
	global_load_dwordx2 v[12:13], v31, s[44:45] offset:24 sc0 sc1
	global_load_dwordx2 v[14:15], v31, s[44:45]
	s_waitcnt vmcnt(2)
	v_lshl_add_u64 v[8:9], v[4:5], 0, 1
	v_lshl_add_u64 v[16:17], v[8:9], 0, s[16:17]
	v_cmp_eq_u64_e32 vcc, 0, v[16:17]
	s_waitcnt vmcnt(1)
	v_mov_b32_e32 v10, v12
	v_cndmask_b32_e32 v9, v17, v9, vcc
	v_cndmask_b32_e32 v8, v16, v8, vcc
	v_and_b32_e32 v5, v9, v5
	v_and_b32_e32 v4, v8, v4
	v_mul_lo_u32 v5, v5, 24
	v_mul_hi_u32 v11, v4, 24
	v_mul_lo_u32 v4, v4, 24
	v_add_u32_e32 v5, v11, v5
	s_waitcnt vmcnt(0)
	v_lshl_add_u64 v[4:5], v[14:15], 0, v[4:5]
	global_store_dwordx2 v[4:5], v[12:13], off
	v_mov_b32_e32 v11, v13
	buffer_wbl2 sc0 sc1
	s_waitcnt vmcnt(0)
	global_atomic_cmpswap_x2 v[10:11], v31, v[8:11], s[44:45] offset:24 sc0 sc1
	s_waitcnt vmcnt(0)
	v_cmp_ne_u64_e32 vcc, v[10:11], v[12:13]
	s_and_b64 exec, exec, vcc
	s_cbranch_execz .LBB11_712
; %bb.792:                              ;   in Loop: Header=BB11_713 Depth=1
	s_mov_b64 s[0:1], 0
.LBB11_793:                             ;   Parent Loop BB11_713 Depth=1
                                        ; =>  This Inner Loop Header: Depth=2
	s_sleep 1
	global_store_dwordx2 v[4:5], v[10:11], off
	buffer_wbl2 sc0 sc1
	s_waitcnt vmcnt(0)
	global_atomic_cmpswap_x2 v[12:13], v31, v[8:11], s[44:45] offset:24 sc0 sc1
	s_waitcnt vmcnt(0)
	v_cmp_eq_u64_e32 vcc, v[12:13], v[10:11]
	s_or_b64 s[0:1], vcc, s[0:1]
	v_mov_b64_e32 v[10:11], v[12:13]
	s_andn2_b64 exec, exec, s[0:1]
	s_cbranch_execnz .LBB11_793
	s_branch .LBB11_712
.LBB11_794:
	s_branch .LBB11_822
.LBB11_795:
                                        ; implicit-def: $vgpr2_vgpr3
	s_cbranch_execz .LBB11_822
; %bb.796:
	v_readfirstlane_b32 s0, v47
	s_waitcnt vmcnt(0)
	v_mov_b64_e32 v[2:3], 0
	v_cmp_eq_u32_e64 s[0:1], s0, v47
	s_and_saveexec_b64 s[4:5], s[0:1]
	s_cbranch_execz .LBB11_802
; %bb.797:
	v_mov_b32_e32 v4, 0
	global_load_dwordx2 v[8:9], v4, s[44:45] offset:24 sc0 sc1
	s_waitcnt vmcnt(0)
	buffer_inv sc0 sc1
	global_load_dwordx2 v[2:3], v4, s[44:45] offset:40
	global_load_dwordx2 v[6:7], v4, s[44:45]
	s_waitcnt vmcnt(1)
	v_and_b32_e32 v2, v2, v8
	v_and_b32_e32 v3, v3, v9
	v_mul_lo_u32 v3, v3, 24
	v_mul_hi_u32 v5, v2, 24
	v_add_u32_e32 v3, v5, v3
	v_mul_lo_u32 v2, v2, 24
	s_waitcnt vmcnt(0)
	v_lshl_add_u64 v[2:3], v[6:7], 0, v[2:3]
	global_load_dwordx2 v[6:7], v[2:3], off sc0 sc1
	s_waitcnt vmcnt(0)
	global_atomic_cmpswap_x2 v[2:3], v4, v[6:9], s[44:45] offset:24 sc0 sc1
	s_waitcnt vmcnt(0)
	buffer_inv sc0 sc1
	v_cmp_ne_u64_e32 vcc, v[2:3], v[8:9]
	s_and_saveexec_b64 s[6:7], vcc
	s_cbranch_execz .LBB11_801
; %bb.798:
	s_mov_b64 s[10:11], 0
.LBB11_799:                             ; =>This Inner Loop Header: Depth=1
	s_sleep 1
	global_load_dwordx2 v[6:7], v4, s[44:45] offset:40
	global_load_dwordx2 v[10:11], v4, s[44:45]
	v_mov_b64_e32 v[8:9], v[2:3]
	s_waitcnt vmcnt(1)
	v_and_b32_e32 v2, v6, v8
	s_waitcnt vmcnt(0)
	v_mad_u64_u32 v[2:3], s[16:17], v2, 24, v[10:11]
	v_and_b32_e32 v5, v7, v9
	v_mov_b32_e32 v6, v3
	v_mad_u64_u32 v[6:7], s[16:17], v5, 24, v[6:7]
	v_mov_b32_e32 v3, v6
	global_load_dwordx2 v[6:7], v[2:3], off sc0 sc1
	s_waitcnt vmcnt(0)
	global_atomic_cmpswap_x2 v[2:3], v4, v[6:9], s[44:45] offset:24 sc0 sc1
	s_waitcnt vmcnt(0)
	buffer_inv sc0 sc1
	v_cmp_eq_u64_e32 vcc, v[2:3], v[8:9]
	s_or_b64 s[10:11], vcc, s[10:11]
	s_andn2_b64 exec, exec, s[10:11]
	s_cbranch_execnz .LBB11_799
; %bb.800:
	s_or_b64 exec, exec, s[10:11]
.LBB11_801:
	s_or_b64 exec, exec, s[6:7]
.LBB11_802:
	s_or_b64 exec, exec, s[4:5]
	v_mov_b32_e32 v61, 0
	global_load_dwordx2 v[8:9], v61, s[44:45] offset:40
	global_load_dwordx4 v[4:7], v61, s[44:45]
	v_readfirstlane_b32 s4, v2
	v_readfirstlane_b32 s5, v3
	s_mov_b64 s[6:7], exec
	s_waitcnt vmcnt(1)
	v_readfirstlane_b32 s10, v8
	v_readfirstlane_b32 s11, v9
	s_and_b64 s[10:11], s[4:5], s[10:11]
	s_mul_i32 s15, s11, 24
	s_mul_hi_u32 s16, s10, 24
	s_add_i32 s17, s16, s15
	s_mul_i32 s16, s10, 24
	s_waitcnt vmcnt(0)
	v_lshl_add_u64 v[8:9], v[4:5], 0, s[16:17]
	s_and_saveexec_b64 s[16:17], s[0:1]
	s_cbranch_execz .LBB11_804
; %bb.803:
	v_mov_b64_e32 v[10:11], s[6:7]
	v_mov_b32_e32 v12, 2
	v_mov_b32_e32 v13, 1
	global_store_dwordx4 v[8:9], v[10:13], off offset:8
.LBB11_804:
	s_or_b64 exec, exec, s[16:17]
	s_lshl_b64 s[6:7], s[10:11], 12
	v_lshl_add_u64 v[6:7], v[6:7], 0, s[6:7]
	s_movk_i32 s6, 0xff1f
	s_mov_b32 s16, 0
	v_and_or_b32 v0, v0, s6, 32
	v_mov_b32_e32 v2, v61
	v_mov_b32_e32 v3, v61
	v_readfirstlane_b32 s6, v6
	v_readfirstlane_b32 s7, v7
	s_mov_b32 s17, s16
	s_mov_b32 s18, s16
	;; [unrolled: 1-line block ×3, first 2 shown]
	s_nop 1
	global_store_dwordx4 v60, v[0:3], s[6:7]
	s_nop 1
	v_mov_b64_e32 v[0:1], s[16:17]
	v_mov_b64_e32 v[2:3], s[18:19]
	global_store_dwordx4 v60, v[0:3], s[6:7] offset:16
	global_store_dwordx4 v60, v[0:3], s[6:7] offset:32
	;; [unrolled: 1-line block ×3, first 2 shown]
	s_and_saveexec_b64 s[6:7], s[0:1]
	s_cbranch_execz .LBB11_812
; %bb.805:
	v_mov_b32_e32 v10, 0
	global_load_dwordx2 v[14:15], v10, s[44:45] offset:32 sc0 sc1
	global_load_dwordx2 v[0:1], v10, s[44:45] offset:40
	v_mov_b32_e32 v12, s4
	v_mov_b32_e32 v13, s5
	s_waitcnt vmcnt(0)
	v_readfirstlane_b32 s10, v0
	v_readfirstlane_b32 s11, v1
	s_and_b64 s[10:11], s[10:11], s[4:5]
	s_mul_i32 s11, s11, 24
	s_mul_hi_u32 s15, s10, 24
	s_mul_i32 s10, s10, 24
	s_add_i32 s11, s15, s11
	v_lshl_add_u64 v[4:5], v[4:5], 0, s[10:11]
	global_store_dwordx2 v[4:5], v[14:15], off
	buffer_wbl2 sc0 sc1
	s_waitcnt vmcnt(0)
	global_atomic_cmpswap_x2 v[2:3], v10, v[12:15], s[44:45] offset:32 sc0 sc1
	s_waitcnt vmcnt(0)
	v_cmp_ne_u64_e32 vcc, v[2:3], v[14:15]
	s_and_saveexec_b64 s[10:11], vcc
	s_cbranch_execz .LBB11_808
; %bb.806:
	s_mov_b64 s[16:17], 0
.LBB11_807:                             ; =>This Inner Loop Header: Depth=1
	s_sleep 1
	global_store_dwordx2 v[4:5], v[2:3], off
	v_mov_b32_e32 v0, s4
	v_mov_b32_e32 v1, s5
	buffer_wbl2 sc0 sc1
	s_waitcnt vmcnt(0)
	global_atomic_cmpswap_x2 v[0:1], v10, v[0:3], s[44:45] offset:32 sc0 sc1
	s_waitcnt vmcnt(0)
	v_cmp_eq_u64_e32 vcc, v[0:1], v[2:3]
	s_or_b64 s[16:17], vcc, s[16:17]
	v_mov_b64_e32 v[2:3], v[0:1]
	s_andn2_b64 exec, exec, s[16:17]
	s_cbranch_execnz .LBB11_807
.LBB11_808:
	s_or_b64 exec, exec, s[10:11]
	v_mov_b32_e32 v3, 0
	global_load_dwordx2 v[0:1], v3, s[44:45] offset:16
	s_mov_b64 s[10:11], exec
	v_mbcnt_lo_u32_b32 v2, s10, 0
	v_mbcnt_hi_u32_b32 v2, s11, v2
	v_cmp_eq_u32_e32 vcc, 0, v2
	s_and_saveexec_b64 s[16:17], vcc
	s_cbranch_execz .LBB11_810
; %bb.809:
	s_bcnt1_i32_b64 s10, s[10:11]
	v_mov_b32_e32 v2, s10
	buffer_wbl2 sc0 sc1
	s_waitcnt vmcnt(0)
	global_atomic_add_x2 v[0:1], v[2:3], off offset:8 sc1
.LBB11_810:
	s_or_b64 exec, exec, s[16:17]
	s_waitcnt vmcnt(0)
	global_load_dwordx2 v[2:3], v[0:1], off offset:16
	s_waitcnt vmcnt(0)
	v_cmp_eq_u64_e32 vcc, 0, v[2:3]
	s_cbranch_vccnz .LBB11_812
; %bb.811:
	global_load_dword v0, v[0:1], off offset:24
	v_mov_b32_e32 v1, 0
	buffer_wbl2 sc0 sc1
	s_waitcnt vmcnt(0)
	global_store_dwordx2 v[2:3], v[0:1], off sc0 sc1
	v_and_b32_e32 v0, 0xffffff, v0
	s_nop 0
	v_readfirstlane_b32 m0, v0
	s_sendmsg sendmsg(MSG_INTERRUPT)
.LBB11_812:
	s_or_b64 exec, exec, s[6:7]
	v_lshl_add_u64 v[0:1], v[6:7], 0, v[60:61]
	s_branch .LBB11_816
.LBB11_813:                             ;   in Loop: Header=BB11_816 Depth=1
	s_or_b64 exec, exec, s[6:7]
	v_readfirstlane_b32 s6, v2
	s_cmp_eq_u32 s6, 0
	s_cbranch_scc1 .LBB11_815
; %bb.814:                              ;   in Loop: Header=BB11_816 Depth=1
	s_sleep 1
	s_cbranch_execnz .LBB11_816
	s_branch .LBB11_818
.LBB11_815:
	s_branch .LBB11_818
.LBB11_816:                             ; =>This Inner Loop Header: Depth=1
	v_mov_b32_e32 v2, 1
	s_and_saveexec_b64 s[6:7], s[0:1]
	s_cbranch_execz .LBB11_813
; %bb.817:                              ;   in Loop: Header=BB11_816 Depth=1
	global_load_dword v2, v[8:9], off offset:20 sc0 sc1
	s_waitcnt vmcnt(0)
	buffer_inv sc0 sc1
	v_and_b32_e32 v2, 1, v2
	s_branch .LBB11_813
.LBB11_818:
	global_load_dwordx2 v[2:3], v[0:1], off
	s_and_saveexec_b64 s[6:7], s[0:1]
	s_cbranch_execz .LBB11_821
; %bb.819:
	v_mov_b32_e32 v8, 0
	global_load_dwordx2 v[0:1], v8, s[44:45] offset:40
	global_load_dwordx2 v[10:11], v8, s[44:45] offset:24 sc0 sc1
	global_load_dwordx2 v[12:13], v8, s[44:45]
	s_mov_b64 s[0:1], 0
	s_waitcnt vmcnt(2)
	v_lshl_add_u64 v[4:5], v[0:1], 0, 1
	v_lshl_add_u64 v[14:15], v[4:5], 0, s[4:5]
	v_cmp_eq_u64_e32 vcc, 0, v[14:15]
	s_waitcnt vmcnt(1)
	v_mov_b32_e32 v6, v10
	v_cndmask_b32_e32 v5, v15, v5, vcc
	v_cndmask_b32_e32 v4, v14, v4, vcc
	v_and_b32_e32 v1, v5, v1
	v_and_b32_e32 v0, v4, v0
	v_mul_lo_u32 v1, v1, 24
	v_mul_hi_u32 v7, v0, 24
	v_mul_lo_u32 v0, v0, 24
	v_add_u32_e32 v1, v7, v1
	s_waitcnt vmcnt(0)
	v_lshl_add_u64 v[0:1], v[12:13], 0, v[0:1]
	global_store_dwordx2 v[0:1], v[10:11], off
	v_mov_b32_e32 v7, v11
	buffer_wbl2 sc0 sc1
	s_waitcnt vmcnt(0)
	global_atomic_cmpswap_x2 v[6:7], v8, v[4:7], s[44:45] offset:24 sc0 sc1
	s_waitcnt vmcnt(0)
	v_cmp_ne_u64_e32 vcc, v[6:7], v[10:11]
	s_and_b64 exec, exec, vcc
	s_cbranch_execz .LBB11_821
.LBB11_820:                             ; =>This Inner Loop Header: Depth=1
	s_sleep 1
	global_store_dwordx2 v[0:1], v[6:7], off
	buffer_wbl2 sc0 sc1
	s_waitcnt vmcnt(0)
	global_atomic_cmpswap_x2 v[10:11], v8, v[4:7], s[44:45] offset:24 sc0 sc1
	s_waitcnt vmcnt(0)
	v_cmp_eq_u64_e32 vcc, v[10:11], v[6:7]
	s_or_b64 s[0:1], vcc, s[0:1]
	v_mov_b64_e32 v[6:7], v[10:11]
	s_andn2_b64 exec, exec, s[0:1]
	s_cbranch_execnz .LBB11_820
.LBB11_821:
	s_or_b64 exec, exec, s[6:7]
.LBB11_822:
	v_readfirstlane_b32 s0, v47
	s_waitcnt vmcnt(0)
	v_mov_b64_e32 v[0:1], 0
	v_cmp_eq_u32_e64 s[0:1], s0, v47
	s_and_saveexec_b64 s[4:5], s[0:1]
	s_cbranch_execz .LBB11_828
; %bb.823:
	v_mov_b32_e32 v4, 0
	global_load_dwordx2 v[8:9], v4, s[44:45] offset:24 sc0 sc1
	s_waitcnt vmcnt(0)
	buffer_inv sc0 sc1
	global_load_dwordx2 v[0:1], v4, s[44:45] offset:40
	global_load_dwordx2 v[6:7], v4, s[44:45]
	s_waitcnt vmcnt(1)
	v_and_b32_e32 v0, v0, v8
	v_and_b32_e32 v1, v1, v9
	v_mul_lo_u32 v1, v1, 24
	v_mul_hi_u32 v5, v0, 24
	v_add_u32_e32 v1, v5, v1
	v_mul_lo_u32 v0, v0, 24
	s_waitcnt vmcnt(0)
	v_lshl_add_u64 v[0:1], v[6:7], 0, v[0:1]
	global_load_dwordx2 v[6:7], v[0:1], off sc0 sc1
	s_waitcnt vmcnt(0)
	global_atomic_cmpswap_x2 v[0:1], v4, v[6:9], s[44:45] offset:24 sc0 sc1
	s_waitcnt vmcnt(0)
	buffer_inv sc0 sc1
	v_cmp_ne_u64_e32 vcc, v[0:1], v[8:9]
	s_and_saveexec_b64 s[6:7], vcc
	s_cbranch_execz .LBB11_827
; %bb.824:
	s_mov_b64 s[10:11], 0
.LBB11_825:                             ; =>This Inner Loop Header: Depth=1
	s_sleep 1
	global_load_dwordx2 v[6:7], v4, s[44:45] offset:40
	global_load_dwordx2 v[10:11], v4, s[44:45]
	v_mov_b64_e32 v[8:9], v[0:1]
	s_waitcnt vmcnt(1)
	v_and_b32_e32 v0, v6, v8
	s_waitcnt vmcnt(0)
	v_mad_u64_u32 v[0:1], s[16:17], v0, 24, v[10:11]
	v_and_b32_e32 v5, v7, v9
	v_mov_b32_e32 v6, v1
	v_mad_u64_u32 v[6:7], s[16:17], v5, 24, v[6:7]
	v_mov_b32_e32 v1, v6
	global_load_dwordx2 v[6:7], v[0:1], off sc0 sc1
	s_waitcnt vmcnt(0)
	global_atomic_cmpswap_x2 v[0:1], v4, v[6:9], s[44:45] offset:24 sc0 sc1
	s_waitcnt vmcnt(0)
	buffer_inv sc0 sc1
	v_cmp_eq_u64_e32 vcc, v[0:1], v[8:9]
	s_or_b64 s[10:11], vcc, s[10:11]
	s_andn2_b64 exec, exec, s[10:11]
	s_cbranch_execnz .LBB11_825
; %bb.826:
	s_or_b64 exec, exec, s[10:11]
.LBB11_827:
	s_or_b64 exec, exec, s[6:7]
.LBB11_828:
	s_or_b64 exec, exec, s[4:5]
	v_mov_b32_e32 v5, 0
	global_load_dwordx2 v[10:11], v5, s[44:45] offset:40
	global_load_dwordx4 v[6:9], v5, s[44:45]
	v_readfirstlane_b32 s4, v0
	v_readfirstlane_b32 s5, v1
	s_mov_b64 s[6:7], exec
	s_waitcnt vmcnt(1)
	v_readfirstlane_b32 s10, v10
	v_readfirstlane_b32 s11, v11
	s_and_b64 s[10:11], s[4:5], s[10:11]
	s_mul_i32 s15, s11, 24
	s_mul_hi_u32 s16, s10, 24
	s_add_i32 s17, s16, s15
	s_mul_i32 s16, s10, 24
	s_waitcnt vmcnt(0)
	v_lshl_add_u64 v[10:11], v[6:7], 0, s[16:17]
	s_and_saveexec_b64 s[16:17], s[0:1]
	s_cbranch_execz .LBB11_830
; %bb.829:
	v_mov_b64_e32 v[12:13], s[6:7]
	v_mov_b32_e32 v14, 2
	v_mov_b32_e32 v15, 1
	global_store_dwordx4 v[10:11], v[12:15], off offset:8
.LBB11_830:
	s_or_b64 exec, exec, s[16:17]
	s_lshl_b64 s[6:7], s[10:11], 12
	v_lshl_add_u64 v[0:1], v[8:9], 0, s[6:7]
	s_movk_i32 s6, 0xff1d
	s_mov_b32 s16, 0
	v_and_or_b32 v2, v2, s6, 34
	v_mov_b32_e32 v4, 58
	v_readfirstlane_b32 s6, v0
	v_readfirstlane_b32 s7, v1
	s_mov_b32 s17, s16
	s_mov_b32 s18, s16
	;; [unrolled: 1-line block ×3, first 2 shown]
	s_nop 1
	global_store_dwordx4 v60, v[2:5], s[6:7]
	v_mov_b64_e32 v[0:1], s[16:17]
	s_nop 0
	v_mov_b64_e32 v[2:3], s[18:19]
	global_store_dwordx4 v60, v[0:3], s[6:7] offset:16
	global_store_dwordx4 v60, v[0:3], s[6:7] offset:32
	;; [unrolled: 1-line block ×3, first 2 shown]
	s_and_saveexec_b64 s[6:7], s[0:1]
	s_cbranch_execz .LBB11_838
; %bb.831:
	v_mov_b32_e32 v8, 0
	global_load_dwordx2 v[14:15], v8, s[44:45] offset:32 sc0 sc1
	global_load_dwordx2 v[0:1], v8, s[44:45] offset:40
	v_mov_b32_e32 v12, s4
	v_mov_b32_e32 v13, s5
	s_waitcnt vmcnt(0)
	v_readfirstlane_b32 s10, v0
	v_readfirstlane_b32 s11, v1
	s_and_b64 s[10:11], s[10:11], s[4:5]
	s_mul_i32 s11, s11, 24
	s_mul_hi_u32 s15, s10, 24
	s_mul_i32 s10, s10, 24
	s_add_i32 s11, s15, s11
	v_lshl_add_u64 v[4:5], v[6:7], 0, s[10:11]
	global_store_dwordx2 v[4:5], v[14:15], off
	buffer_wbl2 sc0 sc1
	s_waitcnt vmcnt(0)
	global_atomic_cmpswap_x2 v[2:3], v8, v[12:15], s[44:45] offset:32 sc0 sc1
	s_waitcnt vmcnt(0)
	v_cmp_ne_u64_e32 vcc, v[2:3], v[14:15]
	s_and_saveexec_b64 s[10:11], vcc
	s_cbranch_execz .LBB11_834
; %bb.832:
	s_mov_b64 s[16:17], 0
.LBB11_833:                             ; =>This Inner Loop Header: Depth=1
	s_sleep 1
	global_store_dwordx2 v[4:5], v[2:3], off
	v_mov_b32_e32 v0, s4
	v_mov_b32_e32 v1, s5
	buffer_wbl2 sc0 sc1
	s_waitcnt vmcnt(0)
	global_atomic_cmpswap_x2 v[0:1], v8, v[0:3], s[44:45] offset:32 sc0 sc1
	s_waitcnt vmcnt(0)
	v_cmp_eq_u64_e32 vcc, v[0:1], v[2:3]
	s_or_b64 s[16:17], vcc, s[16:17]
	v_mov_b64_e32 v[2:3], v[0:1]
	s_andn2_b64 exec, exec, s[16:17]
	s_cbranch_execnz .LBB11_833
.LBB11_834:
	s_or_b64 exec, exec, s[10:11]
	v_mov_b32_e32 v3, 0
	global_load_dwordx2 v[0:1], v3, s[44:45] offset:16
	s_mov_b64 s[10:11], exec
	v_mbcnt_lo_u32_b32 v2, s10, 0
	v_mbcnt_hi_u32_b32 v2, s11, v2
	v_cmp_eq_u32_e32 vcc, 0, v2
	s_and_saveexec_b64 s[16:17], vcc
	s_cbranch_execz .LBB11_836
; %bb.835:
	s_bcnt1_i32_b64 s10, s[10:11]
	v_mov_b32_e32 v2, s10
	buffer_wbl2 sc0 sc1
	s_waitcnt vmcnt(0)
	global_atomic_add_x2 v[0:1], v[2:3], off offset:8 sc1
.LBB11_836:
	s_or_b64 exec, exec, s[16:17]
	s_waitcnt vmcnt(0)
	global_load_dwordx2 v[2:3], v[0:1], off offset:16
	s_waitcnt vmcnt(0)
	v_cmp_eq_u64_e32 vcc, 0, v[2:3]
	s_cbranch_vccnz .LBB11_838
; %bb.837:
	global_load_dword v0, v[0:1], off offset:24
	v_mov_b32_e32 v1, 0
	buffer_wbl2 sc0 sc1
	s_waitcnt vmcnt(0)
	global_store_dwordx2 v[2:3], v[0:1], off sc0 sc1
	v_and_b32_e32 v0, 0xffffff, v0
	s_nop 0
	v_readfirstlane_b32 m0, v0
	s_sendmsg sendmsg(MSG_INTERRUPT)
.LBB11_838:
	s_or_b64 exec, exec, s[6:7]
	s_branch .LBB11_842
.LBB11_839:                             ;   in Loop: Header=BB11_842 Depth=1
	s_or_b64 exec, exec, s[6:7]
	v_readfirstlane_b32 s6, v0
	s_cmp_eq_u32 s6, 0
	s_cbranch_scc1 .LBB11_841
; %bb.840:                              ;   in Loop: Header=BB11_842 Depth=1
	s_sleep 1
	s_cbranch_execnz .LBB11_842
	s_branch .LBB11_844
.LBB11_841:
	s_branch .LBB11_844
.LBB11_842:                             ; =>This Inner Loop Header: Depth=1
	v_mov_b32_e32 v0, 1
	s_and_saveexec_b64 s[6:7], s[0:1]
	s_cbranch_execz .LBB11_839
; %bb.843:                              ;   in Loop: Header=BB11_842 Depth=1
	global_load_dword v0, v[10:11], off offset:20 sc0 sc1
	s_waitcnt vmcnt(0)
	buffer_inv sc0 sc1
	v_and_b32_e32 v0, 1, v0
	s_branch .LBB11_839
.LBB11_844:
	s_and_saveexec_b64 s[6:7], s[0:1]
	s_cbranch_execz .LBB11_847
; %bb.845:
	v_mov_b32_e32 v6, 0
	global_load_dwordx2 v[4:5], v6, s[44:45] offset:40
	global_load_dwordx2 v[8:9], v6, s[44:45] offset:24 sc0 sc1
	global_load_dwordx2 v[10:11], v6, s[44:45]
	s_mov_b64 s[0:1], 0
	s_waitcnt vmcnt(2)
	v_lshl_add_u64 v[0:1], v[4:5], 0, 1
	v_lshl_add_u64 v[12:13], v[0:1], 0, s[4:5]
	v_cmp_eq_u64_e32 vcc, 0, v[12:13]
	s_waitcnt vmcnt(1)
	v_mov_b32_e32 v2, v8
	v_cndmask_b32_e32 v1, v13, v1, vcc
	v_cndmask_b32_e32 v0, v12, v0, vcc
	v_and_b32_e32 v3, v1, v5
	v_and_b32_e32 v4, v0, v4
	v_mul_lo_u32 v3, v3, 24
	v_mul_hi_u32 v5, v4, 24
	v_mul_lo_u32 v4, v4, 24
	v_add_u32_e32 v5, v5, v3
	s_waitcnt vmcnt(0)
	v_lshl_add_u64 v[4:5], v[10:11], 0, v[4:5]
	global_store_dwordx2 v[4:5], v[8:9], off
	v_mov_b32_e32 v3, v9
	buffer_wbl2 sc0 sc1
	s_waitcnt vmcnt(0)
	global_atomic_cmpswap_x2 v[2:3], v6, v[0:3], s[44:45] offset:24 sc0 sc1
	s_waitcnt vmcnt(0)
	v_cmp_ne_u64_e32 vcc, v[2:3], v[8:9]
	s_and_b64 exec, exec, vcc
	s_cbranch_execz .LBB11_847
.LBB11_846:                             ; =>This Inner Loop Header: Depth=1
	s_sleep 1
	global_store_dwordx2 v[4:5], v[2:3], off
	buffer_wbl2 sc0 sc1
	s_waitcnt vmcnt(0)
	global_atomic_cmpswap_x2 v[8:9], v6, v[0:3], s[44:45] offset:24 sc0 sc1
	s_waitcnt vmcnt(0)
	v_cmp_eq_u64_e32 vcc, v[8:9], v[2:3]
	s_or_b64 s[0:1], vcc, s[0:1]
	v_mov_b64_e32 v[2:3], v[8:9]
	s_andn2_b64 exec, exec, s[0:1]
	s_cbranch_execnz .LBB11_846
.LBB11_847:
	s_or_b64 exec, exec, s[6:7]
	v_readfirstlane_b32 s0, v47
	v_mov_b64_e32 v[4:5], 0
	s_nop 0
	v_cmp_eq_u32_e64 s[0:1], s0, v47
	s_and_saveexec_b64 s[4:5], s[0:1]
	s_cbranch_execz .LBB11_853
; %bb.848:
	v_mov_b32_e32 v0, 0
	global_load_dwordx2 v[6:7], v0, s[44:45] offset:24 sc0 sc1
	s_waitcnt vmcnt(0)
	buffer_inv sc0 sc1
	global_load_dwordx2 v[2:3], v0, s[44:45] offset:40
	global_load_dwordx2 v[4:5], v0, s[44:45]
	s_waitcnt vmcnt(1)
	v_and_b32_e32 v1, v2, v6
	v_and_b32_e32 v2, v3, v7
	v_mul_lo_u32 v2, v2, 24
	v_mul_hi_u32 v3, v1, 24
	v_add_u32_e32 v3, v3, v2
	v_mul_lo_u32 v2, v1, 24
	s_waitcnt vmcnt(0)
	v_lshl_add_u64 v[2:3], v[4:5], 0, v[2:3]
	global_load_dwordx2 v[4:5], v[2:3], off sc0 sc1
	s_waitcnt vmcnt(0)
	global_atomic_cmpswap_x2 v[4:5], v0, v[4:7], s[44:45] offset:24 sc0 sc1
	s_waitcnt vmcnt(0)
	buffer_inv sc0 sc1
	v_cmp_ne_u64_e32 vcc, v[4:5], v[6:7]
	s_and_saveexec_b64 s[6:7], vcc
	s_cbranch_execz .LBB11_852
; %bb.849:
	s_mov_b64 s[10:11], 0
.LBB11_850:                             ; =>This Inner Loop Header: Depth=1
	s_sleep 1
	global_load_dwordx2 v[2:3], v0, s[44:45] offset:40
	global_load_dwordx2 v[8:9], v0, s[44:45]
	v_mov_b64_e32 v[6:7], v[4:5]
	s_waitcnt vmcnt(1)
	v_and_b32_e32 v2, v2, v6
	v_and_b32_e32 v1, v3, v7
	s_waitcnt vmcnt(0)
	v_mad_u64_u32 v[2:3], s[16:17], v2, 24, v[8:9]
	v_mov_b32_e32 v4, v3
	v_mad_u64_u32 v[4:5], s[16:17], v1, 24, v[4:5]
	v_mov_b32_e32 v3, v4
	global_load_dwordx2 v[4:5], v[2:3], off sc0 sc1
	s_waitcnt vmcnt(0)
	global_atomic_cmpswap_x2 v[4:5], v0, v[4:7], s[44:45] offset:24 sc0 sc1
	s_waitcnt vmcnt(0)
	buffer_inv sc0 sc1
	v_cmp_eq_u64_e32 vcc, v[4:5], v[6:7]
	s_or_b64 s[10:11], vcc, s[10:11]
	s_andn2_b64 exec, exec, s[10:11]
	s_cbranch_execnz .LBB11_850
; %bb.851:
	s_or_b64 exec, exec, s[10:11]
.LBB11_852:
	s_or_b64 exec, exec, s[6:7]
.LBB11_853:
	s_or_b64 exec, exec, s[4:5]
	v_mov_b32_e32 v61, 0
	global_load_dwordx2 v[6:7], v61, s[44:45] offset:40
	global_load_dwordx4 v[0:3], v61, s[44:45]
	v_readfirstlane_b32 s4, v4
	v_readfirstlane_b32 s5, v5
	s_mov_b64 s[6:7], exec
	s_waitcnt vmcnt(1)
	v_readfirstlane_b32 s10, v6
	v_readfirstlane_b32 s11, v7
	s_and_b64 s[10:11], s[4:5], s[10:11]
	s_mul_i32 s15, s11, 24
	s_mul_hi_u32 s16, s10, 24
	s_add_i32 s17, s16, s15
	s_mul_i32 s16, s10, 24
	s_waitcnt vmcnt(0)
	v_lshl_add_u64 v[4:5], v[0:1], 0, s[16:17]
	s_and_saveexec_b64 s[16:17], s[0:1]
	s_cbranch_execz .LBB11_855
; %bb.854:
	v_mov_b64_e32 v[6:7], s[6:7]
	v_mov_b32_e32 v8, 2
	v_mov_b32_e32 v9, 1
	global_store_dwordx4 v[4:5], v[6:9], off offset:8
.LBB11_855:
	s_or_b64 exec, exec, s[16:17]
	s_lshl_b64 s[6:7], s[10:11], 12
	v_lshl_add_u64 v[6:7], v[2:3], 0, s[6:7]
	s_mov_b32 s16, 0
	v_mov_b32_e32 v8, 33
	v_mov_b32_e32 v9, v61
	;; [unrolled: 1-line block ×4, first 2 shown]
	v_readfirstlane_b32 s6, v6
	v_readfirstlane_b32 s7, v7
	s_mov_b32 s17, s16
	s_mov_b32 s18, s16
	;; [unrolled: 1-line block ×3, first 2 shown]
	s_nop 1
	global_store_dwordx4 v60, v[8:11], s[6:7]
	s_nop 1
	v_mov_b64_e32 v[8:9], s[16:17]
	v_mov_b64_e32 v[10:11], s[18:19]
	global_store_dwordx4 v60, v[8:11], s[6:7] offset:16
	global_store_dwordx4 v60, v[8:11], s[6:7] offset:32
	;; [unrolled: 1-line block ×3, first 2 shown]
	s_and_saveexec_b64 s[6:7], s[0:1]
	s_cbranch_execz .LBB11_863
; %bb.856:
	v_mov_b32_e32 v10, 0
	global_load_dwordx2 v[14:15], v10, s[44:45] offset:32 sc0 sc1
	global_load_dwordx2 v[2:3], v10, s[44:45] offset:40
	v_mov_b32_e32 v12, s4
	v_mov_b32_e32 v13, s5
	s_waitcnt vmcnt(0)
	v_readfirstlane_b32 s10, v2
	v_readfirstlane_b32 s11, v3
	s_and_b64 s[10:11], s[10:11], s[4:5]
	s_mul_i32 s11, s11, 24
	s_mul_hi_u32 s15, s10, 24
	s_mul_i32 s10, s10, 24
	s_add_i32 s11, s15, s11
	v_lshl_add_u64 v[8:9], v[0:1], 0, s[10:11]
	global_store_dwordx2 v[8:9], v[14:15], off
	buffer_wbl2 sc0 sc1
	s_waitcnt vmcnt(0)
	global_atomic_cmpswap_x2 v[2:3], v10, v[12:15], s[44:45] offset:32 sc0 sc1
	s_waitcnt vmcnt(0)
	v_cmp_ne_u64_e32 vcc, v[2:3], v[14:15]
	s_and_saveexec_b64 s[10:11], vcc
	s_cbranch_execz .LBB11_859
; %bb.857:
	s_mov_b64 s[16:17], 0
.LBB11_858:                             ; =>This Inner Loop Header: Depth=1
	s_sleep 1
	global_store_dwordx2 v[8:9], v[2:3], off
	v_mov_b32_e32 v0, s4
	v_mov_b32_e32 v1, s5
	buffer_wbl2 sc0 sc1
	s_waitcnt vmcnt(0)
	global_atomic_cmpswap_x2 v[0:1], v10, v[0:3], s[44:45] offset:32 sc0 sc1
	s_waitcnt vmcnt(0)
	v_cmp_eq_u64_e32 vcc, v[0:1], v[2:3]
	s_or_b64 s[16:17], vcc, s[16:17]
	v_mov_b64_e32 v[2:3], v[0:1]
	s_andn2_b64 exec, exec, s[16:17]
	s_cbranch_execnz .LBB11_858
.LBB11_859:
	s_or_b64 exec, exec, s[10:11]
	v_mov_b32_e32 v3, 0
	global_load_dwordx2 v[0:1], v3, s[44:45] offset:16
	s_mov_b64 s[10:11], exec
	v_mbcnt_lo_u32_b32 v2, s10, 0
	v_mbcnt_hi_u32_b32 v2, s11, v2
	v_cmp_eq_u32_e32 vcc, 0, v2
	s_and_saveexec_b64 s[16:17], vcc
	s_cbranch_execz .LBB11_861
; %bb.860:
	s_bcnt1_i32_b64 s10, s[10:11]
	v_mov_b32_e32 v2, s10
	buffer_wbl2 sc0 sc1
	s_waitcnt vmcnt(0)
	global_atomic_add_x2 v[0:1], v[2:3], off offset:8 sc1
.LBB11_861:
	s_or_b64 exec, exec, s[16:17]
	s_waitcnt vmcnt(0)
	global_load_dwordx2 v[2:3], v[0:1], off offset:16
	s_waitcnt vmcnt(0)
	v_cmp_eq_u64_e32 vcc, 0, v[2:3]
	s_cbranch_vccnz .LBB11_863
; %bb.862:
	global_load_dword v0, v[0:1], off offset:24
	v_mov_b32_e32 v1, 0
	buffer_wbl2 sc0 sc1
	s_waitcnt vmcnt(0)
	global_store_dwordx2 v[2:3], v[0:1], off sc0 sc1
	v_and_b32_e32 v0, 0xffffff, v0
	s_nop 0
	v_readfirstlane_b32 m0, v0
	s_sendmsg sendmsg(MSG_INTERRUPT)
.LBB11_863:
	s_or_b64 exec, exec, s[6:7]
	v_lshl_add_u64 v[0:1], v[6:7], 0, v[60:61]
	s_branch .LBB11_867
.LBB11_864:                             ;   in Loop: Header=BB11_867 Depth=1
	s_or_b64 exec, exec, s[6:7]
	v_readfirstlane_b32 s6, v2
	s_cmp_eq_u32 s6, 0
	s_cbranch_scc1 .LBB11_866
; %bb.865:                              ;   in Loop: Header=BB11_867 Depth=1
	s_sleep 1
	s_cbranch_execnz .LBB11_867
	s_branch .LBB11_869
.LBB11_866:
	s_branch .LBB11_869
.LBB11_867:                             ; =>This Inner Loop Header: Depth=1
	v_mov_b32_e32 v2, 1
	s_and_saveexec_b64 s[6:7], s[0:1]
	s_cbranch_execz .LBB11_864
; %bb.868:                              ;   in Loop: Header=BB11_867 Depth=1
	global_load_dword v2, v[4:5], off offset:20 sc0 sc1
	s_waitcnt vmcnt(0)
	buffer_inv sc0 sc1
	v_and_b32_e32 v2, 1, v2
	s_branch .LBB11_864
.LBB11_869:
	global_load_dwordx2 v[0:1], v[0:1], off
	s_and_saveexec_b64 s[6:7], s[0:1]
	s_cbranch_execz .LBB11_872
; %bb.870:
	v_mov_b32_e32 v8, 0
	global_load_dwordx2 v[6:7], v8, s[44:45] offset:40
	global_load_dwordx2 v[10:11], v8, s[44:45] offset:24 sc0 sc1
	global_load_dwordx2 v[12:13], v8, s[44:45]
	s_mov_b64 s[0:1], 0
	s_waitcnt vmcnt(2)
	v_lshl_add_u64 v[2:3], v[6:7], 0, 1
	v_lshl_add_u64 v[14:15], v[2:3], 0, s[4:5]
	v_cmp_eq_u64_e32 vcc, 0, v[14:15]
	s_waitcnt vmcnt(1)
	v_mov_b32_e32 v4, v10
	v_cndmask_b32_e32 v3, v15, v3, vcc
	v_cndmask_b32_e32 v2, v14, v2, vcc
	v_and_b32_e32 v5, v3, v7
	v_and_b32_e32 v6, v2, v6
	v_mul_lo_u32 v5, v5, 24
	v_mul_hi_u32 v7, v6, 24
	v_mul_lo_u32 v6, v6, 24
	v_add_u32_e32 v7, v7, v5
	s_waitcnt vmcnt(0)
	v_lshl_add_u64 v[6:7], v[12:13], 0, v[6:7]
	global_store_dwordx2 v[6:7], v[10:11], off
	v_mov_b32_e32 v5, v11
	buffer_wbl2 sc0 sc1
	s_waitcnt vmcnt(0)
	global_atomic_cmpswap_x2 v[4:5], v8, v[2:5], s[44:45] offset:24 sc0 sc1
	s_waitcnt vmcnt(0)
	v_cmp_ne_u64_e32 vcc, v[4:5], v[10:11]
	s_and_b64 exec, exec, vcc
	s_cbranch_execz .LBB11_872
.LBB11_871:                             ; =>This Inner Loop Header: Depth=1
	s_sleep 1
	global_store_dwordx2 v[6:7], v[4:5], off
	buffer_wbl2 sc0 sc1
	s_waitcnt vmcnt(0)
	global_atomic_cmpswap_x2 v[10:11], v8, v[2:5], s[44:45] offset:24 sc0 sc1
	s_waitcnt vmcnt(0)
	v_cmp_eq_u64_e32 vcc, v[10:11], v[4:5]
	s_or_b64 s[0:1], vcc, s[0:1]
	v_mov_b64_e32 v[4:5], v[10:11]
	s_andn2_b64 exec, exec, s[0:1]
	s_cbranch_execnz .LBB11_871
.LBB11_872:
	s_or_b64 exec, exec, s[6:7]
	s_getpc_b64 s[4:5]
	s_add_u32 s4, s4, .str.7@rel32@lo+4
	s_addc_u32 s5, s5, .str.7@rel32@hi+12
	s_cmp_lg_u64 s[4:5], 0
	s_cbranch_scc0 .LBB11_957
; %bb.873:
	s_waitcnt vmcnt(0)
	v_and_b32_e32 v28, 2, v0
	v_mov_b32_e32 v31, 0
	v_and_b32_e32 v2, -3, v0
	v_mov_b32_e32 v3, v1
	s_mov_b64 s[6:7], 4
	v_mov_b32_e32 v6, 2
	v_mov_b32_e32 v7, 1
	s_branch .LBB11_875
.LBB11_874:                             ;   in Loop: Header=BB11_875 Depth=1
	s_or_b64 exec, exec, s[18:19]
	s_sub_u32 s6, s6, s10
	s_subb_u32 s7, s7, s11
	s_add_u32 s4, s4, s10
	s_addc_u32 s5, s5, s11
	s_cmp_lg_u64 s[6:7], 0
	s_cbranch_scc0 .LBB11_956
.LBB11_875:                             ; =>This Loop Header: Depth=1
                                        ;     Child Loop BB11_878 Depth 2
                                        ;     Child Loop BB11_885 Depth 2
	;; [unrolled: 1-line block ×11, first 2 shown]
	v_cmp_lt_u64_e64 s[0:1], s[6:7], 56
	s_and_b64 s[0:1], s[0:1], exec
	v_cmp_gt_u64_e64 s[0:1], s[6:7], 7
	s_cselect_b32 s11, s7, 0
	s_cselect_b32 s10, s6, 56
	s_and_b64 vcc, exec, s[0:1]
	s_cbranch_vccnz .LBB11_880
; %bb.876:                              ;   in Loop: Header=BB11_875 Depth=1
	s_mov_b64 s[0:1], 0
	s_cmp_eq_u64 s[6:7], 0
	v_mov_b64_e32 v[10:11], 0
	s_cbranch_scc1 .LBB11_879
; %bb.877:                              ;   in Loop: Header=BB11_875 Depth=1
	s_lshl_b64 s[16:17], s[10:11], 3
	s_mov_b64 s[18:19], 0
	v_mov_b64_e32 v[10:11], 0
	s_mov_b64 s[20:21], s[4:5]
.LBB11_878:                             ;   Parent Loop BB11_875 Depth=1
                                        ; =>  This Inner Loop Header: Depth=2
	global_load_ubyte v4, v31, s[20:21]
	s_waitcnt vmcnt(0)
	v_and_b32_e32 v30, 0xffff, v4
	v_lshlrev_b64 v[4:5], s18, v[30:31]
	s_add_u32 s18, s18, 8
	s_addc_u32 s19, s19, 0
	s_add_u32 s20, s20, 1
	s_addc_u32 s21, s21, 0
	v_or_b32_e32 v10, v4, v10
	s_cmp_lg_u32 s16, s18
	v_or_b32_e32 v11, v5, v11
	s_cbranch_scc1 .LBB11_878
.LBB11_879:                             ;   in Loop: Header=BB11_875 Depth=1
	s_mov_b32 s15, 0
	s_andn2_b64 vcc, exec, s[0:1]
	s_mov_b64 s[0:1], s[4:5]
	s_cbranch_vccz .LBB11_881
	s_branch .LBB11_882
.LBB11_880:                             ;   in Loop: Header=BB11_875 Depth=1
                                        ; implicit-def: $vgpr10_vgpr11
                                        ; implicit-def: $sgpr15
	s_mov_b64 s[0:1], s[4:5]
.LBB11_881:                             ;   in Loop: Header=BB11_875 Depth=1
	global_load_dwordx2 v[10:11], v31, s[4:5]
	s_add_i32 s15, s10, -8
	s_add_u32 s0, s4, 8
	s_addc_u32 s1, s5, 0
.LBB11_882:                             ;   in Loop: Header=BB11_875 Depth=1
	s_cmp_gt_u32 s15, 7
	s_cbranch_scc1 .LBB11_886
; %bb.883:                              ;   in Loop: Header=BB11_875 Depth=1
	s_cmp_eq_u32 s15, 0
	s_cbranch_scc1 .LBB11_887
; %bb.884:                              ;   in Loop: Header=BB11_875 Depth=1
	s_mov_b64 s[16:17], 0
	v_mov_b64_e32 v[12:13], 0
	s_mov_b64 s[18:19], 0
.LBB11_885:                             ;   Parent Loop BB11_875 Depth=1
                                        ; =>  This Inner Loop Header: Depth=2
	s_add_u32 s20, s0, s18
	s_addc_u32 s21, s1, s19
	global_load_ubyte v4, v31, s[20:21]
	s_add_u32 s18, s18, 1
	s_addc_u32 s19, s19, 0
	s_waitcnt vmcnt(0)
	v_and_b32_e32 v30, 0xffff, v4
	v_lshlrev_b64 v[4:5], s16, v[30:31]
	s_add_u32 s16, s16, 8
	s_addc_u32 s17, s17, 0
	v_or_b32_e32 v12, v4, v12
	s_cmp_lg_u32 s15, s18
	v_or_b32_e32 v13, v5, v13
	s_cbranch_scc1 .LBB11_885
	s_branch .LBB11_888
.LBB11_886:                             ;   in Loop: Header=BB11_875 Depth=1
                                        ; implicit-def: $vgpr12_vgpr13
                                        ; implicit-def: $sgpr20
	s_branch .LBB11_889
.LBB11_887:                             ;   in Loop: Header=BB11_875 Depth=1
	v_mov_b64_e32 v[12:13], 0
.LBB11_888:                             ;   in Loop: Header=BB11_875 Depth=1
	s_mov_b32 s20, 0
	s_cbranch_execnz .LBB11_890
.LBB11_889:                             ;   in Loop: Header=BB11_875 Depth=1
	global_load_dwordx2 v[12:13], v31, s[0:1]
	s_add_i32 s20, s15, -8
	s_add_u32 s0, s0, 8
	s_addc_u32 s1, s1, 0
.LBB11_890:                             ;   in Loop: Header=BB11_875 Depth=1
	s_cmp_gt_u32 s20, 7
	s_cbranch_scc1 .LBB11_894
; %bb.891:                              ;   in Loop: Header=BB11_875 Depth=1
	s_cmp_eq_u32 s20, 0
	s_cbranch_scc1 .LBB11_895
; %bb.892:                              ;   in Loop: Header=BB11_875 Depth=1
	s_mov_b64 s[16:17], 0
	v_mov_b64_e32 v[14:15], 0
	s_mov_b64 s[18:19], 0
.LBB11_893:                             ;   Parent Loop BB11_875 Depth=1
                                        ; =>  This Inner Loop Header: Depth=2
	s_add_u32 s22, s0, s18
	s_addc_u32 s23, s1, s19
	global_load_ubyte v4, v31, s[22:23]
	s_add_u32 s18, s18, 1
	s_addc_u32 s19, s19, 0
	s_waitcnt vmcnt(0)
	v_and_b32_e32 v30, 0xffff, v4
	v_lshlrev_b64 v[4:5], s16, v[30:31]
	s_add_u32 s16, s16, 8
	s_addc_u32 s17, s17, 0
	v_or_b32_e32 v14, v4, v14
	s_cmp_lg_u32 s20, s18
	v_or_b32_e32 v15, v5, v15
	s_cbranch_scc1 .LBB11_893
	s_branch .LBB11_896
.LBB11_894:                             ;   in Loop: Header=BB11_875 Depth=1
                                        ; implicit-def: $sgpr15
	s_branch .LBB11_897
.LBB11_895:                             ;   in Loop: Header=BB11_875 Depth=1
	v_mov_b64_e32 v[14:15], 0
.LBB11_896:                             ;   in Loop: Header=BB11_875 Depth=1
	s_mov_b32 s15, 0
	s_cbranch_execnz .LBB11_898
.LBB11_897:                             ;   in Loop: Header=BB11_875 Depth=1
	global_load_dwordx2 v[14:15], v31, s[0:1]
	s_add_i32 s15, s20, -8
	s_add_u32 s0, s0, 8
	s_addc_u32 s1, s1, 0
.LBB11_898:                             ;   in Loop: Header=BB11_875 Depth=1
	s_cmp_gt_u32 s15, 7
	s_cbranch_scc1 .LBB11_902
; %bb.899:                              ;   in Loop: Header=BB11_875 Depth=1
	s_cmp_eq_u32 s15, 0
	s_cbranch_scc1 .LBB11_903
; %bb.900:                              ;   in Loop: Header=BB11_875 Depth=1
	s_mov_b64 s[16:17], 0
	v_mov_b64_e32 v[16:17], 0
	s_mov_b64 s[18:19], 0
.LBB11_901:                             ;   Parent Loop BB11_875 Depth=1
                                        ; =>  This Inner Loop Header: Depth=2
	s_add_u32 s20, s0, s18
	s_addc_u32 s21, s1, s19
	global_load_ubyte v4, v31, s[20:21]
	s_add_u32 s18, s18, 1
	s_addc_u32 s19, s19, 0
	s_waitcnt vmcnt(0)
	v_and_b32_e32 v30, 0xffff, v4
	v_lshlrev_b64 v[4:5], s16, v[30:31]
	s_add_u32 s16, s16, 8
	s_addc_u32 s17, s17, 0
	v_or_b32_e32 v16, v4, v16
	s_cmp_lg_u32 s15, s18
	v_or_b32_e32 v17, v5, v17
	s_cbranch_scc1 .LBB11_901
	s_branch .LBB11_904
.LBB11_902:                             ;   in Loop: Header=BB11_875 Depth=1
                                        ; implicit-def: $vgpr16_vgpr17
                                        ; implicit-def: $sgpr20
	s_branch .LBB11_905
.LBB11_903:                             ;   in Loop: Header=BB11_875 Depth=1
	v_mov_b64_e32 v[16:17], 0
.LBB11_904:                             ;   in Loop: Header=BB11_875 Depth=1
	s_mov_b32 s20, 0
	s_cbranch_execnz .LBB11_906
.LBB11_905:                             ;   in Loop: Header=BB11_875 Depth=1
	global_load_dwordx2 v[16:17], v31, s[0:1]
	s_add_i32 s20, s15, -8
	s_add_u32 s0, s0, 8
	s_addc_u32 s1, s1, 0
.LBB11_906:                             ;   in Loop: Header=BB11_875 Depth=1
	s_cmp_gt_u32 s20, 7
	s_cbranch_scc1 .LBB11_910
; %bb.907:                              ;   in Loop: Header=BB11_875 Depth=1
	s_cmp_eq_u32 s20, 0
	s_cbranch_scc1 .LBB11_911
; %bb.908:                              ;   in Loop: Header=BB11_875 Depth=1
	s_mov_b64 s[16:17], 0
	v_mov_b64_e32 v[18:19], 0
	s_mov_b64 s[18:19], 0
.LBB11_909:                             ;   Parent Loop BB11_875 Depth=1
                                        ; =>  This Inner Loop Header: Depth=2
	s_add_u32 s22, s0, s18
	s_addc_u32 s23, s1, s19
	global_load_ubyte v4, v31, s[22:23]
	s_add_u32 s18, s18, 1
	s_addc_u32 s19, s19, 0
	s_waitcnt vmcnt(0)
	v_and_b32_e32 v30, 0xffff, v4
	v_lshlrev_b64 v[4:5], s16, v[30:31]
	s_add_u32 s16, s16, 8
	s_addc_u32 s17, s17, 0
	v_or_b32_e32 v18, v4, v18
	s_cmp_lg_u32 s20, s18
	v_or_b32_e32 v19, v5, v19
	s_cbranch_scc1 .LBB11_909
	s_branch .LBB11_912
.LBB11_910:                             ;   in Loop: Header=BB11_875 Depth=1
                                        ; implicit-def: $sgpr15
	s_branch .LBB11_913
.LBB11_911:                             ;   in Loop: Header=BB11_875 Depth=1
	v_mov_b64_e32 v[18:19], 0
.LBB11_912:                             ;   in Loop: Header=BB11_875 Depth=1
	s_mov_b32 s15, 0
	s_cbranch_execnz .LBB11_914
.LBB11_913:                             ;   in Loop: Header=BB11_875 Depth=1
	global_load_dwordx2 v[18:19], v31, s[0:1]
	s_add_i32 s15, s20, -8
	s_add_u32 s0, s0, 8
	s_addc_u32 s1, s1, 0
.LBB11_914:                             ;   in Loop: Header=BB11_875 Depth=1
	s_cmp_gt_u32 s15, 7
	s_cbranch_scc1 .LBB11_918
; %bb.915:                              ;   in Loop: Header=BB11_875 Depth=1
	s_cmp_eq_u32 s15, 0
	s_cbranch_scc1 .LBB11_919
; %bb.916:                              ;   in Loop: Header=BB11_875 Depth=1
	s_mov_b64 s[16:17], 0
	v_mov_b64_e32 v[20:21], 0
	s_mov_b64 s[18:19], 0
.LBB11_917:                             ;   Parent Loop BB11_875 Depth=1
                                        ; =>  This Inner Loop Header: Depth=2
	s_add_u32 s20, s0, s18
	s_addc_u32 s21, s1, s19
	global_load_ubyte v4, v31, s[20:21]
	s_add_u32 s18, s18, 1
	s_addc_u32 s19, s19, 0
	s_waitcnt vmcnt(0)
	v_and_b32_e32 v30, 0xffff, v4
	v_lshlrev_b64 v[4:5], s16, v[30:31]
	s_add_u32 s16, s16, 8
	s_addc_u32 s17, s17, 0
	v_or_b32_e32 v20, v4, v20
	s_cmp_lg_u32 s15, s18
	v_or_b32_e32 v21, v5, v21
	s_cbranch_scc1 .LBB11_917
	s_branch .LBB11_920
.LBB11_918:                             ;   in Loop: Header=BB11_875 Depth=1
                                        ; implicit-def: $vgpr20_vgpr21
                                        ; implicit-def: $sgpr20
	s_branch .LBB11_921
.LBB11_919:                             ;   in Loop: Header=BB11_875 Depth=1
	v_mov_b64_e32 v[20:21], 0
.LBB11_920:                             ;   in Loop: Header=BB11_875 Depth=1
	s_mov_b32 s20, 0
	s_cbranch_execnz .LBB11_922
.LBB11_921:                             ;   in Loop: Header=BB11_875 Depth=1
	global_load_dwordx2 v[20:21], v31, s[0:1]
	s_add_i32 s20, s15, -8
	s_add_u32 s0, s0, 8
	s_addc_u32 s1, s1, 0
.LBB11_922:                             ;   in Loop: Header=BB11_875 Depth=1
	s_cmp_gt_u32 s20, 7
	s_cbranch_scc1 .LBB11_926
; %bb.923:                              ;   in Loop: Header=BB11_875 Depth=1
	s_cmp_eq_u32 s20, 0
	s_cbranch_scc1 .LBB11_927
; %bb.924:                              ;   in Loop: Header=BB11_875 Depth=1
	s_mov_b64 s[16:17], 0
	v_mov_b64_e32 v[22:23], 0
	s_mov_b64 s[18:19], s[0:1]
.LBB11_925:                             ;   Parent Loop BB11_875 Depth=1
                                        ; =>  This Inner Loop Header: Depth=2
	global_load_ubyte v4, v31, s[18:19]
	s_add_i32 s20, s20, -1
	s_waitcnt vmcnt(0)
	v_and_b32_e32 v30, 0xffff, v4
	v_lshlrev_b64 v[4:5], s16, v[30:31]
	s_add_u32 s16, s16, 8
	s_addc_u32 s17, s17, 0
	s_add_u32 s18, s18, 1
	s_addc_u32 s19, s19, 0
	v_or_b32_e32 v22, v4, v22
	s_cmp_lg_u32 s20, 0
	v_or_b32_e32 v23, v5, v23
	s_cbranch_scc1 .LBB11_925
	s_branch .LBB11_928
.LBB11_926:                             ;   in Loop: Header=BB11_875 Depth=1
	s_branch .LBB11_929
.LBB11_927:                             ;   in Loop: Header=BB11_875 Depth=1
	v_mov_b64_e32 v[22:23], 0
.LBB11_928:                             ;   in Loop: Header=BB11_875 Depth=1
	s_cbranch_execnz .LBB11_930
.LBB11_929:                             ;   in Loop: Header=BB11_875 Depth=1
	global_load_dwordx2 v[22:23], v31, s[0:1]
.LBB11_930:                             ;   in Loop: Header=BB11_875 Depth=1
	v_readfirstlane_b32 s0, v47
	s_waitcnt vmcnt(0)
	v_mov_b64_e32 v[4:5], 0
	v_cmp_eq_u32_e64 s[0:1], s0, v47
	s_and_saveexec_b64 s[16:17], s[0:1]
	s_cbranch_execz .LBB11_936
; %bb.931:                              ;   in Loop: Header=BB11_875 Depth=1
	global_load_dwordx2 v[26:27], v31, s[44:45] offset:24 sc0 sc1
	s_waitcnt vmcnt(0)
	buffer_inv sc0 sc1
	global_load_dwordx2 v[4:5], v31, s[44:45] offset:40
	global_load_dwordx2 v[8:9], v31, s[44:45]
	s_waitcnt vmcnt(1)
	v_and_b32_e32 v4, v4, v26
	v_and_b32_e32 v5, v5, v27
	v_mul_lo_u32 v5, v5, 24
	v_mul_hi_u32 v24, v4, 24
	v_add_u32_e32 v5, v24, v5
	v_mul_lo_u32 v4, v4, 24
	s_waitcnt vmcnt(0)
	v_lshl_add_u64 v[4:5], v[8:9], 0, v[4:5]
	global_load_dwordx2 v[24:25], v[4:5], off sc0 sc1
	s_waitcnt vmcnt(0)
	global_atomic_cmpswap_x2 v[4:5], v31, v[24:27], s[44:45] offset:24 sc0 sc1
	s_waitcnt vmcnt(0)
	buffer_inv sc0 sc1
	v_cmp_ne_u64_e32 vcc, v[4:5], v[26:27]
	s_and_saveexec_b64 s[18:19], vcc
	s_cbranch_execz .LBB11_935
; %bb.932:                              ;   in Loop: Header=BB11_875 Depth=1
	s_mov_b64 s[20:21], 0
.LBB11_933:                             ;   Parent Loop BB11_875 Depth=1
                                        ; =>  This Inner Loop Header: Depth=2
	s_sleep 1
	global_load_dwordx2 v[8:9], v31, s[44:45] offset:40
	global_load_dwordx2 v[24:25], v31, s[44:45]
	v_mov_b64_e32 v[26:27], v[4:5]
	s_waitcnt vmcnt(1)
	v_and_b32_e32 v4, v8, v26
	s_waitcnt vmcnt(0)
	v_mad_u64_u32 v[4:5], s[22:23], v4, 24, v[24:25]
	v_and_b32_e32 v9, v9, v27
	v_mov_b32_e32 v8, v5
	v_mad_u64_u32 v[8:9], s[22:23], v9, 24, v[8:9]
	v_mov_b32_e32 v5, v8
	global_load_dwordx2 v[24:25], v[4:5], off sc0 sc1
	s_waitcnt vmcnt(0)
	global_atomic_cmpswap_x2 v[4:5], v31, v[24:27], s[44:45] offset:24 sc0 sc1
	s_waitcnt vmcnt(0)
	buffer_inv sc0 sc1
	v_cmp_eq_u64_e32 vcc, v[4:5], v[26:27]
	s_or_b64 s[20:21], vcc, s[20:21]
	s_andn2_b64 exec, exec, s[20:21]
	s_cbranch_execnz .LBB11_933
; %bb.934:                              ;   in Loop: Header=BB11_875 Depth=1
	s_or_b64 exec, exec, s[20:21]
.LBB11_935:                             ;   in Loop: Header=BB11_875 Depth=1
	s_or_b64 exec, exec, s[18:19]
.LBB11_936:                             ;   in Loop: Header=BB11_875 Depth=1
	s_or_b64 exec, exec, s[16:17]
	global_load_dwordx2 v[8:9], v31, s[44:45] offset:40
	global_load_dwordx4 v[24:27], v31, s[44:45]
	v_readfirstlane_b32 s16, v4
	v_readfirstlane_b32 s17, v5
	s_mov_b64 s[18:19], exec
	s_waitcnt vmcnt(1)
	v_readfirstlane_b32 s20, v8
	v_readfirstlane_b32 s21, v9
	s_and_b64 s[20:21], s[16:17], s[20:21]
	s_mul_i32 s15, s21, 24
	s_mul_hi_u32 s22, s20, 24
	s_add_i32 s23, s22, s15
	s_mul_i32 s22, s20, 24
	s_waitcnt vmcnt(0)
	v_lshl_add_u64 v[32:33], v[24:25], 0, s[22:23]
	s_and_saveexec_b64 s[22:23], s[0:1]
	s_cbranch_execz .LBB11_938
; %bb.937:                              ;   in Loop: Header=BB11_875 Depth=1
	v_mov_b64_e32 v[4:5], s[18:19]
	global_store_dwordx4 v[32:33], v[4:7], off offset:8
.LBB11_938:                             ;   in Loop: Header=BB11_875 Depth=1
	s_or_b64 exec, exec, s[22:23]
	s_nop 0
	v_or_b32_e32 v5, v2, v28
	v_cmp_gt_u64_e64 vcc, s[6:7], 56
	s_lshl_b32 s15, s10, 2
	s_lshl_b64 s[18:19], s[20:21], 12
	v_cndmask_b32_e32 v2, v5, v2, vcc
	s_add_i32 s15, s15, 28
	v_lshl_add_u64 v[26:27], v[26:27], 0, s[18:19]
	v_or_b32_e32 v4, 0, v3
	s_and_b32 s15, s15, 0x1e0
	v_and_b32_e32 v2, 0xffffff1f, v2
	v_cndmask_b32_e32 v9, v4, v3, vcc
	v_or_b32_e32 v8, s15, v2
	v_readfirstlane_b32 s18, v26
	v_readfirstlane_b32 s19, v27
	s_nop 4
	global_store_dwordx4 v60, v[8:11], s[18:19]
	global_store_dwordx4 v60, v[12:15], s[18:19] offset:16
	global_store_dwordx4 v60, v[16:19], s[18:19] offset:32
	;; [unrolled: 1-line block ×3, first 2 shown]
	s_and_saveexec_b64 s[18:19], s[0:1]
	s_cbranch_execz .LBB11_946
; %bb.939:                              ;   in Loop: Header=BB11_875 Depth=1
	global_load_dwordx2 v[12:13], v31, s[44:45] offset:32 sc0 sc1
	global_load_dwordx2 v[2:3], v31, s[44:45] offset:40
	v_mov_b32_e32 v10, s16
	v_mov_b32_e32 v11, s17
	s_waitcnt vmcnt(0)
	v_readfirstlane_b32 s20, v2
	v_readfirstlane_b32 s21, v3
	s_and_b64 s[20:21], s[20:21], s[16:17]
	s_mul_i32 s15, s21, 24
	s_mul_hi_u32 s21, s20, 24
	s_mul_i32 s20, s20, 24
	s_add_i32 s21, s21, s15
	v_lshl_add_u64 v[8:9], v[24:25], 0, s[20:21]
	global_store_dwordx2 v[8:9], v[12:13], off
	buffer_wbl2 sc0 sc1
	s_waitcnt vmcnt(0)
	global_atomic_cmpswap_x2 v[4:5], v31, v[10:13], s[44:45] offset:32 sc0 sc1
	s_waitcnt vmcnt(0)
	v_cmp_ne_u64_e32 vcc, v[4:5], v[12:13]
	s_and_saveexec_b64 s[20:21], vcc
	s_cbranch_execz .LBB11_942
; %bb.940:                              ;   in Loop: Header=BB11_875 Depth=1
	s_mov_b64 s[22:23], 0
.LBB11_941:                             ;   Parent Loop BB11_875 Depth=1
                                        ; =>  This Inner Loop Header: Depth=2
	s_sleep 1
	global_store_dwordx2 v[8:9], v[4:5], off
	v_mov_b32_e32 v2, s16
	v_mov_b32_e32 v3, s17
	buffer_wbl2 sc0 sc1
	s_waitcnt vmcnt(0)
	global_atomic_cmpswap_x2 v[2:3], v31, v[2:5], s[44:45] offset:32 sc0 sc1
	s_waitcnt vmcnt(0)
	v_cmp_eq_u64_e32 vcc, v[2:3], v[4:5]
	s_or_b64 s[22:23], vcc, s[22:23]
	v_mov_b64_e32 v[4:5], v[2:3]
	s_andn2_b64 exec, exec, s[22:23]
	s_cbranch_execnz .LBB11_941
.LBB11_942:                             ;   in Loop: Header=BB11_875 Depth=1
	s_or_b64 exec, exec, s[20:21]
	global_load_dwordx2 v[2:3], v31, s[44:45] offset:16
	s_mov_b64 s[22:23], exec
	v_mbcnt_lo_u32_b32 v4, s22, 0
	v_mbcnt_hi_u32_b32 v4, s23, v4
	v_cmp_eq_u32_e32 vcc, 0, v4
	s_and_saveexec_b64 s[20:21], vcc
	s_cbranch_execz .LBB11_944
; %bb.943:                              ;   in Loop: Header=BB11_875 Depth=1
	s_bcnt1_i32_b64 s15, s[22:23]
	v_mov_b32_e32 v30, s15
	buffer_wbl2 sc0 sc1
	s_waitcnt vmcnt(0)
	global_atomic_add_x2 v[2:3], v[30:31], off offset:8 sc1
.LBB11_944:                             ;   in Loop: Header=BB11_875 Depth=1
	s_or_b64 exec, exec, s[20:21]
	s_waitcnt vmcnt(0)
	global_load_dwordx2 v[4:5], v[2:3], off offset:16
	s_waitcnt vmcnt(0)
	v_cmp_eq_u64_e32 vcc, 0, v[4:5]
	s_cbranch_vccnz .LBB11_946
; %bb.945:                              ;   in Loop: Header=BB11_875 Depth=1
	global_load_dword v30, v[2:3], off offset:24
	s_waitcnt vmcnt(0)
	v_and_b32_e32 v2, 0xffffff, v30
	s_nop 0
	v_readfirstlane_b32 m0, v2
	buffer_wbl2 sc0 sc1
	global_store_dwordx2 v[4:5], v[30:31], off sc0 sc1
	s_sendmsg sendmsg(MSG_INTERRUPT)
.LBB11_946:                             ;   in Loop: Header=BB11_875 Depth=1
	s_or_b64 exec, exec, s[18:19]
	v_mov_b32_e32 v61, v31
	v_lshl_add_u64 v[2:3], v[26:27], 0, v[60:61]
	s_branch .LBB11_950
.LBB11_947:                             ;   in Loop: Header=BB11_950 Depth=2
	s_or_b64 exec, exec, s[18:19]
	v_readfirstlane_b32 s15, v4
	s_cmp_eq_u32 s15, 0
	s_cbranch_scc1 .LBB11_949
; %bb.948:                              ;   in Loop: Header=BB11_950 Depth=2
	s_sleep 1
	s_cbranch_execnz .LBB11_950
	s_branch .LBB11_952
.LBB11_949:                             ;   in Loop: Header=BB11_875 Depth=1
	s_branch .LBB11_952
.LBB11_950:                             ;   Parent Loop BB11_875 Depth=1
                                        ; =>  This Inner Loop Header: Depth=2
	v_mov_b32_e32 v4, 1
	s_and_saveexec_b64 s[18:19], s[0:1]
	s_cbranch_execz .LBB11_947
; %bb.951:                              ;   in Loop: Header=BB11_950 Depth=2
	global_load_dword v4, v[32:33], off offset:20 sc0 sc1
	s_waitcnt vmcnt(0)
	buffer_inv sc0 sc1
	v_and_b32_e32 v4, 1, v4
	s_branch .LBB11_947
.LBB11_952:                             ;   in Loop: Header=BB11_875 Depth=1
	global_load_dwordx4 v[2:5], v[2:3], off
	s_and_saveexec_b64 s[18:19], s[0:1]
	s_cbranch_execz .LBB11_874
; %bb.953:                              ;   in Loop: Header=BB11_875 Depth=1
	global_load_dwordx2 v[4:5], v31, s[44:45] offset:40
	global_load_dwordx2 v[12:13], v31, s[44:45] offset:24 sc0 sc1
	global_load_dwordx2 v[14:15], v31, s[44:45]
	s_waitcnt vmcnt(2)
	v_lshl_add_u64 v[8:9], v[4:5], 0, 1
	v_lshl_add_u64 v[16:17], v[8:9], 0, s[16:17]
	v_cmp_eq_u64_e32 vcc, 0, v[16:17]
	s_waitcnt vmcnt(1)
	v_mov_b32_e32 v10, v12
	v_cndmask_b32_e32 v9, v17, v9, vcc
	v_cndmask_b32_e32 v8, v16, v8, vcc
	v_and_b32_e32 v5, v9, v5
	v_and_b32_e32 v4, v8, v4
	v_mul_lo_u32 v5, v5, 24
	v_mul_hi_u32 v11, v4, 24
	v_mul_lo_u32 v4, v4, 24
	v_add_u32_e32 v5, v11, v5
	s_waitcnt vmcnt(0)
	v_lshl_add_u64 v[4:5], v[14:15], 0, v[4:5]
	global_store_dwordx2 v[4:5], v[12:13], off
	v_mov_b32_e32 v11, v13
	buffer_wbl2 sc0 sc1
	s_waitcnt vmcnt(0)
	global_atomic_cmpswap_x2 v[10:11], v31, v[8:11], s[44:45] offset:24 sc0 sc1
	s_waitcnt vmcnt(0)
	v_cmp_ne_u64_e32 vcc, v[10:11], v[12:13]
	s_and_b64 exec, exec, vcc
	s_cbranch_execz .LBB11_874
; %bb.954:                              ;   in Loop: Header=BB11_875 Depth=1
	s_mov_b64 s[0:1], 0
.LBB11_955:                             ;   Parent Loop BB11_875 Depth=1
                                        ; =>  This Inner Loop Header: Depth=2
	s_sleep 1
	global_store_dwordx2 v[4:5], v[10:11], off
	buffer_wbl2 sc0 sc1
	s_waitcnt vmcnt(0)
	global_atomic_cmpswap_x2 v[12:13], v31, v[8:11], s[44:45] offset:24 sc0 sc1
	s_waitcnt vmcnt(0)
	v_cmp_eq_u64_e32 vcc, v[12:13], v[10:11]
	s_or_b64 s[0:1], vcc, s[0:1]
	v_mov_b64_e32 v[10:11], v[12:13]
	s_andn2_b64 exec, exec, s[0:1]
	s_cbranch_execnz .LBB11_955
	s_branch .LBB11_874
.LBB11_956:
	s_branch .LBB11_984
.LBB11_957:
                                        ; implicit-def: $vgpr2_vgpr3
	s_cbranch_execz .LBB11_984
; %bb.958:
	v_readfirstlane_b32 s0, v47
	s_waitcnt vmcnt(0)
	v_mov_b64_e32 v[2:3], 0
	v_cmp_eq_u32_e64 s[0:1], s0, v47
	s_and_saveexec_b64 s[4:5], s[0:1]
	s_cbranch_execz .LBB11_964
; %bb.959:
	v_mov_b32_e32 v4, 0
	global_load_dwordx2 v[8:9], v4, s[44:45] offset:24 sc0 sc1
	s_waitcnt vmcnt(0)
	buffer_inv sc0 sc1
	global_load_dwordx2 v[2:3], v4, s[44:45] offset:40
	global_load_dwordx2 v[6:7], v4, s[44:45]
	s_waitcnt vmcnt(1)
	v_and_b32_e32 v2, v2, v8
	v_and_b32_e32 v3, v3, v9
	v_mul_lo_u32 v3, v3, 24
	v_mul_hi_u32 v5, v2, 24
	v_add_u32_e32 v3, v5, v3
	v_mul_lo_u32 v2, v2, 24
	s_waitcnt vmcnt(0)
	v_lshl_add_u64 v[2:3], v[6:7], 0, v[2:3]
	global_load_dwordx2 v[6:7], v[2:3], off sc0 sc1
	s_waitcnt vmcnt(0)
	global_atomic_cmpswap_x2 v[2:3], v4, v[6:9], s[44:45] offset:24 sc0 sc1
	s_waitcnt vmcnt(0)
	buffer_inv sc0 sc1
	v_cmp_ne_u64_e32 vcc, v[2:3], v[8:9]
	s_and_saveexec_b64 s[6:7], vcc
	s_cbranch_execz .LBB11_963
; %bb.960:
	s_mov_b64 s[10:11], 0
.LBB11_961:                             ; =>This Inner Loop Header: Depth=1
	s_sleep 1
	global_load_dwordx2 v[6:7], v4, s[44:45] offset:40
	global_load_dwordx2 v[10:11], v4, s[44:45]
	v_mov_b64_e32 v[8:9], v[2:3]
	s_waitcnt vmcnt(1)
	v_and_b32_e32 v2, v6, v8
	s_waitcnt vmcnt(0)
	v_mad_u64_u32 v[2:3], s[16:17], v2, 24, v[10:11]
	v_and_b32_e32 v5, v7, v9
	v_mov_b32_e32 v6, v3
	v_mad_u64_u32 v[6:7], s[16:17], v5, 24, v[6:7]
	v_mov_b32_e32 v3, v6
	global_load_dwordx2 v[6:7], v[2:3], off sc0 sc1
	s_waitcnt vmcnt(0)
	global_atomic_cmpswap_x2 v[2:3], v4, v[6:9], s[44:45] offset:24 sc0 sc1
	s_waitcnt vmcnt(0)
	buffer_inv sc0 sc1
	v_cmp_eq_u64_e32 vcc, v[2:3], v[8:9]
	s_or_b64 s[10:11], vcc, s[10:11]
	s_andn2_b64 exec, exec, s[10:11]
	s_cbranch_execnz .LBB11_961
; %bb.962:
	s_or_b64 exec, exec, s[10:11]
.LBB11_963:
	s_or_b64 exec, exec, s[6:7]
.LBB11_964:
	s_or_b64 exec, exec, s[4:5]
	v_mov_b32_e32 v61, 0
	global_load_dwordx2 v[8:9], v61, s[44:45] offset:40
	global_load_dwordx4 v[4:7], v61, s[44:45]
	v_readfirstlane_b32 s4, v2
	v_readfirstlane_b32 s5, v3
	s_mov_b64 s[6:7], exec
	s_waitcnt vmcnt(1)
	v_readfirstlane_b32 s10, v8
	v_readfirstlane_b32 s11, v9
	s_and_b64 s[10:11], s[4:5], s[10:11]
	s_mul_i32 s15, s11, 24
	s_mul_hi_u32 s16, s10, 24
	s_add_i32 s17, s16, s15
	s_mul_i32 s16, s10, 24
	s_waitcnt vmcnt(0)
	v_lshl_add_u64 v[8:9], v[4:5], 0, s[16:17]
	s_and_saveexec_b64 s[16:17], s[0:1]
	s_cbranch_execz .LBB11_966
; %bb.965:
	v_mov_b64_e32 v[10:11], s[6:7]
	v_mov_b32_e32 v12, 2
	v_mov_b32_e32 v13, 1
	global_store_dwordx4 v[8:9], v[10:13], off offset:8
.LBB11_966:
	s_or_b64 exec, exec, s[16:17]
	s_lshl_b64 s[6:7], s[10:11], 12
	v_lshl_add_u64 v[6:7], v[6:7], 0, s[6:7]
	s_movk_i32 s6, 0xff1f
	s_mov_b32 s16, 0
	v_and_or_b32 v0, v0, s6, 32
	v_mov_b32_e32 v2, v61
	v_mov_b32_e32 v3, v61
	v_readfirstlane_b32 s6, v6
	v_readfirstlane_b32 s7, v7
	s_mov_b32 s17, s16
	s_mov_b32 s18, s16
	;; [unrolled: 1-line block ×3, first 2 shown]
	s_nop 1
	global_store_dwordx4 v60, v[0:3], s[6:7]
	s_nop 1
	v_mov_b64_e32 v[0:1], s[16:17]
	v_mov_b64_e32 v[2:3], s[18:19]
	global_store_dwordx4 v60, v[0:3], s[6:7] offset:16
	global_store_dwordx4 v60, v[0:3], s[6:7] offset:32
	;; [unrolled: 1-line block ×3, first 2 shown]
	s_and_saveexec_b64 s[6:7], s[0:1]
	s_cbranch_execz .LBB11_974
; %bb.967:
	v_mov_b32_e32 v10, 0
	global_load_dwordx2 v[14:15], v10, s[44:45] offset:32 sc0 sc1
	global_load_dwordx2 v[0:1], v10, s[44:45] offset:40
	v_mov_b32_e32 v12, s4
	v_mov_b32_e32 v13, s5
	s_waitcnt vmcnt(0)
	v_readfirstlane_b32 s10, v0
	v_readfirstlane_b32 s11, v1
	s_and_b64 s[10:11], s[10:11], s[4:5]
	s_mul_i32 s11, s11, 24
	s_mul_hi_u32 s15, s10, 24
	s_mul_i32 s10, s10, 24
	s_add_i32 s11, s15, s11
	v_lshl_add_u64 v[4:5], v[4:5], 0, s[10:11]
	global_store_dwordx2 v[4:5], v[14:15], off
	buffer_wbl2 sc0 sc1
	s_waitcnt vmcnt(0)
	global_atomic_cmpswap_x2 v[2:3], v10, v[12:15], s[44:45] offset:32 sc0 sc1
	s_waitcnt vmcnt(0)
	v_cmp_ne_u64_e32 vcc, v[2:3], v[14:15]
	s_and_saveexec_b64 s[10:11], vcc
	s_cbranch_execz .LBB11_970
; %bb.968:
	s_mov_b64 s[16:17], 0
.LBB11_969:                             ; =>This Inner Loop Header: Depth=1
	s_sleep 1
	global_store_dwordx2 v[4:5], v[2:3], off
	v_mov_b32_e32 v0, s4
	v_mov_b32_e32 v1, s5
	buffer_wbl2 sc0 sc1
	s_waitcnt vmcnt(0)
	global_atomic_cmpswap_x2 v[0:1], v10, v[0:3], s[44:45] offset:32 sc0 sc1
	s_waitcnt vmcnt(0)
	v_cmp_eq_u64_e32 vcc, v[0:1], v[2:3]
	s_or_b64 s[16:17], vcc, s[16:17]
	v_mov_b64_e32 v[2:3], v[0:1]
	s_andn2_b64 exec, exec, s[16:17]
	s_cbranch_execnz .LBB11_969
.LBB11_970:
	s_or_b64 exec, exec, s[10:11]
	v_mov_b32_e32 v3, 0
	global_load_dwordx2 v[0:1], v3, s[44:45] offset:16
	s_mov_b64 s[10:11], exec
	v_mbcnt_lo_u32_b32 v2, s10, 0
	v_mbcnt_hi_u32_b32 v2, s11, v2
	v_cmp_eq_u32_e32 vcc, 0, v2
	s_and_saveexec_b64 s[16:17], vcc
	s_cbranch_execz .LBB11_972
; %bb.971:
	s_bcnt1_i32_b64 s10, s[10:11]
	v_mov_b32_e32 v2, s10
	buffer_wbl2 sc0 sc1
	s_waitcnt vmcnt(0)
	global_atomic_add_x2 v[0:1], v[2:3], off offset:8 sc1
.LBB11_972:
	s_or_b64 exec, exec, s[16:17]
	s_waitcnt vmcnt(0)
	global_load_dwordx2 v[2:3], v[0:1], off offset:16
	s_waitcnt vmcnt(0)
	v_cmp_eq_u64_e32 vcc, 0, v[2:3]
	s_cbranch_vccnz .LBB11_974
; %bb.973:
	global_load_dword v0, v[0:1], off offset:24
	v_mov_b32_e32 v1, 0
	buffer_wbl2 sc0 sc1
	s_waitcnt vmcnt(0)
	global_store_dwordx2 v[2:3], v[0:1], off sc0 sc1
	v_and_b32_e32 v0, 0xffffff, v0
	s_nop 0
	v_readfirstlane_b32 m0, v0
	s_sendmsg sendmsg(MSG_INTERRUPT)
.LBB11_974:
	s_or_b64 exec, exec, s[6:7]
	v_lshl_add_u64 v[0:1], v[6:7], 0, v[60:61]
	s_branch .LBB11_978
.LBB11_975:                             ;   in Loop: Header=BB11_978 Depth=1
	s_or_b64 exec, exec, s[6:7]
	v_readfirstlane_b32 s6, v2
	s_cmp_eq_u32 s6, 0
	s_cbranch_scc1 .LBB11_977
; %bb.976:                              ;   in Loop: Header=BB11_978 Depth=1
	s_sleep 1
	s_cbranch_execnz .LBB11_978
	s_branch .LBB11_980
.LBB11_977:
	s_branch .LBB11_980
.LBB11_978:                             ; =>This Inner Loop Header: Depth=1
	v_mov_b32_e32 v2, 1
	s_and_saveexec_b64 s[6:7], s[0:1]
	s_cbranch_execz .LBB11_975
; %bb.979:                              ;   in Loop: Header=BB11_978 Depth=1
	global_load_dword v2, v[8:9], off offset:20 sc0 sc1
	s_waitcnt vmcnt(0)
	buffer_inv sc0 sc1
	v_and_b32_e32 v2, 1, v2
	s_branch .LBB11_975
.LBB11_980:
	global_load_dwordx2 v[2:3], v[0:1], off
	s_and_saveexec_b64 s[6:7], s[0:1]
	s_cbranch_execz .LBB11_983
; %bb.981:
	v_mov_b32_e32 v8, 0
	global_load_dwordx2 v[0:1], v8, s[44:45] offset:40
	global_load_dwordx2 v[10:11], v8, s[44:45] offset:24 sc0 sc1
	global_load_dwordx2 v[12:13], v8, s[44:45]
	s_mov_b64 s[0:1], 0
	s_waitcnt vmcnt(2)
	v_lshl_add_u64 v[4:5], v[0:1], 0, 1
	v_lshl_add_u64 v[14:15], v[4:5], 0, s[4:5]
	v_cmp_eq_u64_e32 vcc, 0, v[14:15]
	s_waitcnt vmcnt(1)
	v_mov_b32_e32 v6, v10
	v_cndmask_b32_e32 v5, v15, v5, vcc
	v_cndmask_b32_e32 v4, v14, v4, vcc
	v_and_b32_e32 v1, v5, v1
	v_and_b32_e32 v0, v4, v0
	v_mul_lo_u32 v1, v1, 24
	v_mul_hi_u32 v7, v0, 24
	v_mul_lo_u32 v0, v0, 24
	v_add_u32_e32 v1, v7, v1
	s_waitcnt vmcnt(0)
	v_lshl_add_u64 v[0:1], v[12:13], 0, v[0:1]
	global_store_dwordx2 v[0:1], v[10:11], off
	v_mov_b32_e32 v7, v11
	buffer_wbl2 sc0 sc1
	s_waitcnt vmcnt(0)
	global_atomic_cmpswap_x2 v[6:7], v8, v[4:7], s[44:45] offset:24 sc0 sc1
	s_waitcnt vmcnt(0)
	v_cmp_ne_u64_e32 vcc, v[6:7], v[10:11]
	s_and_b64 exec, exec, vcc
	s_cbranch_execz .LBB11_983
.LBB11_982:                             ; =>This Inner Loop Header: Depth=1
	s_sleep 1
	global_store_dwordx2 v[0:1], v[6:7], off
	buffer_wbl2 sc0 sc1
	s_waitcnt vmcnt(0)
	global_atomic_cmpswap_x2 v[10:11], v8, v[4:7], s[44:45] offset:24 sc0 sc1
	s_waitcnt vmcnt(0)
	v_cmp_eq_u64_e32 vcc, v[10:11], v[6:7]
	s_or_b64 s[0:1], vcc, s[0:1]
	v_mov_b64_e32 v[6:7], v[10:11]
	s_andn2_b64 exec, exec, s[0:1]
	s_cbranch_execnz .LBB11_982
.LBB11_983:
	s_or_b64 exec, exec, s[6:7]
.LBB11_984:
	v_readfirstlane_b32 s0, v47
	s_waitcnt vmcnt(0)
	v_mov_b64_e32 v[0:1], 0
	v_cmp_eq_u32_e64 s[0:1], s0, v47
	s_and_saveexec_b64 s[4:5], s[0:1]
	s_cbranch_execz .LBB11_990
; %bb.985:
	v_mov_b32_e32 v4, 0
	global_load_dwordx2 v[8:9], v4, s[44:45] offset:24 sc0 sc1
	s_waitcnt vmcnt(0)
	buffer_inv sc0 sc1
	global_load_dwordx2 v[0:1], v4, s[44:45] offset:40
	global_load_dwordx2 v[6:7], v4, s[44:45]
	s_waitcnt vmcnt(1)
	v_and_b32_e32 v0, v0, v8
	v_and_b32_e32 v1, v1, v9
	v_mul_lo_u32 v1, v1, 24
	v_mul_hi_u32 v5, v0, 24
	v_add_u32_e32 v1, v5, v1
	v_mul_lo_u32 v0, v0, 24
	s_waitcnt vmcnt(0)
	v_lshl_add_u64 v[0:1], v[6:7], 0, v[0:1]
	global_load_dwordx2 v[6:7], v[0:1], off sc0 sc1
	s_waitcnt vmcnt(0)
	global_atomic_cmpswap_x2 v[0:1], v4, v[6:9], s[44:45] offset:24 sc0 sc1
	s_waitcnt vmcnt(0)
	buffer_inv sc0 sc1
	v_cmp_ne_u64_e32 vcc, v[0:1], v[8:9]
	s_and_saveexec_b64 s[6:7], vcc
	s_cbranch_execz .LBB11_989
; %bb.986:
	s_mov_b64 s[10:11], 0
.LBB11_987:                             ; =>This Inner Loop Header: Depth=1
	s_sleep 1
	global_load_dwordx2 v[6:7], v4, s[44:45] offset:40
	global_load_dwordx2 v[10:11], v4, s[44:45]
	v_mov_b64_e32 v[8:9], v[0:1]
	s_waitcnt vmcnt(1)
	v_and_b32_e32 v0, v6, v8
	s_waitcnt vmcnt(0)
	v_mad_u64_u32 v[0:1], s[16:17], v0, 24, v[10:11]
	v_and_b32_e32 v5, v7, v9
	v_mov_b32_e32 v6, v1
	v_mad_u64_u32 v[6:7], s[16:17], v5, 24, v[6:7]
	v_mov_b32_e32 v1, v6
	global_load_dwordx2 v[6:7], v[0:1], off sc0 sc1
	s_waitcnt vmcnt(0)
	global_atomic_cmpswap_x2 v[0:1], v4, v[6:9], s[44:45] offset:24 sc0 sc1
	s_waitcnt vmcnt(0)
	buffer_inv sc0 sc1
	v_cmp_eq_u64_e32 vcc, v[0:1], v[8:9]
	s_or_b64 s[10:11], vcc, s[10:11]
	s_andn2_b64 exec, exec, s[10:11]
	s_cbranch_execnz .LBB11_987
; %bb.988:
	s_or_b64 exec, exec, s[10:11]
.LBB11_989:
	s_or_b64 exec, exec, s[6:7]
.LBB11_990:
	s_or_b64 exec, exec, s[4:5]
	v_mov_b32_e32 v5, 0
	global_load_dwordx2 v[10:11], v5, s[44:45] offset:40
	global_load_dwordx4 v[6:9], v5, s[44:45]
	v_readfirstlane_b32 s4, v0
	v_readfirstlane_b32 s5, v1
	s_mov_b64 s[6:7], exec
	s_waitcnt vmcnt(1)
	v_readfirstlane_b32 s10, v10
	v_readfirstlane_b32 s11, v11
	s_and_b64 s[10:11], s[4:5], s[10:11]
	s_mul_i32 s15, s11, 24
	s_mul_hi_u32 s16, s10, 24
	s_add_i32 s17, s16, s15
	s_mul_i32 s16, s10, 24
	s_waitcnt vmcnt(0)
	v_lshl_add_u64 v[10:11], v[6:7], 0, s[16:17]
	s_and_saveexec_b64 s[16:17], s[0:1]
	s_cbranch_execz .LBB11_992
; %bb.991:
	v_mov_b64_e32 v[12:13], s[6:7]
	v_mov_b32_e32 v14, 2
	v_mov_b32_e32 v15, 1
	global_store_dwordx4 v[10:11], v[12:15], off offset:8
.LBB11_992:
	s_or_b64 exec, exec, s[16:17]
	s_lshl_b64 s[6:7], s[10:11], 12
	v_lshl_add_u64 v[0:1], v[8:9], 0, s[6:7]
	s_movk_i32 s6, 0xff1d
	s_mov_b32 s16, 0
	v_and_or_b32 v2, v2, s6, 34
	v_mov_b32_e32 v4, 0x43c
	v_readfirstlane_b32 s6, v0
	v_readfirstlane_b32 s7, v1
	s_mov_b32 s17, s16
	s_mov_b32 s18, s16
	;; [unrolled: 1-line block ×3, first 2 shown]
	s_nop 1
	global_store_dwordx4 v60, v[2:5], s[6:7]
	v_mov_b64_e32 v[0:1], s[16:17]
	s_nop 0
	v_mov_b64_e32 v[2:3], s[18:19]
	global_store_dwordx4 v60, v[0:3], s[6:7] offset:16
	global_store_dwordx4 v60, v[0:3], s[6:7] offset:32
	;; [unrolled: 1-line block ×3, first 2 shown]
	s_and_saveexec_b64 s[6:7], s[0:1]
	s_cbranch_execz .LBB11_1000
; %bb.993:
	v_mov_b32_e32 v8, 0
	global_load_dwordx2 v[14:15], v8, s[44:45] offset:32 sc0 sc1
	global_load_dwordx2 v[0:1], v8, s[44:45] offset:40
	v_mov_b32_e32 v12, s4
	v_mov_b32_e32 v13, s5
	s_waitcnt vmcnt(0)
	v_readfirstlane_b32 s10, v0
	v_readfirstlane_b32 s11, v1
	s_and_b64 s[10:11], s[10:11], s[4:5]
	s_mul_i32 s11, s11, 24
	s_mul_hi_u32 s15, s10, 24
	s_mul_i32 s10, s10, 24
	s_add_i32 s11, s15, s11
	v_lshl_add_u64 v[4:5], v[6:7], 0, s[10:11]
	global_store_dwordx2 v[4:5], v[14:15], off
	buffer_wbl2 sc0 sc1
	s_waitcnt vmcnt(0)
	global_atomic_cmpswap_x2 v[2:3], v8, v[12:15], s[44:45] offset:32 sc0 sc1
	s_waitcnt vmcnt(0)
	v_cmp_ne_u64_e32 vcc, v[2:3], v[14:15]
	s_and_saveexec_b64 s[10:11], vcc
	s_cbranch_execz .LBB11_996
; %bb.994:
	s_mov_b64 s[16:17], 0
.LBB11_995:                             ; =>This Inner Loop Header: Depth=1
	s_sleep 1
	global_store_dwordx2 v[4:5], v[2:3], off
	v_mov_b32_e32 v0, s4
	v_mov_b32_e32 v1, s5
	buffer_wbl2 sc0 sc1
	s_waitcnt vmcnt(0)
	global_atomic_cmpswap_x2 v[0:1], v8, v[0:3], s[44:45] offset:32 sc0 sc1
	s_waitcnt vmcnt(0)
	v_cmp_eq_u64_e32 vcc, v[0:1], v[2:3]
	s_or_b64 s[16:17], vcc, s[16:17]
	v_mov_b64_e32 v[2:3], v[0:1]
	s_andn2_b64 exec, exec, s[16:17]
	s_cbranch_execnz .LBB11_995
.LBB11_996:
	s_or_b64 exec, exec, s[10:11]
	v_mov_b32_e32 v3, 0
	global_load_dwordx2 v[0:1], v3, s[44:45] offset:16
	s_mov_b64 s[10:11], exec
	v_mbcnt_lo_u32_b32 v2, s10, 0
	v_mbcnt_hi_u32_b32 v2, s11, v2
	v_cmp_eq_u32_e32 vcc, 0, v2
	s_and_saveexec_b64 s[16:17], vcc
	s_cbranch_execz .LBB11_998
; %bb.997:
	s_bcnt1_i32_b64 s10, s[10:11]
	v_mov_b32_e32 v2, s10
	buffer_wbl2 sc0 sc1
	s_waitcnt vmcnt(0)
	global_atomic_add_x2 v[0:1], v[2:3], off offset:8 sc1
.LBB11_998:
	s_or_b64 exec, exec, s[16:17]
	s_waitcnt vmcnt(0)
	global_load_dwordx2 v[2:3], v[0:1], off offset:16
	s_waitcnt vmcnt(0)
	v_cmp_eq_u64_e32 vcc, 0, v[2:3]
	s_cbranch_vccnz .LBB11_1000
; %bb.999:
	global_load_dword v0, v[0:1], off offset:24
	v_mov_b32_e32 v1, 0
	buffer_wbl2 sc0 sc1
	s_waitcnt vmcnt(0)
	global_store_dwordx2 v[2:3], v[0:1], off sc0 sc1
	v_and_b32_e32 v0, 0xffffff, v0
	s_nop 0
	v_readfirstlane_b32 m0, v0
	s_sendmsg sendmsg(MSG_INTERRUPT)
.LBB11_1000:
	s_or_b64 exec, exec, s[6:7]
	s_branch .LBB11_1004
.LBB11_1001:                            ;   in Loop: Header=BB11_1004 Depth=1
	s_or_b64 exec, exec, s[6:7]
	v_readfirstlane_b32 s6, v0
	s_cmp_eq_u32 s6, 0
	s_cbranch_scc1 .LBB11_1003
; %bb.1002:                             ;   in Loop: Header=BB11_1004 Depth=1
	s_sleep 1
	s_cbranch_execnz .LBB11_1004
	s_branch .LBB11_1006
.LBB11_1003:
	s_branch .LBB11_1006
.LBB11_1004:                            ; =>This Inner Loop Header: Depth=1
	v_mov_b32_e32 v0, 1
	s_and_saveexec_b64 s[6:7], s[0:1]
	s_cbranch_execz .LBB11_1001
; %bb.1005:                             ;   in Loop: Header=BB11_1004 Depth=1
	global_load_dword v0, v[10:11], off offset:20 sc0 sc1
	s_waitcnt vmcnt(0)
	buffer_inv sc0 sc1
	v_and_b32_e32 v0, 1, v0
	s_branch .LBB11_1001
.LBB11_1006:
	s_and_saveexec_b64 s[6:7], s[0:1]
	s_cbranch_execz .LBB11_1009
; %bb.1007:
	v_mov_b32_e32 v6, 0
	global_load_dwordx2 v[4:5], v6, s[44:45] offset:40
	global_load_dwordx2 v[8:9], v6, s[44:45] offset:24 sc0 sc1
	global_load_dwordx2 v[10:11], v6, s[44:45]
	s_mov_b64 s[0:1], 0
	s_waitcnt vmcnt(2)
	v_lshl_add_u64 v[0:1], v[4:5], 0, 1
	v_lshl_add_u64 v[12:13], v[0:1], 0, s[4:5]
	v_cmp_eq_u64_e32 vcc, 0, v[12:13]
	s_waitcnt vmcnt(1)
	v_mov_b32_e32 v2, v8
	v_cndmask_b32_e32 v1, v13, v1, vcc
	v_cndmask_b32_e32 v0, v12, v0, vcc
	v_and_b32_e32 v3, v1, v5
	v_and_b32_e32 v4, v0, v4
	v_mul_lo_u32 v3, v3, 24
	v_mul_hi_u32 v5, v4, 24
	v_mul_lo_u32 v4, v4, 24
	v_add_u32_e32 v5, v5, v3
	s_waitcnt vmcnt(0)
	v_lshl_add_u64 v[4:5], v[10:11], 0, v[4:5]
	global_store_dwordx2 v[4:5], v[8:9], off
	v_mov_b32_e32 v3, v9
	buffer_wbl2 sc0 sc1
	s_waitcnt vmcnt(0)
	global_atomic_cmpswap_x2 v[2:3], v6, v[0:3], s[44:45] offset:24 sc0 sc1
	s_waitcnt vmcnt(0)
	v_cmp_ne_u64_e32 vcc, v[2:3], v[8:9]
	s_and_b64 exec, exec, vcc
	s_cbranch_execz .LBB11_1009
.LBB11_1008:                            ; =>This Inner Loop Header: Depth=1
	s_sleep 1
	global_store_dwordx2 v[4:5], v[2:3], off
	buffer_wbl2 sc0 sc1
	s_waitcnt vmcnt(0)
	global_atomic_cmpswap_x2 v[8:9], v6, v[0:3], s[44:45] offset:24 sc0 sc1
	s_waitcnt vmcnt(0)
	v_cmp_eq_u64_e32 vcc, v[8:9], v[2:3]
	s_or_b64 s[0:1], vcc, s[0:1]
	v_mov_b64_e32 v[2:3], v[8:9]
	s_andn2_b64 exec, exec, s[0:1]
	s_cbranch_execnz .LBB11_1008
.LBB11_1009:
	s_or_b64 exec, exec, s[6:7]
	v_readfirstlane_b32 s0, v47
	v_mov_b64_e32 v[4:5], 0
	s_nop 0
	v_cmp_eq_u32_e64 s[0:1], s0, v47
	s_and_saveexec_b64 s[4:5], s[0:1]
	s_cbranch_execz .LBB11_1015
; %bb.1010:
	v_mov_b32_e32 v0, 0
	global_load_dwordx2 v[6:7], v0, s[44:45] offset:24 sc0 sc1
	s_waitcnt vmcnt(0)
	buffer_inv sc0 sc1
	global_load_dwordx2 v[2:3], v0, s[44:45] offset:40
	global_load_dwordx2 v[4:5], v0, s[44:45]
	s_waitcnt vmcnt(1)
	v_and_b32_e32 v1, v2, v6
	v_and_b32_e32 v2, v3, v7
	v_mul_lo_u32 v2, v2, 24
	v_mul_hi_u32 v3, v1, 24
	v_add_u32_e32 v3, v3, v2
	v_mul_lo_u32 v2, v1, 24
	s_waitcnt vmcnt(0)
	v_lshl_add_u64 v[2:3], v[4:5], 0, v[2:3]
	global_load_dwordx2 v[4:5], v[2:3], off sc0 sc1
	s_waitcnt vmcnt(0)
	global_atomic_cmpswap_x2 v[4:5], v0, v[4:7], s[44:45] offset:24 sc0 sc1
	s_waitcnt vmcnt(0)
	buffer_inv sc0 sc1
	v_cmp_ne_u64_e32 vcc, v[4:5], v[6:7]
	s_and_saveexec_b64 s[6:7], vcc
	s_cbranch_execz .LBB11_1014
; %bb.1011:
	s_mov_b64 s[10:11], 0
.LBB11_1012:                            ; =>This Inner Loop Header: Depth=1
	s_sleep 1
	global_load_dwordx2 v[2:3], v0, s[44:45] offset:40
	global_load_dwordx2 v[8:9], v0, s[44:45]
	v_mov_b64_e32 v[6:7], v[4:5]
	s_waitcnt vmcnt(1)
	v_and_b32_e32 v2, v2, v6
	v_and_b32_e32 v1, v3, v7
	s_waitcnt vmcnt(0)
	v_mad_u64_u32 v[2:3], s[16:17], v2, 24, v[8:9]
	v_mov_b32_e32 v4, v3
	v_mad_u64_u32 v[4:5], s[16:17], v1, 24, v[4:5]
	v_mov_b32_e32 v3, v4
	global_load_dwordx2 v[4:5], v[2:3], off sc0 sc1
	s_waitcnt vmcnt(0)
	global_atomic_cmpswap_x2 v[4:5], v0, v[4:7], s[44:45] offset:24 sc0 sc1
	s_waitcnt vmcnt(0)
	buffer_inv sc0 sc1
	v_cmp_eq_u64_e32 vcc, v[4:5], v[6:7]
	s_or_b64 s[10:11], vcc, s[10:11]
	s_andn2_b64 exec, exec, s[10:11]
	s_cbranch_execnz .LBB11_1012
; %bb.1013:
	s_or_b64 exec, exec, s[10:11]
.LBB11_1014:
	s_or_b64 exec, exec, s[6:7]
.LBB11_1015:
	s_or_b64 exec, exec, s[4:5]
	v_mov_b32_e32 v61, 0
	global_load_dwordx2 v[6:7], v61, s[44:45] offset:40
	global_load_dwordx4 v[0:3], v61, s[44:45]
	v_readfirstlane_b32 s4, v4
	v_readfirstlane_b32 s5, v5
	s_mov_b64 s[6:7], exec
	s_waitcnt vmcnt(1)
	v_readfirstlane_b32 s10, v6
	v_readfirstlane_b32 s11, v7
	s_and_b64 s[10:11], s[4:5], s[10:11]
	s_mul_i32 s15, s11, 24
	s_mul_hi_u32 s16, s10, 24
	s_add_i32 s17, s16, s15
	s_mul_i32 s16, s10, 24
	s_waitcnt vmcnt(0)
	v_lshl_add_u64 v[4:5], v[0:1], 0, s[16:17]
	s_and_saveexec_b64 s[16:17], s[0:1]
	s_cbranch_execz .LBB11_1017
; %bb.1016:
	v_mov_b64_e32 v[6:7], s[6:7]
	v_mov_b32_e32 v8, 2
	v_mov_b32_e32 v9, 1
	global_store_dwordx4 v[4:5], v[6:9], off offset:8
.LBB11_1017:
	s_or_b64 exec, exec, s[16:17]
	s_lshl_b64 s[6:7], s[10:11], 12
	v_lshl_add_u64 v[6:7], v[2:3], 0, s[6:7]
	s_mov_b32 s16, 0
	v_mov_b32_e32 v8, 33
	v_mov_b32_e32 v9, v61
	;; [unrolled: 1-line block ×4, first 2 shown]
	v_readfirstlane_b32 s6, v6
	v_readfirstlane_b32 s7, v7
	s_mov_b32 s17, s16
	s_mov_b32 s18, s16
	s_mov_b32 s19, s16
	s_nop 1
	global_store_dwordx4 v60, v[8:11], s[6:7]
	s_nop 1
	v_mov_b64_e32 v[8:9], s[16:17]
	v_mov_b64_e32 v[10:11], s[18:19]
	global_store_dwordx4 v60, v[8:11], s[6:7] offset:16
	global_store_dwordx4 v60, v[8:11], s[6:7] offset:32
	;; [unrolled: 1-line block ×3, first 2 shown]
	s_and_saveexec_b64 s[6:7], s[0:1]
	s_cbranch_execz .LBB11_1025
; %bb.1018:
	v_mov_b32_e32 v10, 0
	global_load_dwordx2 v[14:15], v10, s[44:45] offset:32 sc0 sc1
	global_load_dwordx2 v[2:3], v10, s[44:45] offset:40
	v_mov_b32_e32 v12, s4
	v_mov_b32_e32 v13, s5
	s_waitcnt vmcnt(0)
	v_readfirstlane_b32 s10, v2
	v_readfirstlane_b32 s11, v3
	s_and_b64 s[10:11], s[10:11], s[4:5]
	s_mul_i32 s11, s11, 24
	s_mul_hi_u32 s15, s10, 24
	s_mul_i32 s10, s10, 24
	s_add_i32 s11, s15, s11
	v_lshl_add_u64 v[8:9], v[0:1], 0, s[10:11]
	global_store_dwordx2 v[8:9], v[14:15], off
	buffer_wbl2 sc0 sc1
	s_waitcnt vmcnt(0)
	global_atomic_cmpswap_x2 v[2:3], v10, v[12:15], s[44:45] offset:32 sc0 sc1
	s_waitcnt vmcnt(0)
	v_cmp_ne_u64_e32 vcc, v[2:3], v[14:15]
	s_and_saveexec_b64 s[10:11], vcc
	s_cbranch_execz .LBB11_1021
; %bb.1019:
	s_mov_b64 s[16:17], 0
.LBB11_1020:                            ; =>This Inner Loop Header: Depth=1
	s_sleep 1
	global_store_dwordx2 v[8:9], v[2:3], off
	v_mov_b32_e32 v0, s4
	v_mov_b32_e32 v1, s5
	buffer_wbl2 sc0 sc1
	s_waitcnt vmcnt(0)
	global_atomic_cmpswap_x2 v[0:1], v10, v[0:3], s[44:45] offset:32 sc0 sc1
	s_waitcnt vmcnt(0)
	v_cmp_eq_u64_e32 vcc, v[0:1], v[2:3]
	s_or_b64 s[16:17], vcc, s[16:17]
	v_mov_b64_e32 v[2:3], v[0:1]
	s_andn2_b64 exec, exec, s[16:17]
	s_cbranch_execnz .LBB11_1020
.LBB11_1021:
	s_or_b64 exec, exec, s[10:11]
	v_mov_b32_e32 v3, 0
	global_load_dwordx2 v[0:1], v3, s[44:45] offset:16
	s_mov_b64 s[10:11], exec
	v_mbcnt_lo_u32_b32 v2, s10, 0
	v_mbcnt_hi_u32_b32 v2, s11, v2
	v_cmp_eq_u32_e32 vcc, 0, v2
	s_and_saveexec_b64 s[16:17], vcc
	s_cbranch_execz .LBB11_1023
; %bb.1022:
	s_bcnt1_i32_b64 s10, s[10:11]
	v_mov_b32_e32 v2, s10
	buffer_wbl2 sc0 sc1
	s_waitcnt vmcnt(0)
	global_atomic_add_x2 v[0:1], v[2:3], off offset:8 sc1
.LBB11_1023:
	s_or_b64 exec, exec, s[16:17]
	s_waitcnt vmcnt(0)
	global_load_dwordx2 v[2:3], v[0:1], off offset:16
	s_waitcnt vmcnt(0)
	v_cmp_eq_u64_e32 vcc, 0, v[2:3]
	s_cbranch_vccnz .LBB11_1025
; %bb.1024:
	global_load_dword v0, v[0:1], off offset:24
	v_mov_b32_e32 v1, 0
	buffer_wbl2 sc0 sc1
	s_waitcnt vmcnt(0)
	global_store_dwordx2 v[2:3], v[0:1], off sc0 sc1
	v_and_b32_e32 v0, 0xffffff, v0
	s_nop 0
	v_readfirstlane_b32 m0, v0
	s_sendmsg sendmsg(MSG_INTERRUPT)
.LBB11_1025:
	s_or_b64 exec, exec, s[6:7]
	v_lshl_add_u64 v[0:1], v[6:7], 0, v[60:61]
	s_branch .LBB11_1029
.LBB11_1026:                            ;   in Loop: Header=BB11_1029 Depth=1
	s_or_b64 exec, exec, s[6:7]
	v_readfirstlane_b32 s6, v2
	s_cmp_eq_u32 s6, 0
	s_cbranch_scc1 .LBB11_1028
; %bb.1027:                             ;   in Loop: Header=BB11_1029 Depth=1
	s_sleep 1
	s_cbranch_execnz .LBB11_1029
	s_branch .LBB11_1031
.LBB11_1028:
	s_branch .LBB11_1031
.LBB11_1029:                            ; =>This Inner Loop Header: Depth=1
	v_mov_b32_e32 v2, 1
	s_and_saveexec_b64 s[6:7], s[0:1]
	s_cbranch_execz .LBB11_1026
; %bb.1030:                             ;   in Loop: Header=BB11_1029 Depth=1
	global_load_dword v2, v[4:5], off offset:20 sc0 sc1
	s_waitcnt vmcnt(0)
	buffer_inv sc0 sc1
	v_and_b32_e32 v2, 1, v2
	s_branch .LBB11_1026
.LBB11_1031:
	global_load_dwordx2 v[0:1], v[0:1], off
	s_and_saveexec_b64 s[6:7], s[0:1]
	s_cbranch_execz .LBB11_1034
; %bb.1032:
	v_mov_b32_e32 v8, 0
	global_load_dwordx2 v[6:7], v8, s[44:45] offset:40
	global_load_dwordx2 v[10:11], v8, s[44:45] offset:24 sc0 sc1
	global_load_dwordx2 v[12:13], v8, s[44:45]
	s_mov_b64 s[0:1], 0
	s_waitcnt vmcnt(2)
	v_lshl_add_u64 v[2:3], v[6:7], 0, 1
	v_lshl_add_u64 v[14:15], v[2:3], 0, s[4:5]
	v_cmp_eq_u64_e32 vcc, 0, v[14:15]
	s_waitcnt vmcnt(1)
	v_mov_b32_e32 v4, v10
	v_cndmask_b32_e32 v3, v15, v3, vcc
	v_cndmask_b32_e32 v2, v14, v2, vcc
	v_and_b32_e32 v5, v3, v7
	v_and_b32_e32 v6, v2, v6
	v_mul_lo_u32 v5, v5, 24
	v_mul_hi_u32 v7, v6, 24
	v_mul_lo_u32 v6, v6, 24
	v_add_u32_e32 v7, v7, v5
	s_waitcnt vmcnt(0)
	v_lshl_add_u64 v[6:7], v[12:13], 0, v[6:7]
	global_store_dwordx2 v[6:7], v[10:11], off
	v_mov_b32_e32 v5, v11
	buffer_wbl2 sc0 sc1
	s_waitcnt vmcnt(0)
	global_atomic_cmpswap_x2 v[4:5], v8, v[2:5], s[44:45] offset:24 sc0 sc1
	s_waitcnt vmcnt(0)
	v_cmp_ne_u64_e32 vcc, v[4:5], v[10:11]
	s_and_b64 exec, exec, vcc
	s_cbranch_execz .LBB11_1034
.LBB11_1033:                            ; =>This Inner Loop Header: Depth=1
	s_sleep 1
	global_store_dwordx2 v[6:7], v[4:5], off
	buffer_wbl2 sc0 sc1
	s_waitcnt vmcnt(0)
	global_atomic_cmpswap_x2 v[10:11], v8, v[2:5], s[44:45] offset:24 sc0 sc1
	s_waitcnt vmcnt(0)
	v_cmp_eq_u64_e32 vcc, v[10:11], v[4:5]
	s_or_b64 s[0:1], vcc, s[0:1]
	v_mov_b64_e32 v[4:5], v[10:11]
	s_andn2_b64 exec, exec, s[0:1]
	s_cbranch_execnz .LBB11_1033
.LBB11_1034:
	s_or_b64 exec, exec, s[6:7]
	s_and_b64 vcc, exec, s[46:47]
	s_cbranch_vccz .LBB11_1119
; %bb.1035:
	s_waitcnt vmcnt(0)
	v_and_b32_e32 v28, 2, v0
	v_mov_b32_e32 v31, 0
	v_and_b32_e32 v2, -3, v0
	v_mov_b32_e32 v3, v1
	s_mov_b64 s[6:7], 3
	v_mov_b32_e32 v6, 2
	v_mov_b32_e32 v7, 1
	s_getpc_b64 s[4:5]
	s_add_u32 s4, s4, .str.6@rel32@lo+4
	s_addc_u32 s5, s5, .str.6@rel32@hi+12
	s_branch .LBB11_1037
.LBB11_1036:                            ;   in Loop: Header=BB11_1037 Depth=1
	s_or_b64 exec, exec, s[18:19]
	s_sub_u32 s6, s6, s10
	s_subb_u32 s7, s7, s11
	s_add_u32 s4, s4, s10
	s_addc_u32 s5, s5, s11
	s_cmp_lg_u64 s[6:7], 0
	s_cbranch_scc0 .LBB11_1118
.LBB11_1037:                            ; =>This Loop Header: Depth=1
                                        ;     Child Loop BB11_1040 Depth 2
                                        ;     Child Loop BB11_1047 Depth 2
	;; [unrolled: 1-line block ×11, first 2 shown]
	v_cmp_lt_u64_e64 s[0:1], s[6:7], 56
	s_and_b64 s[0:1], s[0:1], exec
	v_cmp_gt_u64_e64 s[0:1], s[6:7], 7
	s_cselect_b32 s11, s7, 0
	s_cselect_b32 s10, s6, 56
	s_and_b64 vcc, exec, s[0:1]
	s_cbranch_vccnz .LBB11_1042
; %bb.1038:                             ;   in Loop: Header=BB11_1037 Depth=1
	s_mov_b64 s[0:1], 0
	s_cmp_eq_u64 s[6:7], 0
	v_mov_b64_e32 v[10:11], 0
	s_cbranch_scc1 .LBB11_1041
; %bb.1039:                             ;   in Loop: Header=BB11_1037 Depth=1
	s_lshl_b64 s[16:17], s[10:11], 3
	s_mov_b64 s[18:19], 0
	v_mov_b64_e32 v[10:11], 0
	s_mov_b64 s[20:21], s[4:5]
.LBB11_1040:                            ;   Parent Loop BB11_1037 Depth=1
                                        ; =>  This Inner Loop Header: Depth=2
	global_load_ubyte v4, v31, s[20:21]
	s_waitcnt vmcnt(0)
	v_and_b32_e32 v30, 0xffff, v4
	v_lshlrev_b64 v[4:5], s18, v[30:31]
	s_add_u32 s18, s18, 8
	s_addc_u32 s19, s19, 0
	s_add_u32 s20, s20, 1
	s_addc_u32 s21, s21, 0
	v_or_b32_e32 v10, v4, v10
	s_cmp_lg_u32 s16, s18
	v_or_b32_e32 v11, v5, v11
	s_cbranch_scc1 .LBB11_1040
.LBB11_1041:                            ;   in Loop: Header=BB11_1037 Depth=1
	s_mov_b32 s15, 0
	s_andn2_b64 vcc, exec, s[0:1]
	s_mov_b64 s[0:1], s[4:5]
	s_cbranch_vccz .LBB11_1043
	s_branch .LBB11_1044
.LBB11_1042:                            ;   in Loop: Header=BB11_1037 Depth=1
                                        ; implicit-def: $vgpr10_vgpr11
                                        ; implicit-def: $sgpr15
	s_mov_b64 s[0:1], s[4:5]
.LBB11_1043:                            ;   in Loop: Header=BB11_1037 Depth=1
	global_load_dwordx2 v[10:11], v31, s[4:5]
	s_add_i32 s15, s10, -8
	s_add_u32 s0, s4, 8
	s_addc_u32 s1, s5, 0
.LBB11_1044:                            ;   in Loop: Header=BB11_1037 Depth=1
	s_cmp_gt_u32 s15, 7
	s_cbranch_scc1 .LBB11_1048
; %bb.1045:                             ;   in Loop: Header=BB11_1037 Depth=1
	s_cmp_eq_u32 s15, 0
	s_cbranch_scc1 .LBB11_1049
; %bb.1046:                             ;   in Loop: Header=BB11_1037 Depth=1
	s_mov_b64 s[16:17], 0
	v_mov_b64_e32 v[12:13], 0
	s_mov_b64 s[18:19], 0
.LBB11_1047:                            ;   Parent Loop BB11_1037 Depth=1
                                        ; =>  This Inner Loop Header: Depth=2
	s_add_u32 s20, s0, s18
	s_addc_u32 s21, s1, s19
	global_load_ubyte v4, v31, s[20:21]
	s_add_u32 s18, s18, 1
	s_addc_u32 s19, s19, 0
	s_waitcnt vmcnt(0)
	v_and_b32_e32 v30, 0xffff, v4
	v_lshlrev_b64 v[4:5], s16, v[30:31]
	s_add_u32 s16, s16, 8
	s_addc_u32 s17, s17, 0
	v_or_b32_e32 v12, v4, v12
	s_cmp_lg_u32 s15, s18
	v_or_b32_e32 v13, v5, v13
	s_cbranch_scc1 .LBB11_1047
	s_branch .LBB11_1050
.LBB11_1048:                            ;   in Loop: Header=BB11_1037 Depth=1
                                        ; implicit-def: $vgpr12_vgpr13
                                        ; implicit-def: $sgpr20
	s_branch .LBB11_1051
.LBB11_1049:                            ;   in Loop: Header=BB11_1037 Depth=1
	v_mov_b64_e32 v[12:13], 0
.LBB11_1050:                            ;   in Loop: Header=BB11_1037 Depth=1
	s_mov_b32 s20, 0
	s_cbranch_execnz .LBB11_1052
.LBB11_1051:                            ;   in Loop: Header=BB11_1037 Depth=1
	global_load_dwordx2 v[12:13], v31, s[0:1]
	s_add_i32 s20, s15, -8
	s_add_u32 s0, s0, 8
	s_addc_u32 s1, s1, 0
.LBB11_1052:                            ;   in Loop: Header=BB11_1037 Depth=1
	s_cmp_gt_u32 s20, 7
	s_cbranch_scc1 .LBB11_1056
; %bb.1053:                             ;   in Loop: Header=BB11_1037 Depth=1
	s_cmp_eq_u32 s20, 0
	s_cbranch_scc1 .LBB11_1057
; %bb.1054:                             ;   in Loop: Header=BB11_1037 Depth=1
	s_mov_b64 s[16:17], 0
	v_mov_b64_e32 v[14:15], 0
	s_mov_b64 s[18:19], 0
.LBB11_1055:                            ;   Parent Loop BB11_1037 Depth=1
                                        ; =>  This Inner Loop Header: Depth=2
	s_add_u32 s22, s0, s18
	s_addc_u32 s23, s1, s19
	global_load_ubyte v4, v31, s[22:23]
	s_add_u32 s18, s18, 1
	s_addc_u32 s19, s19, 0
	s_waitcnt vmcnt(0)
	v_and_b32_e32 v30, 0xffff, v4
	v_lshlrev_b64 v[4:5], s16, v[30:31]
	s_add_u32 s16, s16, 8
	s_addc_u32 s17, s17, 0
	v_or_b32_e32 v14, v4, v14
	s_cmp_lg_u32 s20, s18
	v_or_b32_e32 v15, v5, v15
	s_cbranch_scc1 .LBB11_1055
	s_branch .LBB11_1058
.LBB11_1056:                            ;   in Loop: Header=BB11_1037 Depth=1
                                        ; implicit-def: $sgpr15
	s_branch .LBB11_1059
.LBB11_1057:                            ;   in Loop: Header=BB11_1037 Depth=1
	v_mov_b64_e32 v[14:15], 0
.LBB11_1058:                            ;   in Loop: Header=BB11_1037 Depth=1
	s_mov_b32 s15, 0
	s_cbranch_execnz .LBB11_1060
.LBB11_1059:                            ;   in Loop: Header=BB11_1037 Depth=1
	global_load_dwordx2 v[14:15], v31, s[0:1]
	s_add_i32 s15, s20, -8
	s_add_u32 s0, s0, 8
	s_addc_u32 s1, s1, 0
.LBB11_1060:                            ;   in Loop: Header=BB11_1037 Depth=1
	s_cmp_gt_u32 s15, 7
	s_cbranch_scc1 .LBB11_1064
; %bb.1061:                             ;   in Loop: Header=BB11_1037 Depth=1
	s_cmp_eq_u32 s15, 0
	s_cbranch_scc1 .LBB11_1065
; %bb.1062:                             ;   in Loop: Header=BB11_1037 Depth=1
	s_mov_b64 s[16:17], 0
	v_mov_b64_e32 v[16:17], 0
	s_mov_b64 s[18:19], 0
.LBB11_1063:                            ;   Parent Loop BB11_1037 Depth=1
                                        ; =>  This Inner Loop Header: Depth=2
	s_add_u32 s20, s0, s18
	s_addc_u32 s21, s1, s19
	global_load_ubyte v4, v31, s[20:21]
	s_add_u32 s18, s18, 1
	s_addc_u32 s19, s19, 0
	s_waitcnt vmcnt(0)
	v_and_b32_e32 v30, 0xffff, v4
	v_lshlrev_b64 v[4:5], s16, v[30:31]
	s_add_u32 s16, s16, 8
	s_addc_u32 s17, s17, 0
	v_or_b32_e32 v16, v4, v16
	s_cmp_lg_u32 s15, s18
	v_or_b32_e32 v17, v5, v17
	s_cbranch_scc1 .LBB11_1063
	s_branch .LBB11_1066
.LBB11_1064:                            ;   in Loop: Header=BB11_1037 Depth=1
                                        ; implicit-def: $vgpr16_vgpr17
                                        ; implicit-def: $sgpr20
	s_branch .LBB11_1067
.LBB11_1065:                            ;   in Loop: Header=BB11_1037 Depth=1
	v_mov_b64_e32 v[16:17], 0
.LBB11_1066:                            ;   in Loop: Header=BB11_1037 Depth=1
	s_mov_b32 s20, 0
	s_cbranch_execnz .LBB11_1068
.LBB11_1067:                            ;   in Loop: Header=BB11_1037 Depth=1
	global_load_dwordx2 v[16:17], v31, s[0:1]
	s_add_i32 s20, s15, -8
	s_add_u32 s0, s0, 8
	s_addc_u32 s1, s1, 0
.LBB11_1068:                            ;   in Loop: Header=BB11_1037 Depth=1
	s_cmp_gt_u32 s20, 7
	s_cbranch_scc1 .LBB11_1072
; %bb.1069:                             ;   in Loop: Header=BB11_1037 Depth=1
	s_cmp_eq_u32 s20, 0
	s_cbranch_scc1 .LBB11_1073
; %bb.1070:                             ;   in Loop: Header=BB11_1037 Depth=1
	s_mov_b64 s[16:17], 0
	v_mov_b64_e32 v[18:19], 0
	s_mov_b64 s[18:19], 0
.LBB11_1071:                            ;   Parent Loop BB11_1037 Depth=1
                                        ; =>  This Inner Loop Header: Depth=2
	s_add_u32 s22, s0, s18
	s_addc_u32 s23, s1, s19
	global_load_ubyte v4, v31, s[22:23]
	s_add_u32 s18, s18, 1
	s_addc_u32 s19, s19, 0
	s_waitcnt vmcnt(0)
	v_and_b32_e32 v30, 0xffff, v4
	v_lshlrev_b64 v[4:5], s16, v[30:31]
	s_add_u32 s16, s16, 8
	s_addc_u32 s17, s17, 0
	v_or_b32_e32 v18, v4, v18
	s_cmp_lg_u32 s20, s18
	v_or_b32_e32 v19, v5, v19
	s_cbranch_scc1 .LBB11_1071
	s_branch .LBB11_1074
.LBB11_1072:                            ;   in Loop: Header=BB11_1037 Depth=1
                                        ; implicit-def: $sgpr15
	s_branch .LBB11_1075
.LBB11_1073:                            ;   in Loop: Header=BB11_1037 Depth=1
	v_mov_b64_e32 v[18:19], 0
.LBB11_1074:                            ;   in Loop: Header=BB11_1037 Depth=1
	s_mov_b32 s15, 0
	s_cbranch_execnz .LBB11_1076
.LBB11_1075:                            ;   in Loop: Header=BB11_1037 Depth=1
	global_load_dwordx2 v[18:19], v31, s[0:1]
	s_add_i32 s15, s20, -8
	s_add_u32 s0, s0, 8
	s_addc_u32 s1, s1, 0
.LBB11_1076:                            ;   in Loop: Header=BB11_1037 Depth=1
	s_cmp_gt_u32 s15, 7
	s_cbranch_scc1 .LBB11_1080
; %bb.1077:                             ;   in Loop: Header=BB11_1037 Depth=1
	s_cmp_eq_u32 s15, 0
	s_cbranch_scc1 .LBB11_1081
; %bb.1078:                             ;   in Loop: Header=BB11_1037 Depth=1
	s_mov_b64 s[16:17], 0
	v_mov_b64_e32 v[20:21], 0
	s_mov_b64 s[18:19], 0
.LBB11_1079:                            ;   Parent Loop BB11_1037 Depth=1
                                        ; =>  This Inner Loop Header: Depth=2
	s_add_u32 s20, s0, s18
	s_addc_u32 s21, s1, s19
	global_load_ubyte v4, v31, s[20:21]
	s_add_u32 s18, s18, 1
	s_addc_u32 s19, s19, 0
	s_waitcnt vmcnt(0)
	v_and_b32_e32 v30, 0xffff, v4
	v_lshlrev_b64 v[4:5], s16, v[30:31]
	s_add_u32 s16, s16, 8
	s_addc_u32 s17, s17, 0
	v_or_b32_e32 v20, v4, v20
	s_cmp_lg_u32 s15, s18
	v_or_b32_e32 v21, v5, v21
	s_cbranch_scc1 .LBB11_1079
	s_branch .LBB11_1082
.LBB11_1080:                            ;   in Loop: Header=BB11_1037 Depth=1
                                        ; implicit-def: $vgpr20_vgpr21
                                        ; implicit-def: $sgpr20
	s_branch .LBB11_1083
.LBB11_1081:                            ;   in Loop: Header=BB11_1037 Depth=1
	v_mov_b64_e32 v[20:21], 0
.LBB11_1082:                            ;   in Loop: Header=BB11_1037 Depth=1
	s_mov_b32 s20, 0
	s_cbranch_execnz .LBB11_1084
.LBB11_1083:                            ;   in Loop: Header=BB11_1037 Depth=1
	global_load_dwordx2 v[20:21], v31, s[0:1]
	s_add_i32 s20, s15, -8
	s_add_u32 s0, s0, 8
	s_addc_u32 s1, s1, 0
.LBB11_1084:                            ;   in Loop: Header=BB11_1037 Depth=1
	s_cmp_gt_u32 s20, 7
	s_cbranch_scc1 .LBB11_1088
; %bb.1085:                             ;   in Loop: Header=BB11_1037 Depth=1
	s_cmp_eq_u32 s20, 0
	s_cbranch_scc1 .LBB11_1089
; %bb.1086:                             ;   in Loop: Header=BB11_1037 Depth=1
	s_mov_b64 s[16:17], 0
	v_mov_b64_e32 v[22:23], 0
	s_mov_b64 s[18:19], s[0:1]
.LBB11_1087:                            ;   Parent Loop BB11_1037 Depth=1
                                        ; =>  This Inner Loop Header: Depth=2
	global_load_ubyte v4, v31, s[18:19]
	s_add_i32 s20, s20, -1
	s_waitcnt vmcnt(0)
	v_and_b32_e32 v30, 0xffff, v4
	v_lshlrev_b64 v[4:5], s16, v[30:31]
	s_add_u32 s16, s16, 8
	s_addc_u32 s17, s17, 0
	s_add_u32 s18, s18, 1
	s_addc_u32 s19, s19, 0
	v_or_b32_e32 v22, v4, v22
	s_cmp_lg_u32 s20, 0
	v_or_b32_e32 v23, v5, v23
	s_cbranch_scc1 .LBB11_1087
	s_branch .LBB11_1090
.LBB11_1088:                            ;   in Loop: Header=BB11_1037 Depth=1
	s_branch .LBB11_1091
.LBB11_1089:                            ;   in Loop: Header=BB11_1037 Depth=1
	v_mov_b64_e32 v[22:23], 0
.LBB11_1090:                            ;   in Loop: Header=BB11_1037 Depth=1
	s_cbranch_execnz .LBB11_1092
.LBB11_1091:                            ;   in Loop: Header=BB11_1037 Depth=1
	global_load_dwordx2 v[22:23], v31, s[0:1]
.LBB11_1092:                            ;   in Loop: Header=BB11_1037 Depth=1
	v_readfirstlane_b32 s0, v47
	s_waitcnt vmcnt(0)
	v_mov_b64_e32 v[4:5], 0
	v_cmp_eq_u32_e64 s[0:1], s0, v47
	s_and_saveexec_b64 s[16:17], s[0:1]
	s_cbranch_execz .LBB11_1098
; %bb.1093:                             ;   in Loop: Header=BB11_1037 Depth=1
	global_load_dwordx2 v[26:27], v31, s[44:45] offset:24 sc0 sc1
	s_waitcnt vmcnt(0)
	buffer_inv sc0 sc1
	global_load_dwordx2 v[4:5], v31, s[44:45] offset:40
	global_load_dwordx2 v[8:9], v31, s[44:45]
	s_waitcnt vmcnt(1)
	v_and_b32_e32 v4, v4, v26
	v_and_b32_e32 v5, v5, v27
	v_mul_lo_u32 v5, v5, 24
	v_mul_hi_u32 v24, v4, 24
	v_add_u32_e32 v5, v24, v5
	v_mul_lo_u32 v4, v4, 24
	s_waitcnt vmcnt(0)
	v_lshl_add_u64 v[4:5], v[8:9], 0, v[4:5]
	global_load_dwordx2 v[24:25], v[4:5], off sc0 sc1
	s_waitcnt vmcnt(0)
	global_atomic_cmpswap_x2 v[4:5], v31, v[24:27], s[44:45] offset:24 sc0 sc1
	s_waitcnt vmcnt(0)
	buffer_inv sc0 sc1
	v_cmp_ne_u64_e32 vcc, v[4:5], v[26:27]
	s_and_saveexec_b64 s[18:19], vcc
	s_cbranch_execz .LBB11_1097
; %bb.1094:                             ;   in Loop: Header=BB11_1037 Depth=1
	s_mov_b64 s[20:21], 0
.LBB11_1095:                            ;   Parent Loop BB11_1037 Depth=1
                                        ; =>  This Inner Loop Header: Depth=2
	s_sleep 1
	global_load_dwordx2 v[8:9], v31, s[44:45] offset:40
	global_load_dwordx2 v[24:25], v31, s[44:45]
	v_mov_b64_e32 v[26:27], v[4:5]
	s_waitcnt vmcnt(1)
	v_and_b32_e32 v4, v8, v26
	s_waitcnt vmcnt(0)
	v_mad_u64_u32 v[4:5], s[22:23], v4, 24, v[24:25]
	v_and_b32_e32 v9, v9, v27
	v_mov_b32_e32 v8, v5
	v_mad_u64_u32 v[8:9], s[22:23], v9, 24, v[8:9]
	v_mov_b32_e32 v5, v8
	global_load_dwordx2 v[24:25], v[4:5], off sc0 sc1
	s_waitcnt vmcnt(0)
	global_atomic_cmpswap_x2 v[4:5], v31, v[24:27], s[44:45] offset:24 sc0 sc1
	s_waitcnt vmcnt(0)
	buffer_inv sc0 sc1
	v_cmp_eq_u64_e32 vcc, v[4:5], v[26:27]
	s_or_b64 s[20:21], vcc, s[20:21]
	s_andn2_b64 exec, exec, s[20:21]
	s_cbranch_execnz .LBB11_1095
; %bb.1096:                             ;   in Loop: Header=BB11_1037 Depth=1
	s_or_b64 exec, exec, s[20:21]
.LBB11_1097:                            ;   in Loop: Header=BB11_1037 Depth=1
	s_or_b64 exec, exec, s[18:19]
.LBB11_1098:                            ;   in Loop: Header=BB11_1037 Depth=1
	s_or_b64 exec, exec, s[16:17]
	global_load_dwordx2 v[8:9], v31, s[44:45] offset:40
	global_load_dwordx4 v[24:27], v31, s[44:45]
	v_readfirstlane_b32 s16, v4
	v_readfirstlane_b32 s17, v5
	s_mov_b64 s[18:19], exec
	s_waitcnt vmcnt(1)
	v_readfirstlane_b32 s20, v8
	v_readfirstlane_b32 s21, v9
	s_and_b64 s[20:21], s[16:17], s[20:21]
	s_mul_i32 s15, s21, 24
	s_mul_hi_u32 s22, s20, 24
	s_add_i32 s23, s22, s15
	s_mul_i32 s22, s20, 24
	s_waitcnt vmcnt(0)
	v_lshl_add_u64 v[32:33], v[24:25], 0, s[22:23]
	s_and_saveexec_b64 s[22:23], s[0:1]
	s_cbranch_execz .LBB11_1100
; %bb.1099:                             ;   in Loop: Header=BB11_1037 Depth=1
	v_mov_b64_e32 v[4:5], s[18:19]
	global_store_dwordx4 v[32:33], v[4:7], off offset:8
.LBB11_1100:                            ;   in Loop: Header=BB11_1037 Depth=1
	s_or_b64 exec, exec, s[22:23]
	s_nop 0
	v_or_b32_e32 v5, v2, v28
	v_cmp_gt_u64_e64 vcc, s[6:7], 56
	s_lshl_b32 s15, s10, 2
	s_lshl_b64 s[18:19], s[20:21], 12
	v_cndmask_b32_e32 v2, v5, v2, vcc
	s_add_i32 s15, s15, 28
	v_lshl_add_u64 v[26:27], v[26:27], 0, s[18:19]
	v_or_b32_e32 v4, 0, v3
	s_and_b32 s15, s15, 0x1e0
	v_and_b32_e32 v2, 0xffffff1f, v2
	v_cndmask_b32_e32 v9, v4, v3, vcc
	v_or_b32_e32 v8, s15, v2
	v_readfirstlane_b32 s18, v26
	v_readfirstlane_b32 s19, v27
	s_nop 4
	global_store_dwordx4 v60, v[8:11], s[18:19]
	global_store_dwordx4 v60, v[12:15], s[18:19] offset:16
	global_store_dwordx4 v60, v[16:19], s[18:19] offset:32
	;; [unrolled: 1-line block ×3, first 2 shown]
	s_and_saveexec_b64 s[18:19], s[0:1]
	s_cbranch_execz .LBB11_1108
; %bb.1101:                             ;   in Loop: Header=BB11_1037 Depth=1
	global_load_dwordx2 v[12:13], v31, s[44:45] offset:32 sc0 sc1
	global_load_dwordx2 v[2:3], v31, s[44:45] offset:40
	v_mov_b32_e32 v10, s16
	v_mov_b32_e32 v11, s17
	s_waitcnt vmcnt(0)
	v_readfirstlane_b32 s20, v2
	v_readfirstlane_b32 s21, v3
	s_and_b64 s[20:21], s[20:21], s[16:17]
	s_mul_i32 s15, s21, 24
	s_mul_hi_u32 s21, s20, 24
	s_mul_i32 s20, s20, 24
	s_add_i32 s21, s21, s15
	v_lshl_add_u64 v[8:9], v[24:25], 0, s[20:21]
	global_store_dwordx2 v[8:9], v[12:13], off
	buffer_wbl2 sc0 sc1
	s_waitcnt vmcnt(0)
	global_atomic_cmpswap_x2 v[4:5], v31, v[10:13], s[44:45] offset:32 sc0 sc1
	s_waitcnt vmcnt(0)
	v_cmp_ne_u64_e32 vcc, v[4:5], v[12:13]
	s_and_saveexec_b64 s[20:21], vcc
	s_cbranch_execz .LBB11_1104
; %bb.1102:                             ;   in Loop: Header=BB11_1037 Depth=1
	s_mov_b64 s[22:23], 0
.LBB11_1103:                            ;   Parent Loop BB11_1037 Depth=1
                                        ; =>  This Inner Loop Header: Depth=2
	s_sleep 1
	global_store_dwordx2 v[8:9], v[4:5], off
	v_mov_b32_e32 v2, s16
	v_mov_b32_e32 v3, s17
	buffer_wbl2 sc0 sc1
	s_waitcnt vmcnt(0)
	global_atomic_cmpswap_x2 v[2:3], v31, v[2:5], s[44:45] offset:32 sc0 sc1
	s_waitcnt vmcnt(0)
	v_cmp_eq_u64_e32 vcc, v[2:3], v[4:5]
	s_or_b64 s[22:23], vcc, s[22:23]
	v_mov_b64_e32 v[4:5], v[2:3]
	s_andn2_b64 exec, exec, s[22:23]
	s_cbranch_execnz .LBB11_1103
.LBB11_1104:                            ;   in Loop: Header=BB11_1037 Depth=1
	s_or_b64 exec, exec, s[20:21]
	global_load_dwordx2 v[2:3], v31, s[44:45] offset:16
	s_mov_b64 s[22:23], exec
	v_mbcnt_lo_u32_b32 v4, s22, 0
	v_mbcnt_hi_u32_b32 v4, s23, v4
	v_cmp_eq_u32_e32 vcc, 0, v4
	s_and_saveexec_b64 s[20:21], vcc
	s_cbranch_execz .LBB11_1106
; %bb.1105:                             ;   in Loop: Header=BB11_1037 Depth=1
	s_bcnt1_i32_b64 s15, s[22:23]
	v_mov_b32_e32 v30, s15
	buffer_wbl2 sc0 sc1
	s_waitcnt vmcnt(0)
	global_atomic_add_x2 v[2:3], v[30:31], off offset:8 sc1
.LBB11_1106:                            ;   in Loop: Header=BB11_1037 Depth=1
	s_or_b64 exec, exec, s[20:21]
	s_waitcnt vmcnt(0)
	global_load_dwordx2 v[4:5], v[2:3], off offset:16
	s_waitcnt vmcnt(0)
	v_cmp_eq_u64_e32 vcc, 0, v[4:5]
	s_cbranch_vccnz .LBB11_1108
; %bb.1107:                             ;   in Loop: Header=BB11_1037 Depth=1
	global_load_dword v30, v[2:3], off offset:24
	s_waitcnt vmcnt(0)
	v_and_b32_e32 v2, 0xffffff, v30
	s_nop 0
	v_readfirstlane_b32 m0, v2
	buffer_wbl2 sc0 sc1
	global_store_dwordx2 v[4:5], v[30:31], off sc0 sc1
	s_sendmsg sendmsg(MSG_INTERRUPT)
.LBB11_1108:                            ;   in Loop: Header=BB11_1037 Depth=1
	s_or_b64 exec, exec, s[18:19]
	v_mov_b32_e32 v61, v31
	v_lshl_add_u64 v[2:3], v[26:27], 0, v[60:61]
	s_branch .LBB11_1112
.LBB11_1109:                            ;   in Loop: Header=BB11_1112 Depth=2
	s_or_b64 exec, exec, s[18:19]
	v_readfirstlane_b32 s15, v4
	s_cmp_eq_u32 s15, 0
	s_cbranch_scc1 .LBB11_1111
; %bb.1110:                             ;   in Loop: Header=BB11_1112 Depth=2
	s_sleep 1
	s_cbranch_execnz .LBB11_1112
	s_branch .LBB11_1114
.LBB11_1111:                            ;   in Loop: Header=BB11_1037 Depth=1
	s_branch .LBB11_1114
.LBB11_1112:                            ;   Parent Loop BB11_1037 Depth=1
                                        ; =>  This Inner Loop Header: Depth=2
	v_mov_b32_e32 v4, 1
	s_and_saveexec_b64 s[18:19], s[0:1]
	s_cbranch_execz .LBB11_1109
; %bb.1113:                             ;   in Loop: Header=BB11_1112 Depth=2
	global_load_dword v4, v[32:33], off offset:20 sc0 sc1
	s_waitcnt vmcnt(0)
	buffer_inv sc0 sc1
	v_and_b32_e32 v4, 1, v4
	s_branch .LBB11_1109
.LBB11_1114:                            ;   in Loop: Header=BB11_1037 Depth=1
	global_load_dwordx4 v[2:5], v[2:3], off
	s_and_saveexec_b64 s[18:19], s[0:1]
	s_cbranch_execz .LBB11_1036
; %bb.1115:                             ;   in Loop: Header=BB11_1037 Depth=1
	global_load_dwordx2 v[4:5], v31, s[44:45] offset:40
	global_load_dwordx2 v[12:13], v31, s[44:45] offset:24 sc0 sc1
	global_load_dwordx2 v[14:15], v31, s[44:45]
	s_waitcnt vmcnt(2)
	v_lshl_add_u64 v[8:9], v[4:5], 0, 1
	v_lshl_add_u64 v[16:17], v[8:9], 0, s[16:17]
	v_cmp_eq_u64_e32 vcc, 0, v[16:17]
	s_waitcnt vmcnt(1)
	v_mov_b32_e32 v10, v12
	v_cndmask_b32_e32 v9, v17, v9, vcc
	v_cndmask_b32_e32 v8, v16, v8, vcc
	v_and_b32_e32 v5, v9, v5
	v_and_b32_e32 v4, v8, v4
	v_mul_lo_u32 v5, v5, 24
	v_mul_hi_u32 v11, v4, 24
	v_mul_lo_u32 v4, v4, 24
	v_add_u32_e32 v5, v11, v5
	s_waitcnt vmcnt(0)
	v_lshl_add_u64 v[4:5], v[14:15], 0, v[4:5]
	global_store_dwordx2 v[4:5], v[12:13], off
	v_mov_b32_e32 v11, v13
	buffer_wbl2 sc0 sc1
	s_waitcnt vmcnt(0)
	global_atomic_cmpswap_x2 v[10:11], v31, v[8:11], s[44:45] offset:24 sc0 sc1
	s_waitcnt vmcnt(0)
	v_cmp_ne_u64_e32 vcc, v[10:11], v[12:13]
	s_and_b64 exec, exec, vcc
	s_cbranch_execz .LBB11_1036
; %bb.1116:                             ;   in Loop: Header=BB11_1037 Depth=1
	s_mov_b64 s[0:1], 0
.LBB11_1117:                            ;   Parent Loop BB11_1037 Depth=1
                                        ; =>  This Inner Loop Header: Depth=2
	s_sleep 1
	global_store_dwordx2 v[4:5], v[10:11], off
	buffer_wbl2 sc0 sc1
	s_waitcnt vmcnt(0)
	global_atomic_cmpswap_x2 v[12:13], v31, v[8:11], s[44:45] offset:24 sc0 sc1
	s_waitcnt vmcnt(0)
	v_cmp_eq_u64_e32 vcc, v[12:13], v[10:11]
	s_or_b64 s[0:1], vcc, s[0:1]
	v_mov_b64_e32 v[10:11], v[12:13]
	s_andn2_b64 exec, exec, s[0:1]
	s_cbranch_execnz .LBB11_1117
	s_branch .LBB11_1036
.LBB11_1118:
	s_branch .LBB11_1146
.LBB11_1119:
                                        ; implicit-def: $vgpr2_vgpr3
	s_cbranch_execz .LBB11_1146
; %bb.1120:
	v_readfirstlane_b32 s0, v47
	s_waitcnt vmcnt(0)
	v_mov_b64_e32 v[2:3], 0
	v_cmp_eq_u32_e64 s[0:1], s0, v47
	s_and_saveexec_b64 s[4:5], s[0:1]
	s_cbranch_execz .LBB11_1126
; %bb.1121:
	v_mov_b32_e32 v4, 0
	global_load_dwordx2 v[8:9], v4, s[44:45] offset:24 sc0 sc1
	s_waitcnt vmcnt(0)
	buffer_inv sc0 sc1
	global_load_dwordx2 v[2:3], v4, s[44:45] offset:40
	global_load_dwordx2 v[6:7], v4, s[44:45]
	s_waitcnt vmcnt(1)
	v_and_b32_e32 v2, v2, v8
	v_and_b32_e32 v3, v3, v9
	v_mul_lo_u32 v3, v3, 24
	v_mul_hi_u32 v5, v2, 24
	v_add_u32_e32 v3, v5, v3
	v_mul_lo_u32 v2, v2, 24
	s_waitcnt vmcnt(0)
	v_lshl_add_u64 v[2:3], v[6:7], 0, v[2:3]
	global_load_dwordx2 v[6:7], v[2:3], off sc0 sc1
	s_waitcnt vmcnt(0)
	global_atomic_cmpswap_x2 v[2:3], v4, v[6:9], s[44:45] offset:24 sc0 sc1
	s_waitcnt vmcnt(0)
	buffer_inv sc0 sc1
	v_cmp_ne_u64_e32 vcc, v[2:3], v[8:9]
	s_and_saveexec_b64 s[6:7], vcc
	s_cbranch_execz .LBB11_1125
; %bb.1122:
	s_mov_b64 s[10:11], 0
.LBB11_1123:                            ; =>This Inner Loop Header: Depth=1
	s_sleep 1
	global_load_dwordx2 v[6:7], v4, s[44:45] offset:40
	global_load_dwordx2 v[10:11], v4, s[44:45]
	v_mov_b64_e32 v[8:9], v[2:3]
	s_waitcnt vmcnt(1)
	v_and_b32_e32 v2, v6, v8
	s_waitcnt vmcnt(0)
	v_mad_u64_u32 v[2:3], s[16:17], v2, 24, v[10:11]
	v_and_b32_e32 v5, v7, v9
	v_mov_b32_e32 v6, v3
	v_mad_u64_u32 v[6:7], s[16:17], v5, 24, v[6:7]
	v_mov_b32_e32 v3, v6
	global_load_dwordx2 v[6:7], v[2:3], off sc0 sc1
	s_waitcnt vmcnt(0)
	global_atomic_cmpswap_x2 v[2:3], v4, v[6:9], s[44:45] offset:24 sc0 sc1
	s_waitcnt vmcnt(0)
	buffer_inv sc0 sc1
	v_cmp_eq_u64_e32 vcc, v[2:3], v[8:9]
	s_or_b64 s[10:11], vcc, s[10:11]
	s_andn2_b64 exec, exec, s[10:11]
	s_cbranch_execnz .LBB11_1123
; %bb.1124:
	s_or_b64 exec, exec, s[10:11]
.LBB11_1125:
	s_or_b64 exec, exec, s[6:7]
.LBB11_1126:
	s_or_b64 exec, exec, s[4:5]
	v_mov_b32_e32 v61, 0
	global_load_dwordx2 v[8:9], v61, s[44:45] offset:40
	global_load_dwordx4 v[4:7], v61, s[44:45]
	v_readfirstlane_b32 s4, v2
	v_readfirstlane_b32 s5, v3
	s_mov_b64 s[6:7], exec
	s_waitcnt vmcnt(1)
	v_readfirstlane_b32 s10, v8
	v_readfirstlane_b32 s11, v9
	s_and_b64 s[10:11], s[4:5], s[10:11]
	s_mul_i32 s15, s11, 24
	s_mul_hi_u32 s16, s10, 24
	s_add_i32 s17, s16, s15
	s_mul_i32 s16, s10, 24
	s_waitcnt vmcnt(0)
	v_lshl_add_u64 v[8:9], v[4:5], 0, s[16:17]
	s_and_saveexec_b64 s[16:17], s[0:1]
	s_cbranch_execz .LBB11_1128
; %bb.1127:
	v_mov_b64_e32 v[10:11], s[6:7]
	v_mov_b32_e32 v12, 2
	v_mov_b32_e32 v13, 1
	global_store_dwordx4 v[8:9], v[10:13], off offset:8
.LBB11_1128:
	s_or_b64 exec, exec, s[16:17]
	s_lshl_b64 s[6:7], s[10:11], 12
	v_lshl_add_u64 v[6:7], v[6:7], 0, s[6:7]
	s_movk_i32 s6, 0xff1f
	s_mov_b32 s16, 0
	v_and_or_b32 v0, v0, s6, 32
	v_mov_b32_e32 v2, v61
	v_mov_b32_e32 v3, v61
	v_readfirstlane_b32 s6, v6
	v_readfirstlane_b32 s7, v7
	s_mov_b32 s17, s16
	s_mov_b32 s18, s16
	;; [unrolled: 1-line block ×3, first 2 shown]
	s_nop 1
	global_store_dwordx4 v60, v[0:3], s[6:7]
	s_nop 1
	v_mov_b64_e32 v[0:1], s[16:17]
	v_mov_b64_e32 v[2:3], s[18:19]
	global_store_dwordx4 v60, v[0:3], s[6:7] offset:16
	global_store_dwordx4 v60, v[0:3], s[6:7] offset:32
	;; [unrolled: 1-line block ×3, first 2 shown]
	s_and_saveexec_b64 s[6:7], s[0:1]
	s_cbranch_execz .LBB11_1136
; %bb.1129:
	v_mov_b32_e32 v10, 0
	global_load_dwordx2 v[14:15], v10, s[44:45] offset:32 sc0 sc1
	global_load_dwordx2 v[0:1], v10, s[44:45] offset:40
	v_mov_b32_e32 v12, s4
	v_mov_b32_e32 v13, s5
	s_waitcnt vmcnt(0)
	v_readfirstlane_b32 s10, v0
	v_readfirstlane_b32 s11, v1
	s_and_b64 s[10:11], s[10:11], s[4:5]
	s_mul_i32 s11, s11, 24
	s_mul_hi_u32 s15, s10, 24
	s_mul_i32 s10, s10, 24
	s_add_i32 s11, s15, s11
	v_lshl_add_u64 v[4:5], v[4:5], 0, s[10:11]
	global_store_dwordx2 v[4:5], v[14:15], off
	buffer_wbl2 sc0 sc1
	s_waitcnt vmcnt(0)
	global_atomic_cmpswap_x2 v[2:3], v10, v[12:15], s[44:45] offset:32 sc0 sc1
	s_waitcnt vmcnt(0)
	v_cmp_ne_u64_e32 vcc, v[2:3], v[14:15]
	s_and_saveexec_b64 s[10:11], vcc
	s_cbranch_execz .LBB11_1132
; %bb.1130:
	s_mov_b64 s[16:17], 0
.LBB11_1131:                            ; =>This Inner Loop Header: Depth=1
	s_sleep 1
	global_store_dwordx2 v[4:5], v[2:3], off
	v_mov_b32_e32 v0, s4
	v_mov_b32_e32 v1, s5
	buffer_wbl2 sc0 sc1
	s_waitcnt vmcnt(0)
	global_atomic_cmpswap_x2 v[0:1], v10, v[0:3], s[44:45] offset:32 sc0 sc1
	s_waitcnt vmcnt(0)
	v_cmp_eq_u64_e32 vcc, v[0:1], v[2:3]
	s_or_b64 s[16:17], vcc, s[16:17]
	v_mov_b64_e32 v[2:3], v[0:1]
	s_andn2_b64 exec, exec, s[16:17]
	s_cbranch_execnz .LBB11_1131
.LBB11_1132:
	s_or_b64 exec, exec, s[10:11]
	v_mov_b32_e32 v3, 0
	global_load_dwordx2 v[0:1], v3, s[44:45] offset:16
	s_mov_b64 s[10:11], exec
	v_mbcnt_lo_u32_b32 v2, s10, 0
	v_mbcnt_hi_u32_b32 v2, s11, v2
	v_cmp_eq_u32_e32 vcc, 0, v2
	s_and_saveexec_b64 s[16:17], vcc
	s_cbranch_execz .LBB11_1134
; %bb.1133:
	s_bcnt1_i32_b64 s10, s[10:11]
	v_mov_b32_e32 v2, s10
	buffer_wbl2 sc0 sc1
	s_waitcnt vmcnt(0)
	global_atomic_add_x2 v[0:1], v[2:3], off offset:8 sc1
.LBB11_1134:
	s_or_b64 exec, exec, s[16:17]
	s_waitcnt vmcnt(0)
	global_load_dwordx2 v[2:3], v[0:1], off offset:16
	s_waitcnt vmcnt(0)
	v_cmp_eq_u64_e32 vcc, 0, v[2:3]
	s_cbranch_vccnz .LBB11_1136
; %bb.1135:
	global_load_dword v0, v[0:1], off offset:24
	v_mov_b32_e32 v1, 0
	buffer_wbl2 sc0 sc1
	s_waitcnt vmcnt(0)
	global_store_dwordx2 v[2:3], v[0:1], off sc0 sc1
	v_and_b32_e32 v0, 0xffffff, v0
	s_nop 0
	v_readfirstlane_b32 m0, v0
	s_sendmsg sendmsg(MSG_INTERRUPT)
.LBB11_1136:
	s_or_b64 exec, exec, s[6:7]
	v_lshl_add_u64 v[0:1], v[6:7], 0, v[60:61]
	s_branch .LBB11_1140
.LBB11_1137:                            ;   in Loop: Header=BB11_1140 Depth=1
	s_or_b64 exec, exec, s[6:7]
	v_readfirstlane_b32 s6, v2
	s_cmp_eq_u32 s6, 0
	s_cbranch_scc1 .LBB11_1139
; %bb.1138:                             ;   in Loop: Header=BB11_1140 Depth=1
	s_sleep 1
	s_cbranch_execnz .LBB11_1140
	s_branch .LBB11_1142
.LBB11_1139:
	s_branch .LBB11_1142
.LBB11_1140:                            ; =>This Inner Loop Header: Depth=1
	v_mov_b32_e32 v2, 1
	s_and_saveexec_b64 s[6:7], s[0:1]
	s_cbranch_execz .LBB11_1137
; %bb.1141:                             ;   in Loop: Header=BB11_1140 Depth=1
	global_load_dword v2, v[8:9], off offset:20 sc0 sc1
	s_waitcnt vmcnt(0)
	buffer_inv sc0 sc1
	v_and_b32_e32 v2, 1, v2
	s_branch .LBB11_1137
.LBB11_1142:
	global_load_dwordx2 v[2:3], v[0:1], off
	s_and_saveexec_b64 s[6:7], s[0:1]
	s_cbranch_execz .LBB11_1145
; %bb.1143:
	v_mov_b32_e32 v8, 0
	global_load_dwordx2 v[0:1], v8, s[44:45] offset:40
	global_load_dwordx2 v[10:11], v8, s[44:45] offset:24 sc0 sc1
	global_load_dwordx2 v[12:13], v8, s[44:45]
	s_mov_b64 s[0:1], 0
	s_waitcnt vmcnt(2)
	v_lshl_add_u64 v[4:5], v[0:1], 0, 1
	v_lshl_add_u64 v[14:15], v[4:5], 0, s[4:5]
	v_cmp_eq_u64_e32 vcc, 0, v[14:15]
	s_waitcnt vmcnt(1)
	v_mov_b32_e32 v6, v10
	v_cndmask_b32_e32 v5, v15, v5, vcc
	v_cndmask_b32_e32 v4, v14, v4, vcc
	v_and_b32_e32 v1, v5, v1
	v_and_b32_e32 v0, v4, v0
	v_mul_lo_u32 v1, v1, 24
	v_mul_hi_u32 v7, v0, 24
	v_mul_lo_u32 v0, v0, 24
	v_add_u32_e32 v1, v7, v1
	s_waitcnt vmcnt(0)
	v_lshl_add_u64 v[0:1], v[12:13], 0, v[0:1]
	global_store_dwordx2 v[0:1], v[10:11], off
	v_mov_b32_e32 v7, v11
	buffer_wbl2 sc0 sc1
	s_waitcnt vmcnt(0)
	global_atomic_cmpswap_x2 v[6:7], v8, v[4:7], s[44:45] offset:24 sc0 sc1
	s_waitcnt vmcnt(0)
	v_cmp_ne_u64_e32 vcc, v[6:7], v[10:11]
	s_and_b64 exec, exec, vcc
	s_cbranch_execz .LBB11_1145
.LBB11_1144:                            ; =>This Inner Loop Header: Depth=1
	s_sleep 1
	global_store_dwordx2 v[0:1], v[6:7], off
	buffer_wbl2 sc0 sc1
	s_waitcnt vmcnt(0)
	global_atomic_cmpswap_x2 v[10:11], v8, v[4:7], s[44:45] offset:24 sc0 sc1
	s_waitcnt vmcnt(0)
	v_cmp_eq_u64_e32 vcc, v[10:11], v[6:7]
	s_or_b64 s[0:1], vcc, s[0:1]
	v_mov_b64_e32 v[6:7], v[10:11]
	s_andn2_b64 exec, exec, s[0:1]
	s_cbranch_execnz .LBB11_1144
.LBB11_1145:
	s_or_b64 exec, exec, s[6:7]
.LBB11_1146:
	v_readfirstlane_b32 s0, v47
	s_waitcnt vmcnt(0)
	v_mov_b64_e32 v[0:1], 0
	v_cmp_eq_u32_e64 s[0:1], s0, v47
	s_and_saveexec_b64 s[4:5], s[0:1]
	s_cbranch_execz .LBB11_1152
; %bb.1147:
	v_mov_b32_e32 v4, 0
	global_load_dwordx2 v[8:9], v4, s[44:45] offset:24 sc0 sc1
	s_waitcnt vmcnt(0)
	buffer_inv sc0 sc1
	global_load_dwordx2 v[0:1], v4, s[44:45] offset:40
	global_load_dwordx2 v[6:7], v4, s[44:45]
	s_waitcnt vmcnt(1)
	v_and_b32_e32 v0, v0, v8
	v_and_b32_e32 v1, v1, v9
	v_mul_lo_u32 v1, v1, 24
	v_mul_hi_u32 v5, v0, 24
	v_add_u32_e32 v1, v5, v1
	v_mul_lo_u32 v0, v0, 24
	s_waitcnt vmcnt(0)
	v_lshl_add_u64 v[0:1], v[6:7], 0, v[0:1]
	global_load_dwordx2 v[6:7], v[0:1], off sc0 sc1
	s_waitcnt vmcnt(0)
	global_atomic_cmpswap_x2 v[0:1], v4, v[6:9], s[44:45] offset:24 sc0 sc1
	s_waitcnt vmcnt(0)
	buffer_inv sc0 sc1
	v_cmp_ne_u64_e32 vcc, v[0:1], v[8:9]
	s_and_saveexec_b64 s[6:7], vcc
	s_cbranch_execz .LBB11_1151
; %bb.1148:
	s_mov_b64 s[10:11], 0
.LBB11_1149:                            ; =>This Inner Loop Header: Depth=1
	s_sleep 1
	global_load_dwordx2 v[6:7], v4, s[44:45] offset:40
	global_load_dwordx2 v[10:11], v4, s[44:45]
	v_mov_b64_e32 v[8:9], v[0:1]
	s_waitcnt vmcnt(1)
	v_and_b32_e32 v0, v6, v8
	s_waitcnt vmcnt(0)
	v_mad_u64_u32 v[0:1], s[16:17], v0, 24, v[10:11]
	v_and_b32_e32 v5, v7, v9
	v_mov_b32_e32 v6, v1
	v_mad_u64_u32 v[6:7], s[16:17], v5, 24, v[6:7]
	v_mov_b32_e32 v1, v6
	global_load_dwordx2 v[6:7], v[0:1], off sc0 sc1
	s_waitcnt vmcnt(0)
	global_atomic_cmpswap_x2 v[0:1], v4, v[6:9], s[44:45] offset:24 sc0 sc1
	s_waitcnt vmcnt(0)
	buffer_inv sc0 sc1
	v_cmp_eq_u64_e32 vcc, v[0:1], v[8:9]
	s_or_b64 s[10:11], vcc, s[10:11]
	s_andn2_b64 exec, exec, s[10:11]
	s_cbranch_execnz .LBB11_1149
; %bb.1150:
	s_or_b64 exec, exec, s[10:11]
.LBB11_1151:
	s_or_b64 exec, exec, s[6:7]
.LBB11_1152:
	s_or_b64 exec, exec, s[4:5]
	v_mov_b32_e32 v5, 0
	global_load_dwordx2 v[10:11], v5, s[44:45] offset:40
	global_load_dwordx4 v[6:9], v5, s[44:45]
	v_readfirstlane_b32 s4, v0
	v_readfirstlane_b32 s5, v1
	s_mov_b64 s[6:7], exec
	s_waitcnt vmcnt(1)
	v_readfirstlane_b32 s10, v10
	v_readfirstlane_b32 s11, v11
	s_and_b64 s[10:11], s[4:5], s[10:11]
	s_mul_i32 s15, s11, 24
	s_mul_hi_u32 s16, s10, 24
	s_add_i32 s17, s16, s15
	s_mul_i32 s16, s10, 24
	s_waitcnt vmcnt(0)
	v_lshl_add_u64 v[10:11], v[6:7], 0, s[16:17]
	s_and_saveexec_b64 s[16:17], s[0:1]
	s_cbranch_execz .LBB11_1154
; %bb.1153:
	v_mov_b64_e32 v[12:13], s[6:7]
	v_mov_b32_e32 v14, 2
	v_mov_b32_e32 v15, 1
	global_store_dwordx4 v[10:11], v[12:15], off offset:8
.LBB11_1154:
	s_or_b64 exec, exec, s[16:17]
	s_lshl_b64 s[6:7], s[10:11], 12
	v_lshl_add_u64 v[0:1], v[8:9], 0, s[6:7]
	s_movk_i32 s6, 0xff1d
	s_mov_b32 s16, 0
	v_and_or_b32 v2, v2, s6, 34
	v_mov_b32_e32 v4, 58
	v_readfirstlane_b32 s6, v0
	v_readfirstlane_b32 s7, v1
	s_mov_b32 s17, s16
	s_mov_b32 s18, s16
	;; [unrolled: 1-line block ×3, first 2 shown]
	s_nop 1
	global_store_dwordx4 v60, v[2:5], s[6:7]
	v_mov_b64_e32 v[0:1], s[16:17]
	s_nop 0
	v_mov_b64_e32 v[2:3], s[18:19]
	global_store_dwordx4 v60, v[0:3], s[6:7] offset:16
	global_store_dwordx4 v60, v[0:3], s[6:7] offset:32
	;; [unrolled: 1-line block ×3, first 2 shown]
	s_and_saveexec_b64 s[6:7], s[0:1]
	s_cbranch_execz .LBB11_1162
; %bb.1155:
	v_mov_b32_e32 v8, 0
	global_load_dwordx2 v[14:15], v8, s[44:45] offset:32 sc0 sc1
	global_load_dwordx2 v[0:1], v8, s[44:45] offset:40
	v_mov_b32_e32 v12, s4
	v_mov_b32_e32 v13, s5
	s_waitcnt vmcnt(0)
	v_readfirstlane_b32 s10, v0
	v_readfirstlane_b32 s11, v1
	s_and_b64 s[10:11], s[10:11], s[4:5]
	s_mul_i32 s11, s11, 24
	s_mul_hi_u32 s15, s10, 24
	s_mul_i32 s10, s10, 24
	s_add_i32 s11, s15, s11
	v_lshl_add_u64 v[4:5], v[6:7], 0, s[10:11]
	global_store_dwordx2 v[4:5], v[14:15], off
	buffer_wbl2 sc0 sc1
	s_waitcnt vmcnt(0)
	global_atomic_cmpswap_x2 v[2:3], v8, v[12:15], s[44:45] offset:32 sc0 sc1
	s_waitcnt vmcnt(0)
	v_cmp_ne_u64_e32 vcc, v[2:3], v[14:15]
	s_and_saveexec_b64 s[10:11], vcc
	s_cbranch_execz .LBB11_1158
; %bb.1156:
	s_mov_b64 s[16:17], 0
.LBB11_1157:                            ; =>This Inner Loop Header: Depth=1
	s_sleep 1
	global_store_dwordx2 v[4:5], v[2:3], off
	v_mov_b32_e32 v0, s4
	v_mov_b32_e32 v1, s5
	buffer_wbl2 sc0 sc1
	s_waitcnt vmcnt(0)
	global_atomic_cmpswap_x2 v[0:1], v8, v[0:3], s[44:45] offset:32 sc0 sc1
	s_waitcnt vmcnt(0)
	v_cmp_eq_u64_e32 vcc, v[0:1], v[2:3]
	s_or_b64 s[16:17], vcc, s[16:17]
	v_mov_b64_e32 v[2:3], v[0:1]
	s_andn2_b64 exec, exec, s[16:17]
	s_cbranch_execnz .LBB11_1157
.LBB11_1158:
	s_or_b64 exec, exec, s[10:11]
	v_mov_b32_e32 v3, 0
	global_load_dwordx2 v[0:1], v3, s[44:45] offset:16
	s_mov_b64 s[10:11], exec
	v_mbcnt_lo_u32_b32 v2, s10, 0
	v_mbcnt_hi_u32_b32 v2, s11, v2
	v_cmp_eq_u32_e32 vcc, 0, v2
	s_and_saveexec_b64 s[16:17], vcc
	s_cbranch_execz .LBB11_1160
; %bb.1159:
	s_bcnt1_i32_b64 s10, s[10:11]
	v_mov_b32_e32 v2, s10
	buffer_wbl2 sc0 sc1
	s_waitcnt vmcnt(0)
	global_atomic_add_x2 v[0:1], v[2:3], off offset:8 sc1
.LBB11_1160:
	s_or_b64 exec, exec, s[16:17]
	s_waitcnt vmcnt(0)
	global_load_dwordx2 v[2:3], v[0:1], off offset:16
	s_waitcnt vmcnt(0)
	v_cmp_eq_u64_e32 vcc, 0, v[2:3]
	s_cbranch_vccnz .LBB11_1162
; %bb.1161:
	global_load_dword v0, v[0:1], off offset:24
	v_mov_b32_e32 v1, 0
	buffer_wbl2 sc0 sc1
	s_waitcnt vmcnt(0)
	global_store_dwordx2 v[2:3], v[0:1], off sc0 sc1
	v_and_b32_e32 v0, 0xffffff, v0
	s_nop 0
	v_readfirstlane_b32 m0, v0
	s_sendmsg sendmsg(MSG_INTERRUPT)
.LBB11_1162:
	s_or_b64 exec, exec, s[6:7]
	s_branch .LBB11_1166
.LBB11_1163:                            ;   in Loop: Header=BB11_1166 Depth=1
	s_or_b64 exec, exec, s[6:7]
	v_readfirstlane_b32 s6, v0
	s_cmp_eq_u32 s6, 0
	s_cbranch_scc1 .LBB11_1165
; %bb.1164:                             ;   in Loop: Header=BB11_1166 Depth=1
	s_sleep 1
	s_cbranch_execnz .LBB11_1166
	s_branch .LBB11_1168
.LBB11_1165:
	s_branch .LBB11_1168
.LBB11_1166:                            ; =>This Inner Loop Header: Depth=1
	v_mov_b32_e32 v0, 1
	s_and_saveexec_b64 s[6:7], s[0:1]
	s_cbranch_execz .LBB11_1163
; %bb.1167:                             ;   in Loop: Header=BB11_1166 Depth=1
	global_load_dword v0, v[10:11], off offset:20 sc0 sc1
	s_waitcnt vmcnt(0)
	buffer_inv sc0 sc1
	v_and_b32_e32 v0, 1, v0
	s_branch .LBB11_1163
.LBB11_1168:
	s_and_saveexec_b64 s[6:7], s[0:1]
	s_cbranch_execz .LBB11_1171
; %bb.1169:
	v_mov_b32_e32 v6, 0
	global_load_dwordx2 v[4:5], v6, s[44:45] offset:40
	global_load_dwordx2 v[8:9], v6, s[44:45] offset:24 sc0 sc1
	global_load_dwordx2 v[10:11], v6, s[44:45]
	s_mov_b64 s[0:1], 0
	s_waitcnt vmcnt(2)
	v_lshl_add_u64 v[0:1], v[4:5], 0, 1
	v_lshl_add_u64 v[12:13], v[0:1], 0, s[4:5]
	v_cmp_eq_u64_e32 vcc, 0, v[12:13]
	s_waitcnt vmcnt(1)
	v_mov_b32_e32 v2, v8
	v_cndmask_b32_e32 v1, v13, v1, vcc
	v_cndmask_b32_e32 v0, v12, v0, vcc
	v_and_b32_e32 v3, v1, v5
	v_and_b32_e32 v4, v0, v4
	v_mul_lo_u32 v3, v3, 24
	v_mul_hi_u32 v5, v4, 24
	v_mul_lo_u32 v4, v4, 24
	v_add_u32_e32 v5, v5, v3
	s_waitcnt vmcnt(0)
	v_lshl_add_u64 v[4:5], v[10:11], 0, v[4:5]
	global_store_dwordx2 v[4:5], v[8:9], off
	v_mov_b32_e32 v3, v9
	buffer_wbl2 sc0 sc1
	s_waitcnt vmcnt(0)
	global_atomic_cmpswap_x2 v[2:3], v6, v[0:3], s[44:45] offset:24 sc0 sc1
	s_waitcnt vmcnt(0)
	v_cmp_ne_u64_e32 vcc, v[2:3], v[8:9]
	s_and_b64 exec, exec, vcc
	s_cbranch_execz .LBB11_1171
.LBB11_1170:                            ; =>This Inner Loop Header: Depth=1
	s_sleep 1
	global_store_dwordx2 v[4:5], v[2:3], off
	buffer_wbl2 sc0 sc1
	s_waitcnt vmcnt(0)
	global_atomic_cmpswap_x2 v[8:9], v6, v[0:3], s[44:45] offset:24 sc0 sc1
	s_waitcnt vmcnt(0)
	v_cmp_eq_u64_e32 vcc, v[8:9], v[2:3]
	s_or_b64 s[0:1], vcc, s[0:1]
	v_mov_b64_e32 v[2:3], v[8:9]
	s_andn2_b64 exec, exec, s[0:1]
	s_cbranch_execnz .LBB11_1170
.LBB11_1171:
	s_or_b64 exec, exec, s[6:7]
	v_readfirstlane_b32 s0, v47
	v_mov_b64_e32 v[4:5], 0
	s_nop 0
	v_cmp_eq_u32_e64 s[0:1], s0, v47
	s_and_saveexec_b64 s[4:5], s[0:1]
	s_cbranch_execz .LBB11_1177
; %bb.1172:
	v_mov_b32_e32 v0, 0
	global_load_dwordx2 v[6:7], v0, s[44:45] offset:24 sc0 sc1
	s_waitcnt vmcnt(0)
	buffer_inv sc0 sc1
	global_load_dwordx2 v[2:3], v0, s[44:45] offset:40
	global_load_dwordx2 v[4:5], v0, s[44:45]
	s_waitcnt vmcnt(1)
	v_and_b32_e32 v1, v2, v6
	v_and_b32_e32 v2, v3, v7
	v_mul_lo_u32 v2, v2, 24
	v_mul_hi_u32 v3, v1, 24
	v_add_u32_e32 v3, v3, v2
	v_mul_lo_u32 v2, v1, 24
	s_waitcnt vmcnt(0)
	v_lshl_add_u64 v[2:3], v[4:5], 0, v[2:3]
	global_load_dwordx2 v[4:5], v[2:3], off sc0 sc1
	s_waitcnt vmcnt(0)
	global_atomic_cmpswap_x2 v[4:5], v0, v[4:7], s[44:45] offset:24 sc0 sc1
	s_waitcnt vmcnt(0)
	buffer_inv sc0 sc1
	v_cmp_ne_u64_e32 vcc, v[4:5], v[6:7]
	s_and_saveexec_b64 s[6:7], vcc
	s_cbranch_execz .LBB11_1176
; %bb.1173:
	s_mov_b64 s[10:11], 0
.LBB11_1174:                            ; =>This Inner Loop Header: Depth=1
	s_sleep 1
	global_load_dwordx2 v[2:3], v0, s[44:45] offset:40
	global_load_dwordx2 v[8:9], v0, s[44:45]
	v_mov_b64_e32 v[6:7], v[4:5]
	s_waitcnt vmcnt(1)
	v_and_b32_e32 v2, v2, v6
	v_and_b32_e32 v1, v3, v7
	s_waitcnt vmcnt(0)
	v_mad_u64_u32 v[2:3], s[16:17], v2, 24, v[8:9]
	v_mov_b32_e32 v4, v3
	v_mad_u64_u32 v[4:5], s[16:17], v1, 24, v[4:5]
	v_mov_b32_e32 v3, v4
	global_load_dwordx2 v[4:5], v[2:3], off sc0 sc1
	s_waitcnt vmcnt(0)
	global_atomic_cmpswap_x2 v[4:5], v0, v[4:7], s[44:45] offset:24 sc0 sc1
	s_waitcnt vmcnt(0)
	buffer_inv sc0 sc1
	v_cmp_eq_u64_e32 vcc, v[4:5], v[6:7]
	s_or_b64 s[10:11], vcc, s[10:11]
	s_andn2_b64 exec, exec, s[10:11]
	s_cbranch_execnz .LBB11_1174
; %bb.1175:
	s_or_b64 exec, exec, s[10:11]
.LBB11_1176:
	s_or_b64 exec, exec, s[6:7]
.LBB11_1177:
	s_or_b64 exec, exec, s[4:5]
	v_mov_b32_e32 v61, 0
	global_load_dwordx2 v[6:7], v61, s[44:45] offset:40
	global_load_dwordx4 v[0:3], v61, s[44:45]
	v_readfirstlane_b32 s4, v4
	v_readfirstlane_b32 s5, v5
	s_mov_b64 s[6:7], exec
	s_waitcnt vmcnt(1)
	v_readfirstlane_b32 s10, v6
	v_readfirstlane_b32 s11, v7
	s_and_b64 s[10:11], s[4:5], s[10:11]
	s_mul_i32 s15, s11, 24
	s_mul_hi_u32 s16, s10, 24
	s_add_i32 s17, s16, s15
	s_mul_i32 s16, s10, 24
	s_waitcnt vmcnt(0)
	v_lshl_add_u64 v[4:5], v[0:1], 0, s[16:17]
	s_and_saveexec_b64 s[16:17], s[0:1]
	s_cbranch_execz .LBB11_1179
; %bb.1178:
	v_mov_b64_e32 v[6:7], s[6:7]
	v_mov_b32_e32 v8, 2
	v_mov_b32_e32 v9, 1
	global_store_dwordx4 v[4:5], v[6:9], off offset:8
.LBB11_1179:
	s_or_b64 exec, exec, s[16:17]
	s_lshl_b64 s[6:7], s[10:11], 12
	v_lshl_add_u64 v[6:7], v[2:3], 0, s[6:7]
	s_mov_b32 s16, 0
	v_mov_b32_e32 v8, 33
	v_mov_b32_e32 v9, v61
	;; [unrolled: 1-line block ×4, first 2 shown]
	v_readfirstlane_b32 s6, v6
	v_readfirstlane_b32 s7, v7
	s_mov_b32 s17, s16
	s_mov_b32 s18, s16
	;; [unrolled: 1-line block ×3, first 2 shown]
	s_nop 1
	global_store_dwordx4 v60, v[8:11], s[6:7]
	s_nop 1
	v_mov_b64_e32 v[8:9], s[16:17]
	v_mov_b64_e32 v[10:11], s[18:19]
	global_store_dwordx4 v60, v[8:11], s[6:7] offset:16
	global_store_dwordx4 v60, v[8:11], s[6:7] offset:32
	;; [unrolled: 1-line block ×3, first 2 shown]
	s_and_saveexec_b64 s[6:7], s[0:1]
	s_cbranch_execz .LBB11_1187
; %bb.1180:
	v_mov_b32_e32 v10, 0
	global_load_dwordx2 v[14:15], v10, s[44:45] offset:32 sc0 sc1
	global_load_dwordx2 v[2:3], v10, s[44:45] offset:40
	v_mov_b32_e32 v12, s4
	v_mov_b32_e32 v13, s5
	s_waitcnt vmcnt(0)
	v_readfirstlane_b32 s10, v2
	v_readfirstlane_b32 s11, v3
	s_and_b64 s[10:11], s[10:11], s[4:5]
	s_mul_i32 s11, s11, 24
	s_mul_hi_u32 s15, s10, 24
	s_mul_i32 s10, s10, 24
	s_add_i32 s11, s15, s11
	v_lshl_add_u64 v[8:9], v[0:1], 0, s[10:11]
	global_store_dwordx2 v[8:9], v[14:15], off
	buffer_wbl2 sc0 sc1
	s_waitcnt vmcnt(0)
	global_atomic_cmpswap_x2 v[2:3], v10, v[12:15], s[44:45] offset:32 sc0 sc1
	s_waitcnt vmcnt(0)
	v_cmp_ne_u64_e32 vcc, v[2:3], v[14:15]
	s_and_saveexec_b64 s[10:11], vcc
	s_cbranch_execz .LBB11_1183
; %bb.1181:
	s_mov_b64 s[16:17], 0
.LBB11_1182:                            ; =>This Inner Loop Header: Depth=1
	s_sleep 1
	global_store_dwordx2 v[8:9], v[2:3], off
	v_mov_b32_e32 v0, s4
	v_mov_b32_e32 v1, s5
	buffer_wbl2 sc0 sc1
	s_waitcnt vmcnt(0)
	global_atomic_cmpswap_x2 v[0:1], v10, v[0:3], s[44:45] offset:32 sc0 sc1
	s_waitcnt vmcnt(0)
	v_cmp_eq_u64_e32 vcc, v[0:1], v[2:3]
	s_or_b64 s[16:17], vcc, s[16:17]
	v_mov_b64_e32 v[2:3], v[0:1]
	s_andn2_b64 exec, exec, s[16:17]
	s_cbranch_execnz .LBB11_1182
.LBB11_1183:
	s_or_b64 exec, exec, s[10:11]
	v_mov_b32_e32 v3, 0
	global_load_dwordx2 v[0:1], v3, s[44:45] offset:16
	s_mov_b64 s[10:11], exec
	v_mbcnt_lo_u32_b32 v2, s10, 0
	v_mbcnt_hi_u32_b32 v2, s11, v2
	v_cmp_eq_u32_e32 vcc, 0, v2
	s_and_saveexec_b64 s[16:17], vcc
	s_cbranch_execz .LBB11_1185
; %bb.1184:
	s_bcnt1_i32_b64 s10, s[10:11]
	v_mov_b32_e32 v2, s10
	buffer_wbl2 sc0 sc1
	s_waitcnt vmcnt(0)
	global_atomic_add_x2 v[0:1], v[2:3], off offset:8 sc1
.LBB11_1185:
	s_or_b64 exec, exec, s[16:17]
	s_waitcnt vmcnt(0)
	global_load_dwordx2 v[2:3], v[0:1], off offset:16
	s_waitcnt vmcnt(0)
	v_cmp_eq_u64_e32 vcc, 0, v[2:3]
	s_cbranch_vccnz .LBB11_1187
; %bb.1186:
	global_load_dword v0, v[0:1], off offset:24
	v_mov_b32_e32 v1, 0
	buffer_wbl2 sc0 sc1
	s_waitcnt vmcnt(0)
	global_store_dwordx2 v[2:3], v[0:1], off sc0 sc1
	v_and_b32_e32 v0, 0xffffff, v0
	s_nop 0
	v_readfirstlane_b32 m0, v0
	s_sendmsg sendmsg(MSG_INTERRUPT)
.LBB11_1187:
	s_or_b64 exec, exec, s[6:7]
	v_lshl_add_u64 v[0:1], v[6:7], 0, v[60:61]
	s_branch .LBB11_1191
.LBB11_1188:                            ;   in Loop: Header=BB11_1191 Depth=1
	s_or_b64 exec, exec, s[6:7]
	v_readfirstlane_b32 s6, v2
	s_cmp_eq_u32 s6, 0
	s_cbranch_scc1 .LBB11_1190
; %bb.1189:                             ;   in Loop: Header=BB11_1191 Depth=1
	s_sleep 1
	s_cbranch_execnz .LBB11_1191
	s_branch .LBB11_1193
.LBB11_1190:
	s_branch .LBB11_1193
.LBB11_1191:                            ; =>This Inner Loop Header: Depth=1
	v_mov_b32_e32 v2, 1
	s_and_saveexec_b64 s[6:7], s[0:1]
	s_cbranch_execz .LBB11_1188
; %bb.1192:                             ;   in Loop: Header=BB11_1191 Depth=1
	global_load_dword v2, v[4:5], off offset:20 sc0 sc1
	s_waitcnt vmcnt(0)
	buffer_inv sc0 sc1
	v_and_b32_e32 v2, 1, v2
	s_branch .LBB11_1188
.LBB11_1193:
	global_load_dwordx2 v[0:1], v[0:1], off
	s_and_saveexec_b64 s[6:7], s[0:1]
	s_cbranch_execz .LBB11_1196
; %bb.1194:
	v_mov_b32_e32 v8, 0
	global_load_dwordx2 v[6:7], v8, s[44:45] offset:40
	global_load_dwordx2 v[10:11], v8, s[44:45] offset:24 sc0 sc1
	global_load_dwordx2 v[12:13], v8, s[44:45]
	s_mov_b64 s[0:1], 0
	s_waitcnt vmcnt(2)
	v_lshl_add_u64 v[2:3], v[6:7], 0, 1
	v_lshl_add_u64 v[14:15], v[2:3], 0, s[4:5]
	v_cmp_eq_u64_e32 vcc, 0, v[14:15]
	s_waitcnt vmcnt(1)
	v_mov_b32_e32 v4, v10
	v_cndmask_b32_e32 v3, v15, v3, vcc
	v_cndmask_b32_e32 v2, v14, v2, vcc
	v_and_b32_e32 v5, v3, v7
	v_and_b32_e32 v6, v2, v6
	v_mul_lo_u32 v5, v5, 24
	v_mul_hi_u32 v7, v6, 24
	v_mul_lo_u32 v6, v6, 24
	v_add_u32_e32 v7, v7, v5
	s_waitcnt vmcnt(0)
	v_lshl_add_u64 v[6:7], v[12:13], 0, v[6:7]
	global_store_dwordx2 v[6:7], v[10:11], off
	v_mov_b32_e32 v5, v11
	buffer_wbl2 sc0 sc1
	s_waitcnt vmcnt(0)
	global_atomic_cmpswap_x2 v[4:5], v8, v[2:5], s[44:45] offset:24 sc0 sc1
	s_waitcnt vmcnt(0)
	v_cmp_ne_u64_e32 vcc, v[4:5], v[10:11]
	s_and_b64 exec, exec, vcc
	s_cbranch_execz .LBB11_1196
.LBB11_1195:                            ; =>This Inner Loop Header: Depth=1
	s_sleep 1
	global_store_dwordx2 v[6:7], v[4:5], off
	buffer_wbl2 sc0 sc1
	s_waitcnt vmcnt(0)
	global_atomic_cmpswap_x2 v[10:11], v8, v[2:5], s[44:45] offset:24 sc0 sc1
	s_waitcnt vmcnt(0)
	v_cmp_eq_u64_e32 vcc, v[10:11], v[4:5]
	s_or_b64 s[0:1], vcc, s[0:1]
	v_mov_b64_e32 v[4:5], v[10:11]
	s_andn2_b64 exec, exec, s[0:1]
	s_cbranch_execnz .LBB11_1195
.LBB11_1196:
	s_or_b64 exec, exec, s[6:7]
	s_and_b64 vcc, exec, s[46:47]
	s_cbranch_vccz .LBB11_1281
; %bb.1197:
	s_waitcnt vmcnt(0)
	v_and_b32_e32 v28, 2, v0
	v_mov_b32_e32 v31, 0
	v_and_b32_e32 v2, -3, v0
	v_mov_b32_e32 v3, v1
	s_mov_b64 s[6:7], 3
	v_mov_b32_e32 v6, 2
	v_mov_b32_e32 v7, 1
	s_getpc_b64 s[4:5]
	s_add_u32 s4, s4, .str.6@rel32@lo+4
	s_addc_u32 s5, s5, .str.6@rel32@hi+12
	s_branch .LBB11_1199
.LBB11_1198:                            ;   in Loop: Header=BB11_1199 Depth=1
	s_or_b64 exec, exec, s[18:19]
	s_sub_u32 s6, s6, s10
	s_subb_u32 s7, s7, s11
	s_add_u32 s4, s4, s10
	s_addc_u32 s5, s5, s11
	s_cmp_lg_u64 s[6:7], 0
	s_cbranch_scc0 .LBB11_1280
.LBB11_1199:                            ; =>This Loop Header: Depth=1
                                        ;     Child Loop BB11_1202 Depth 2
                                        ;     Child Loop BB11_1209 Depth 2
	;; [unrolled: 1-line block ×11, first 2 shown]
	v_cmp_lt_u64_e64 s[0:1], s[6:7], 56
	s_and_b64 s[0:1], s[0:1], exec
	v_cmp_gt_u64_e64 s[0:1], s[6:7], 7
	s_cselect_b32 s11, s7, 0
	s_cselect_b32 s10, s6, 56
	s_and_b64 vcc, exec, s[0:1]
	s_cbranch_vccnz .LBB11_1204
; %bb.1200:                             ;   in Loop: Header=BB11_1199 Depth=1
	s_mov_b64 s[0:1], 0
	s_cmp_eq_u64 s[6:7], 0
	v_mov_b64_e32 v[10:11], 0
	s_cbranch_scc1 .LBB11_1203
; %bb.1201:                             ;   in Loop: Header=BB11_1199 Depth=1
	s_lshl_b64 s[16:17], s[10:11], 3
	s_mov_b64 s[18:19], 0
	v_mov_b64_e32 v[10:11], 0
	s_mov_b64 s[20:21], s[4:5]
.LBB11_1202:                            ;   Parent Loop BB11_1199 Depth=1
                                        ; =>  This Inner Loop Header: Depth=2
	global_load_ubyte v4, v31, s[20:21]
	s_waitcnt vmcnt(0)
	v_and_b32_e32 v30, 0xffff, v4
	v_lshlrev_b64 v[4:5], s18, v[30:31]
	s_add_u32 s18, s18, 8
	s_addc_u32 s19, s19, 0
	s_add_u32 s20, s20, 1
	s_addc_u32 s21, s21, 0
	v_or_b32_e32 v10, v4, v10
	s_cmp_lg_u32 s16, s18
	v_or_b32_e32 v11, v5, v11
	s_cbranch_scc1 .LBB11_1202
.LBB11_1203:                            ;   in Loop: Header=BB11_1199 Depth=1
	s_mov_b32 s15, 0
	s_andn2_b64 vcc, exec, s[0:1]
	s_mov_b64 s[0:1], s[4:5]
	s_cbranch_vccz .LBB11_1205
	s_branch .LBB11_1206
.LBB11_1204:                            ;   in Loop: Header=BB11_1199 Depth=1
                                        ; implicit-def: $vgpr10_vgpr11
                                        ; implicit-def: $sgpr15
	s_mov_b64 s[0:1], s[4:5]
.LBB11_1205:                            ;   in Loop: Header=BB11_1199 Depth=1
	global_load_dwordx2 v[10:11], v31, s[4:5]
	s_add_i32 s15, s10, -8
	s_add_u32 s0, s4, 8
	s_addc_u32 s1, s5, 0
.LBB11_1206:                            ;   in Loop: Header=BB11_1199 Depth=1
	s_cmp_gt_u32 s15, 7
	s_cbranch_scc1 .LBB11_1210
; %bb.1207:                             ;   in Loop: Header=BB11_1199 Depth=1
	s_cmp_eq_u32 s15, 0
	s_cbranch_scc1 .LBB11_1211
; %bb.1208:                             ;   in Loop: Header=BB11_1199 Depth=1
	s_mov_b64 s[16:17], 0
	v_mov_b64_e32 v[12:13], 0
	s_mov_b64 s[18:19], 0
.LBB11_1209:                            ;   Parent Loop BB11_1199 Depth=1
                                        ; =>  This Inner Loop Header: Depth=2
	s_add_u32 s20, s0, s18
	s_addc_u32 s21, s1, s19
	global_load_ubyte v4, v31, s[20:21]
	s_add_u32 s18, s18, 1
	s_addc_u32 s19, s19, 0
	s_waitcnt vmcnt(0)
	v_and_b32_e32 v30, 0xffff, v4
	v_lshlrev_b64 v[4:5], s16, v[30:31]
	s_add_u32 s16, s16, 8
	s_addc_u32 s17, s17, 0
	v_or_b32_e32 v12, v4, v12
	s_cmp_lg_u32 s15, s18
	v_or_b32_e32 v13, v5, v13
	s_cbranch_scc1 .LBB11_1209
	s_branch .LBB11_1212
.LBB11_1210:                            ;   in Loop: Header=BB11_1199 Depth=1
                                        ; implicit-def: $vgpr12_vgpr13
                                        ; implicit-def: $sgpr20
	s_branch .LBB11_1213
.LBB11_1211:                            ;   in Loop: Header=BB11_1199 Depth=1
	v_mov_b64_e32 v[12:13], 0
.LBB11_1212:                            ;   in Loop: Header=BB11_1199 Depth=1
	s_mov_b32 s20, 0
	s_cbranch_execnz .LBB11_1214
.LBB11_1213:                            ;   in Loop: Header=BB11_1199 Depth=1
	global_load_dwordx2 v[12:13], v31, s[0:1]
	s_add_i32 s20, s15, -8
	s_add_u32 s0, s0, 8
	s_addc_u32 s1, s1, 0
.LBB11_1214:                            ;   in Loop: Header=BB11_1199 Depth=1
	s_cmp_gt_u32 s20, 7
	s_cbranch_scc1 .LBB11_1218
; %bb.1215:                             ;   in Loop: Header=BB11_1199 Depth=1
	s_cmp_eq_u32 s20, 0
	s_cbranch_scc1 .LBB11_1219
; %bb.1216:                             ;   in Loop: Header=BB11_1199 Depth=1
	s_mov_b64 s[16:17], 0
	v_mov_b64_e32 v[14:15], 0
	s_mov_b64 s[18:19], 0
.LBB11_1217:                            ;   Parent Loop BB11_1199 Depth=1
                                        ; =>  This Inner Loop Header: Depth=2
	s_add_u32 s22, s0, s18
	s_addc_u32 s23, s1, s19
	global_load_ubyte v4, v31, s[22:23]
	s_add_u32 s18, s18, 1
	s_addc_u32 s19, s19, 0
	s_waitcnt vmcnt(0)
	v_and_b32_e32 v30, 0xffff, v4
	v_lshlrev_b64 v[4:5], s16, v[30:31]
	s_add_u32 s16, s16, 8
	s_addc_u32 s17, s17, 0
	v_or_b32_e32 v14, v4, v14
	s_cmp_lg_u32 s20, s18
	v_or_b32_e32 v15, v5, v15
	s_cbranch_scc1 .LBB11_1217
	s_branch .LBB11_1220
.LBB11_1218:                            ;   in Loop: Header=BB11_1199 Depth=1
                                        ; implicit-def: $sgpr15
	s_branch .LBB11_1221
.LBB11_1219:                            ;   in Loop: Header=BB11_1199 Depth=1
	v_mov_b64_e32 v[14:15], 0
.LBB11_1220:                            ;   in Loop: Header=BB11_1199 Depth=1
	s_mov_b32 s15, 0
	s_cbranch_execnz .LBB11_1222
.LBB11_1221:                            ;   in Loop: Header=BB11_1199 Depth=1
	global_load_dwordx2 v[14:15], v31, s[0:1]
	s_add_i32 s15, s20, -8
	s_add_u32 s0, s0, 8
	s_addc_u32 s1, s1, 0
.LBB11_1222:                            ;   in Loop: Header=BB11_1199 Depth=1
	s_cmp_gt_u32 s15, 7
	s_cbranch_scc1 .LBB11_1226
; %bb.1223:                             ;   in Loop: Header=BB11_1199 Depth=1
	s_cmp_eq_u32 s15, 0
	s_cbranch_scc1 .LBB11_1227
; %bb.1224:                             ;   in Loop: Header=BB11_1199 Depth=1
	s_mov_b64 s[16:17], 0
	v_mov_b64_e32 v[16:17], 0
	s_mov_b64 s[18:19], 0
.LBB11_1225:                            ;   Parent Loop BB11_1199 Depth=1
                                        ; =>  This Inner Loop Header: Depth=2
	s_add_u32 s20, s0, s18
	s_addc_u32 s21, s1, s19
	global_load_ubyte v4, v31, s[20:21]
	s_add_u32 s18, s18, 1
	s_addc_u32 s19, s19, 0
	s_waitcnt vmcnt(0)
	v_and_b32_e32 v30, 0xffff, v4
	v_lshlrev_b64 v[4:5], s16, v[30:31]
	s_add_u32 s16, s16, 8
	s_addc_u32 s17, s17, 0
	v_or_b32_e32 v16, v4, v16
	s_cmp_lg_u32 s15, s18
	v_or_b32_e32 v17, v5, v17
	s_cbranch_scc1 .LBB11_1225
	s_branch .LBB11_1228
.LBB11_1226:                            ;   in Loop: Header=BB11_1199 Depth=1
                                        ; implicit-def: $vgpr16_vgpr17
                                        ; implicit-def: $sgpr20
	s_branch .LBB11_1229
.LBB11_1227:                            ;   in Loop: Header=BB11_1199 Depth=1
	v_mov_b64_e32 v[16:17], 0
.LBB11_1228:                            ;   in Loop: Header=BB11_1199 Depth=1
	s_mov_b32 s20, 0
	s_cbranch_execnz .LBB11_1230
.LBB11_1229:                            ;   in Loop: Header=BB11_1199 Depth=1
	global_load_dwordx2 v[16:17], v31, s[0:1]
	s_add_i32 s20, s15, -8
	s_add_u32 s0, s0, 8
	s_addc_u32 s1, s1, 0
.LBB11_1230:                            ;   in Loop: Header=BB11_1199 Depth=1
	s_cmp_gt_u32 s20, 7
	s_cbranch_scc1 .LBB11_1234
; %bb.1231:                             ;   in Loop: Header=BB11_1199 Depth=1
	s_cmp_eq_u32 s20, 0
	s_cbranch_scc1 .LBB11_1235
; %bb.1232:                             ;   in Loop: Header=BB11_1199 Depth=1
	s_mov_b64 s[16:17], 0
	v_mov_b64_e32 v[18:19], 0
	s_mov_b64 s[18:19], 0
.LBB11_1233:                            ;   Parent Loop BB11_1199 Depth=1
                                        ; =>  This Inner Loop Header: Depth=2
	s_add_u32 s22, s0, s18
	s_addc_u32 s23, s1, s19
	global_load_ubyte v4, v31, s[22:23]
	s_add_u32 s18, s18, 1
	s_addc_u32 s19, s19, 0
	s_waitcnt vmcnt(0)
	v_and_b32_e32 v30, 0xffff, v4
	v_lshlrev_b64 v[4:5], s16, v[30:31]
	s_add_u32 s16, s16, 8
	s_addc_u32 s17, s17, 0
	v_or_b32_e32 v18, v4, v18
	s_cmp_lg_u32 s20, s18
	v_or_b32_e32 v19, v5, v19
	s_cbranch_scc1 .LBB11_1233
	s_branch .LBB11_1236
.LBB11_1234:                            ;   in Loop: Header=BB11_1199 Depth=1
                                        ; implicit-def: $sgpr15
	s_branch .LBB11_1237
.LBB11_1235:                            ;   in Loop: Header=BB11_1199 Depth=1
	v_mov_b64_e32 v[18:19], 0
.LBB11_1236:                            ;   in Loop: Header=BB11_1199 Depth=1
	s_mov_b32 s15, 0
	s_cbranch_execnz .LBB11_1238
.LBB11_1237:                            ;   in Loop: Header=BB11_1199 Depth=1
	global_load_dwordx2 v[18:19], v31, s[0:1]
	s_add_i32 s15, s20, -8
	s_add_u32 s0, s0, 8
	s_addc_u32 s1, s1, 0
.LBB11_1238:                            ;   in Loop: Header=BB11_1199 Depth=1
	s_cmp_gt_u32 s15, 7
	s_cbranch_scc1 .LBB11_1242
; %bb.1239:                             ;   in Loop: Header=BB11_1199 Depth=1
	s_cmp_eq_u32 s15, 0
	s_cbranch_scc1 .LBB11_1243
; %bb.1240:                             ;   in Loop: Header=BB11_1199 Depth=1
	s_mov_b64 s[16:17], 0
	v_mov_b64_e32 v[20:21], 0
	s_mov_b64 s[18:19], 0
.LBB11_1241:                            ;   Parent Loop BB11_1199 Depth=1
                                        ; =>  This Inner Loop Header: Depth=2
	s_add_u32 s20, s0, s18
	s_addc_u32 s21, s1, s19
	global_load_ubyte v4, v31, s[20:21]
	s_add_u32 s18, s18, 1
	s_addc_u32 s19, s19, 0
	s_waitcnt vmcnt(0)
	v_and_b32_e32 v30, 0xffff, v4
	v_lshlrev_b64 v[4:5], s16, v[30:31]
	s_add_u32 s16, s16, 8
	s_addc_u32 s17, s17, 0
	v_or_b32_e32 v20, v4, v20
	s_cmp_lg_u32 s15, s18
	v_or_b32_e32 v21, v5, v21
	s_cbranch_scc1 .LBB11_1241
	s_branch .LBB11_1244
.LBB11_1242:                            ;   in Loop: Header=BB11_1199 Depth=1
                                        ; implicit-def: $vgpr20_vgpr21
                                        ; implicit-def: $sgpr20
	s_branch .LBB11_1245
.LBB11_1243:                            ;   in Loop: Header=BB11_1199 Depth=1
	v_mov_b64_e32 v[20:21], 0
.LBB11_1244:                            ;   in Loop: Header=BB11_1199 Depth=1
	s_mov_b32 s20, 0
	s_cbranch_execnz .LBB11_1246
.LBB11_1245:                            ;   in Loop: Header=BB11_1199 Depth=1
	global_load_dwordx2 v[20:21], v31, s[0:1]
	s_add_i32 s20, s15, -8
	s_add_u32 s0, s0, 8
	s_addc_u32 s1, s1, 0
.LBB11_1246:                            ;   in Loop: Header=BB11_1199 Depth=1
	s_cmp_gt_u32 s20, 7
	s_cbranch_scc1 .LBB11_1250
; %bb.1247:                             ;   in Loop: Header=BB11_1199 Depth=1
	s_cmp_eq_u32 s20, 0
	s_cbranch_scc1 .LBB11_1251
; %bb.1248:                             ;   in Loop: Header=BB11_1199 Depth=1
	s_mov_b64 s[16:17], 0
	v_mov_b64_e32 v[22:23], 0
	s_mov_b64 s[18:19], s[0:1]
.LBB11_1249:                            ;   Parent Loop BB11_1199 Depth=1
                                        ; =>  This Inner Loop Header: Depth=2
	global_load_ubyte v4, v31, s[18:19]
	s_add_i32 s20, s20, -1
	s_waitcnt vmcnt(0)
	v_and_b32_e32 v30, 0xffff, v4
	v_lshlrev_b64 v[4:5], s16, v[30:31]
	s_add_u32 s16, s16, 8
	s_addc_u32 s17, s17, 0
	s_add_u32 s18, s18, 1
	s_addc_u32 s19, s19, 0
	v_or_b32_e32 v22, v4, v22
	s_cmp_lg_u32 s20, 0
	v_or_b32_e32 v23, v5, v23
	s_cbranch_scc1 .LBB11_1249
	s_branch .LBB11_1252
.LBB11_1250:                            ;   in Loop: Header=BB11_1199 Depth=1
	s_branch .LBB11_1253
.LBB11_1251:                            ;   in Loop: Header=BB11_1199 Depth=1
	v_mov_b64_e32 v[22:23], 0
.LBB11_1252:                            ;   in Loop: Header=BB11_1199 Depth=1
	s_cbranch_execnz .LBB11_1254
.LBB11_1253:                            ;   in Loop: Header=BB11_1199 Depth=1
	global_load_dwordx2 v[22:23], v31, s[0:1]
.LBB11_1254:                            ;   in Loop: Header=BB11_1199 Depth=1
	v_readfirstlane_b32 s0, v47
	s_waitcnt vmcnt(0)
	v_mov_b64_e32 v[4:5], 0
	v_cmp_eq_u32_e64 s[0:1], s0, v47
	s_and_saveexec_b64 s[16:17], s[0:1]
	s_cbranch_execz .LBB11_1260
; %bb.1255:                             ;   in Loop: Header=BB11_1199 Depth=1
	global_load_dwordx2 v[26:27], v31, s[44:45] offset:24 sc0 sc1
	s_waitcnt vmcnt(0)
	buffer_inv sc0 sc1
	global_load_dwordx2 v[4:5], v31, s[44:45] offset:40
	global_load_dwordx2 v[8:9], v31, s[44:45]
	s_waitcnt vmcnt(1)
	v_and_b32_e32 v4, v4, v26
	v_and_b32_e32 v5, v5, v27
	v_mul_lo_u32 v5, v5, 24
	v_mul_hi_u32 v24, v4, 24
	v_add_u32_e32 v5, v24, v5
	v_mul_lo_u32 v4, v4, 24
	s_waitcnt vmcnt(0)
	v_lshl_add_u64 v[4:5], v[8:9], 0, v[4:5]
	global_load_dwordx2 v[24:25], v[4:5], off sc0 sc1
	s_waitcnt vmcnt(0)
	global_atomic_cmpswap_x2 v[4:5], v31, v[24:27], s[44:45] offset:24 sc0 sc1
	s_waitcnt vmcnt(0)
	buffer_inv sc0 sc1
	v_cmp_ne_u64_e32 vcc, v[4:5], v[26:27]
	s_and_saveexec_b64 s[18:19], vcc
	s_cbranch_execz .LBB11_1259
; %bb.1256:                             ;   in Loop: Header=BB11_1199 Depth=1
	s_mov_b64 s[20:21], 0
.LBB11_1257:                            ;   Parent Loop BB11_1199 Depth=1
                                        ; =>  This Inner Loop Header: Depth=2
	s_sleep 1
	global_load_dwordx2 v[8:9], v31, s[44:45] offset:40
	global_load_dwordx2 v[24:25], v31, s[44:45]
	v_mov_b64_e32 v[26:27], v[4:5]
	s_waitcnt vmcnt(1)
	v_and_b32_e32 v4, v8, v26
	s_waitcnt vmcnt(0)
	v_mad_u64_u32 v[4:5], s[22:23], v4, 24, v[24:25]
	v_and_b32_e32 v9, v9, v27
	v_mov_b32_e32 v8, v5
	v_mad_u64_u32 v[8:9], s[22:23], v9, 24, v[8:9]
	v_mov_b32_e32 v5, v8
	global_load_dwordx2 v[24:25], v[4:5], off sc0 sc1
	s_waitcnt vmcnt(0)
	global_atomic_cmpswap_x2 v[4:5], v31, v[24:27], s[44:45] offset:24 sc0 sc1
	s_waitcnt vmcnt(0)
	buffer_inv sc0 sc1
	v_cmp_eq_u64_e32 vcc, v[4:5], v[26:27]
	s_or_b64 s[20:21], vcc, s[20:21]
	s_andn2_b64 exec, exec, s[20:21]
	s_cbranch_execnz .LBB11_1257
; %bb.1258:                             ;   in Loop: Header=BB11_1199 Depth=1
	s_or_b64 exec, exec, s[20:21]
.LBB11_1259:                            ;   in Loop: Header=BB11_1199 Depth=1
	s_or_b64 exec, exec, s[18:19]
.LBB11_1260:                            ;   in Loop: Header=BB11_1199 Depth=1
	s_or_b64 exec, exec, s[16:17]
	global_load_dwordx2 v[8:9], v31, s[44:45] offset:40
	global_load_dwordx4 v[24:27], v31, s[44:45]
	v_readfirstlane_b32 s16, v4
	v_readfirstlane_b32 s17, v5
	s_mov_b64 s[18:19], exec
	s_waitcnt vmcnt(1)
	v_readfirstlane_b32 s20, v8
	v_readfirstlane_b32 s21, v9
	s_and_b64 s[20:21], s[16:17], s[20:21]
	s_mul_i32 s15, s21, 24
	s_mul_hi_u32 s22, s20, 24
	s_add_i32 s23, s22, s15
	s_mul_i32 s22, s20, 24
	s_waitcnt vmcnt(0)
	v_lshl_add_u64 v[32:33], v[24:25], 0, s[22:23]
	s_and_saveexec_b64 s[22:23], s[0:1]
	s_cbranch_execz .LBB11_1262
; %bb.1261:                             ;   in Loop: Header=BB11_1199 Depth=1
	v_mov_b64_e32 v[4:5], s[18:19]
	global_store_dwordx4 v[32:33], v[4:7], off offset:8
.LBB11_1262:                            ;   in Loop: Header=BB11_1199 Depth=1
	s_or_b64 exec, exec, s[22:23]
	s_nop 0
	v_or_b32_e32 v5, v2, v28
	v_cmp_gt_u64_e64 vcc, s[6:7], 56
	s_lshl_b32 s15, s10, 2
	s_lshl_b64 s[18:19], s[20:21], 12
	v_cndmask_b32_e32 v2, v5, v2, vcc
	s_add_i32 s15, s15, 28
	v_lshl_add_u64 v[26:27], v[26:27], 0, s[18:19]
	v_or_b32_e32 v4, 0, v3
	s_and_b32 s15, s15, 0x1e0
	v_and_b32_e32 v2, 0xffffff1f, v2
	v_cndmask_b32_e32 v9, v4, v3, vcc
	v_or_b32_e32 v8, s15, v2
	v_readfirstlane_b32 s18, v26
	v_readfirstlane_b32 s19, v27
	s_nop 4
	global_store_dwordx4 v60, v[8:11], s[18:19]
	global_store_dwordx4 v60, v[12:15], s[18:19] offset:16
	global_store_dwordx4 v60, v[16:19], s[18:19] offset:32
	global_store_dwordx4 v60, v[20:23], s[18:19] offset:48
	s_and_saveexec_b64 s[18:19], s[0:1]
	s_cbranch_execz .LBB11_1270
; %bb.1263:                             ;   in Loop: Header=BB11_1199 Depth=1
	global_load_dwordx2 v[12:13], v31, s[44:45] offset:32 sc0 sc1
	global_load_dwordx2 v[2:3], v31, s[44:45] offset:40
	v_mov_b32_e32 v10, s16
	v_mov_b32_e32 v11, s17
	s_waitcnt vmcnt(0)
	v_readfirstlane_b32 s20, v2
	v_readfirstlane_b32 s21, v3
	s_and_b64 s[20:21], s[20:21], s[16:17]
	s_mul_i32 s15, s21, 24
	s_mul_hi_u32 s21, s20, 24
	s_mul_i32 s20, s20, 24
	s_add_i32 s21, s21, s15
	v_lshl_add_u64 v[8:9], v[24:25], 0, s[20:21]
	global_store_dwordx2 v[8:9], v[12:13], off
	buffer_wbl2 sc0 sc1
	s_waitcnt vmcnt(0)
	global_atomic_cmpswap_x2 v[4:5], v31, v[10:13], s[44:45] offset:32 sc0 sc1
	s_waitcnt vmcnt(0)
	v_cmp_ne_u64_e32 vcc, v[4:5], v[12:13]
	s_and_saveexec_b64 s[20:21], vcc
	s_cbranch_execz .LBB11_1266
; %bb.1264:                             ;   in Loop: Header=BB11_1199 Depth=1
	s_mov_b64 s[22:23], 0
.LBB11_1265:                            ;   Parent Loop BB11_1199 Depth=1
                                        ; =>  This Inner Loop Header: Depth=2
	s_sleep 1
	global_store_dwordx2 v[8:9], v[4:5], off
	v_mov_b32_e32 v2, s16
	v_mov_b32_e32 v3, s17
	buffer_wbl2 sc0 sc1
	s_waitcnt vmcnt(0)
	global_atomic_cmpswap_x2 v[2:3], v31, v[2:5], s[44:45] offset:32 sc0 sc1
	s_waitcnt vmcnt(0)
	v_cmp_eq_u64_e32 vcc, v[2:3], v[4:5]
	s_or_b64 s[22:23], vcc, s[22:23]
	v_mov_b64_e32 v[4:5], v[2:3]
	s_andn2_b64 exec, exec, s[22:23]
	s_cbranch_execnz .LBB11_1265
.LBB11_1266:                            ;   in Loop: Header=BB11_1199 Depth=1
	s_or_b64 exec, exec, s[20:21]
	global_load_dwordx2 v[2:3], v31, s[44:45] offset:16
	s_mov_b64 s[22:23], exec
	v_mbcnt_lo_u32_b32 v4, s22, 0
	v_mbcnt_hi_u32_b32 v4, s23, v4
	v_cmp_eq_u32_e32 vcc, 0, v4
	s_and_saveexec_b64 s[20:21], vcc
	s_cbranch_execz .LBB11_1268
; %bb.1267:                             ;   in Loop: Header=BB11_1199 Depth=1
	s_bcnt1_i32_b64 s15, s[22:23]
	v_mov_b32_e32 v30, s15
	buffer_wbl2 sc0 sc1
	s_waitcnt vmcnt(0)
	global_atomic_add_x2 v[2:3], v[30:31], off offset:8 sc1
.LBB11_1268:                            ;   in Loop: Header=BB11_1199 Depth=1
	s_or_b64 exec, exec, s[20:21]
	s_waitcnt vmcnt(0)
	global_load_dwordx2 v[4:5], v[2:3], off offset:16
	s_waitcnt vmcnt(0)
	v_cmp_eq_u64_e32 vcc, 0, v[4:5]
	s_cbranch_vccnz .LBB11_1270
; %bb.1269:                             ;   in Loop: Header=BB11_1199 Depth=1
	global_load_dword v30, v[2:3], off offset:24
	s_waitcnt vmcnt(0)
	v_and_b32_e32 v2, 0xffffff, v30
	s_nop 0
	v_readfirstlane_b32 m0, v2
	buffer_wbl2 sc0 sc1
	global_store_dwordx2 v[4:5], v[30:31], off sc0 sc1
	s_sendmsg sendmsg(MSG_INTERRUPT)
.LBB11_1270:                            ;   in Loop: Header=BB11_1199 Depth=1
	s_or_b64 exec, exec, s[18:19]
	v_mov_b32_e32 v61, v31
	v_lshl_add_u64 v[2:3], v[26:27], 0, v[60:61]
	s_branch .LBB11_1274
.LBB11_1271:                            ;   in Loop: Header=BB11_1274 Depth=2
	s_or_b64 exec, exec, s[18:19]
	v_readfirstlane_b32 s15, v4
	s_cmp_eq_u32 s15, 0
	s_cbranch_scc1 .LBB11_1273
; %bb.1272:                             ;   in Loop: Header=BB11_1274 Depth=2
	s_sleep 1
	s_cbranch_execnz .LBB11_1274
	s_branch .LBB11_1276
.LBB11_1273:                            ;   in Loop: Header=BB11_1199 Depth=1
	s_branch .LBB11_1276
.LBB11_1274:                            ;   Parent Loop BB11_1199 Depth=1
                                        ; =>  This Inner Loop Header: Depth=2
	v_mov_b32_e32 v4, 1
	s_and_saveexec_b64 s[18:19], s[0:1]
	s_cbranch_execz .LBB11_1271
; %bb.1275:                             ;   in Loop: Header=BB11_1274 Depth=2
	global_load_dword v4, v[32:33], off offset:20 sc0 sc1
	s_waitcnt vmcnt(0)
	buffer_inv sc0 sc1
	v_and_b32_e32 v4, 1, v4
	s_branch .LBB11_1271
.LBB11_1276:                            ;   in Loop: Header=BB11_1199 Depth=1
	global_load_dwordx4 v[2:5], v[2:3], off
	s_and_saveexec_b64 s[18:19], s[0:1]
	s_cbranch_execz .LBB11_1198
; %bb.1277:                             ;   in Loop: Header=BB11_1199 Depth=1
	global_load_dwordx2 v[4:5], v31, s[44:45] offset:40
	global_load_dwordx2 v[12:13], v31, s[44:45] offset:24 sc0 sc1
	global_load_dwordx2 v[14:15], v31, s[44:45]
	s_waitcnt vmcnt(2)
	v_lshl_add_u64 v[8:9], v[4:5], 0, 1
	v_lshl_add_u64 v[16:17], v[8:9], 0, s[16:17]
	v_cmp_eq_u64_e32 vcc, 0, v[16:17]
	s_waitcnt vmcnt(1)
	v_mov_b32_e32 v10, v12
	v_cndmask_b32_e32 v9, v17, v9, vcc
	v_cndmask_b32_e32 v8, v16, v8, vcc
	v_and_b32_e32 v5, v9, v5
	v_and_b32_e32 v4, v8, v4
	v_mul_lo_u32 v5, v5, 24
	v_mul_hi_u32 v11, v4, 24
	v_mul_lo_u32 v4, v4, 24
	v_add_u32_e32 v5, v11, v5
	s_waitcnt vmcnt(0)
	v_lshl_add_u64 v[4:5], v[14:15], 0, v[4:5]
	global_store_dwordx2 v[4:5], v[12:13], off
	v_mov_b32_e32 v11, v13
	buffer_wbl2 sc0 sc1
	s_waitcnt vmcnt(0)
	global_atomic_cmpswap_x2 v[10:11], v31, v[8:11], s[44:45] offset:24 sc0 sc1
	s_waitcnt vmcnt(0)
	v_cmp_ne_u64_e32 vcc, v[10:11], v[12:13]
	s_and_b64 exec, exec, vcc
	s_cbranch_execz .LBB11_1198
; %bb.1278:                             ;   in Loop: Header=BB11_1199 Depth=1
	s_mov_b64 s[0:1], 0
.LBB11_1279:                            ;   Parent Loop BB11_1199 Depth=1
                                        ; =>  This Inner Loop Header: Depth=2
	s_sleep 1
	global_store_dwordx2 v[4:5], v[10:11], off
	buffer_wbl2 sc0 sc1
	s_waitcnt vmcnt(0)
	global_atomic_cmpswap_x2 v[12:13], v31, v[8:11], s[44:45] offset:24 sc0 sc1
	s_waitcnt vmcnt(0)
	v_cmp_eq_u64_e32 vcc, v[12:13], v[10:11]
	s_or_b64 s[0:1], vcc, s[0:1]
	v_mov_b64_e32 v[10:11], v[12:13]
	s_andn2_b64 exec, exec, s[0:1]
	s_cbranch_execnz .LBB11_1279
	s_branch .LBB11_1198
.LBB11_1280:
	s_branch .LBB11_1308
.LBB11_1281:
                                        ; implicit-def: $vgpr2_vgpr3
	s_cbranch_execz .LBB11_1308
; %bb.1282:
	v_readfirstlane_b32 s0, v47
	s_waitcnt vmcnt(0)
	v_mov_b64_e32 v[2:3], 0
	v_cmp_eq_u32_e64 s[0:1], s0, v47
	s_and_saveexec_b64 s[4:5], s[0:1]
	s_cbranch_execz .LBB11_1288
; %bb.1283:
	v_mov_b32_e32 v4, 0
	global_load_dwordx2 v[8:9], v4, s[44:45] offset:24 sc0 sc1
	s_waitcnt vmcnt(0)
	buffer_inv sc0 sc1
	global_load_dwordx2 v[2:3], v4, s[44:45] offset:40
	global_load_dwordx2 v[6:7], v4, s[44:45]
	s_waitcnt vmcnt(1)
	v_and_b32_e32 v2, v2, v8
	v_and_b32_e32 v3, v3, v9
	v_mul_lo_u32 v3, v3, 24
	v_mul_hi_u32 v5, v2, 24
	v_add_u32_e32 v3, v5, v3
	v_mul_lo_u32 v2, v2, 24
	s_waitcnt vmcnt(0)
	v_lshl_add_u64 v[2:3], v[6:7], 0, v[2:3]
	global_load_dwordx2 v[6:7], v[2:3], off sc0 sc1
	s_waitcnt vmcnt(0)
	global_atomic_cmpswap_x2 v[2:3], v4, v[6:9], s[44:45] offset:24 sc0 sc1
	s_waitcnt vmcnt(0)
	buffer_inv sc0 sc1
	v_cmp_ne_u64_e32 vcc, v[2:3], v[8:9]
	s_and_saveexec_b64 s[6:7], vcc
	s_cbranch_execz .LBB11_1287
; %bb.1284:
	s_mov_b64 s[10:11], 0
.LBB11_1285:                            ; =>This Inner Loop Header: Depth=1
	s_sleep 1
	global_load_dwordx2 v[6:7], v4, s[44:45] offset:40
	global_load_dwordx2 v[10:11], v4, s[44:45]
	v_mov_b64_e32 v[8:9], v[2:3]
	s_waitcnt vmcnt(1)
	v_and_b32_e32 v2, v6, v8
	s_waitcnt vmcnt(0)
	v_mad_u64_u32 v[2:3], s[16:17], v2, 24, v[10:11]
	v_and_b32_e32 v5, v7, v9
	v_mov_b32_e32 v6, v3
	v_mad_u64_u32 v[6:7], s[16:17], v5, 24, v[6:7]
	v_mov_b32_e32 v3, v6
	global_load_dwordx2 v[6:7], v[2:3], off sc0 sc1
	s_waitcnt vmcnt(0)
	global_atomic_cmpswap_x2 v[2:3], v4, v[6:9], s[44:45] offset:24 sc0 sc1
	s_waitcnt vmcnt(0)
	buffer_inv sc0 sc1
	v_cmp_eq_u64_e32 vcc, v[2:3], v[8:9]
	s_or_b64 s[10:11], vcc, s[10:11]
	s_andn2_b64 exec, exec, s[10:11]
	s_cbranch_execnz .LBB11_1285
; %bb.1286:
	s_or_b64 exec, exec, s[10:11]
.LBB11_1287:
	s_or_b64 exec, exec, s[6:7]
.LBB11_1288:
	s_or_b64 exec, exec, s[4:5]
	v_mov_b32_e32 v61, 0
	global_load_dwordx2 v[8:9], v61, s[44:45] offset:40
	global_load_dwordx4 v[4:7], v61, s[44:45]
	v_readfirstlane_b32 s4, v2
	v_readfirstlane_b32 s5, v3
	s_mov_b64 s[6:7], exec
	s_waitcnt vmcnt(1)
	v_readfirstlane_b32 s10, v8
	v_readfirstlane_b32 s11, v9
	s_and_b64 s[10:11], s[4:5], s[10:11]
	s_mul_i32 s15, s11, 24
	s_mul_hi_u32 s16, s10, 24
	s_add_i32 s17, s16, s15
	s_mul_i32 s16, s10, 24
	s_waitcnt vmcnt(0)
	v_lshl_add_u64 v[8:9], v[4:5], 0, s[16:17]
	s_and_saveexec_b64 s[16:17], s[0:1]
	s_cbranch_execz .LBB11_1290
; %bb.1289:
	v_mov_b64_e32 v[10:11], s[6:7]
	v_mov_b32_e32 v12, 2
	v_mov_b32_e32 v13, 1
	global_store_dwordx4 v[8:9], v[10:13], off offset:8
.LBB11_1290:
	s_or_b64 exec, exec, s[16:17]
	s_lshl_b64 s[6:7], s[10:11], 12
	v_lshl_add_u64 v[6:7], v[6:7], 0, s[6:7]
	s_movk_i32 s6, 0xff1f
	s_mov_b32 s16, 0
	v_and_or_b32 v0, v0, s6, 32
	v_mov_b32_e32 v2, v61
	v_mov_b32_e32 v3, v61
	v_readfirstlane_b32 s6, v6
	v_readfirstlane_b32 s7, v7
	s_mov_b32 s17, s16
	s_mov_b32 s18, s16
	;; [unrolled: 1-line block ×3, first 2 shown]
	s_nop 1
	global_store_dwordx4 v60, v[0:3], s[6:7]
	s_nop 1
	v_mov_b64_e32 v[0:1], s[16:17]
	v_mov_b64_e32 v[2:3], s[18:19]
	global_store_dwordx4 v60, v[0:3], s[6:7] offset:16
	global_store_dwordx4 v60, v[0:3], s[6:7] offset:32
	;; [unrolled: 1-line block ×3, first 2 shown]
	s_and_saveexec_b64 s[6:7], s[0:1]
	s_cbranch_execz .LBB11_1298
; %bb.1291:
	v_mov_b32_e32 v10, 0
	global_load_dwordx2 v[14:15], v10, s[44:45] offset:32 sc0 sc1
	global_load_dwordx2 v[0:1], v10, s[44:45] offset:40
	v_mov_b32_e32 v12, s4
	v_mov_b32_e32 v13, s5
	s_waitcnt vmcnt(0)
	v_readfirstlane_b32 s10, v0
	v_readfirstlane_b32 s11, v1
	s_and_b64 s[10:11], s[10:11], s[4:5]
	s_mul_i32 s11, s11, 24
	s_mul_hi_u32 s15, s10, 24
	s_mul_i32 s10, s10, 24
	s_add_i32 s11, s15, s11
	v_lshl_add_u64 v[4:5], v[4:5], 0, s[10:11]
	global_store_dwordx2 v[4:5], v[14:15], off
	buffer_wbl2 sc0 sc1
	s_waitcnt vmcnt(0)
	global_atomic_cmpswap_x2 v[2:3], v10, v[12:15], s[44:45] offset:32 sc0 sc1
	s_waitcnt vmcnt(0)
	v_cmp_ne_u64_e32 vcc, v[2:3], v[14:15]
	s_and_saveexec_b64 s[10:11], vcc
	s_cbranch_execz .LBB11_1294
; %bb.1292:
	s_mov_b64 s[16:17], 0
.LBB11_1293:                            ; =>This Inner Loop Header: Depth=1
	s_sleep 1
	global_store_dwordx2 v[4:5], v[2:3], off
	v_mov_b32_e32 v0, s4
	v_mov_b32_e32 v1, s5
	buffer_wbl2 sc0 sc1
	s_waitcnt vmcnt(0)
	global_atomic_cmpswap_x2 v[0:1], v10, v[0:3], s[44:45] offset:32 sc0 sc1
	s_waitcnt vmcnt(0)
	v_cmp_eq_u64_e32 vcc, v[0:1], v[2:3]
	s_or_b64 s[16:17], vcc, s[16:17]
	v_mov_b64_e32 v[2:3], v[0:1]
	s_andn2_b64 exec, exec, s[16:17]
	s_cbranch_execnz .LBB11_1293
.LBB11_1294:
	s_or_b64 exec, exec, s[10:11]
	v_mov_b32_e32 v3, 0
	global_load_dwordx2 v[0:1], v3, s[44:45] offset:16
	s_mov_b64 s[10:11], exec
	v_mbcnt_lo_u32_b32 v2, s10, 0
	v_mbcnt_hi_u32_b32 v2, s11, v2
	v_cmp_eq_u32_e32 vcc, 0, v2
	s_and_saveexec_b64 s[16:17], vcc
	s_cbranch_execz .LBB11_1296
; %bb.1295:
	s_bcnt1_i32_b64 s10, s[10:11]
	v_mov_b32_e32 v2, s10
	buffer_wbl2 sc0 sc1
	s_waitcnt vmcnt(0)
	global_atomic_add_x2 v[0:1], v[2:3], off offset:8 sc1
.LBB11_1296:
	s_or_b64 exec, exec, s[16:17]
	s_waitcnt vmcnt(0)
	global_load_dwordx2 v[2:3], v[0:1], off offset:16
	s_waitcnt vmcnt(0)
	v_cmp_eq_u64_e32 vcc, 0, v[2:3]
	s_cbranch_vccnz .LBB11_1298
; %bb.1297:
	global_load_dword v0, v[0:1], off offset:24
	v_mov_b32_e32 v1, 0
	buffer_wbl2 sc0 sc1
	s_waitcnt vmcnt(0)
	global_store_dwordx2 v[2:3], v[0:1], off sc0 sc1
	v_and_b32_e32 v0, 0xffffff, v0
	s_nop 0
	v_readfirstlane_b32 m0, v0
	s_sendmsg sendmsg(MSG_INTERRUPT)
.LBB11_1298:
	s_or_b64 exec, exec, s[6:7]
	v_lshl_add_u64 v[0:1], v[6:7], 0, v[60:61]
	s_branch .LBB11_1302
.LBB11_1299:                            ;   in Loop: Header=BB11_1302 Depth=1
	s_or_b64 exec, exec, s[6:7]
	v_readfirstlane_b32 s6, v2
	s_cmp_eq_u32 s6, 0
	s_cbranch_scc1 .LBB11_1301
; %bb.1300:                             ;   in Loop: Header=BB11_1302 Depth=1
	s_sleep 1
	s_cbranch_execnz .LBB11_1302
	s_branch .LBB11_1304
.LBB11_1301:
	s_branch .LBB11_1304
.LBB11_1302:                            ; =>This Inner Loop Header: Depth=1
	v_mov_b32_e32 v2, 1
	s_and_saveexec_b64 s[6:7], s[0:1]
	s_cbranch_execz .LBB11_1299
; %bb.1303:                             ;   in Loop: Header=BB11_1302 Depth=1
	global_load_dword v2, v[8:9], off offset:20 sc0 sc1
	s_waitcnt vmcnt(0)
	buffer_inv sc0 sc1
	v_and_b32_e32 v2, 1, v2
	s_branch .LBB11_1299
.LBB11_1304:
	global_load_dwordx2 v[2:3], v[0:1], off
	s_and_saveexec_b64 s[6:7], s[0:1]
	s_cbranch_execz .LBB11_1307
; %bb.1305:
	v_mov_b32_e32 v8, 0
	global_load_dwordx2 v[0:1], v8, s[44:45] offset:40
	global_load_dwordx2 v[10:11], v8, s[44:45] offset:24 sc0 sc1
	global_load_dwordx2 v[12:13], v8, s[44:45]
	s_mov_b64 s[0:1], 0
	s_waitcnt vmcnt(2)
	v_lshl_add_u64 v[4:5], v[0:1], 0, 1
	v_lshl_add_u64 v[14:15], v[4:5], 0, s[4:5]
	v_cmp_eq_u64_e32 vcc, 0, v[14:15]
	s_waitcnt vmcnt(1)
	v_mov_b32_e32 v6, v10
	v_cndmask_b32_e32 v5, v15, v5, vcc
	v_cndmask_b32_e32 v4, v14, v4, vcc
	v_and_b32_e32 v1, v5, v1
	v_and_b32_e32 v0, v4, v0
	v_mul_lo_u32 v1, v1, 24
	v_mul_hi_u32 v7, v0, 24
	v_mul_lo_u32 v0, v0, 24
	v_add_u32_e32 v1, v7, v1
	s_waitcnt vmcnt(0)
	v_lshl_add_u64 v[0:1], v[12:13], 0, v[0:1]
	global_store_dwordx2 v[0:1], v[10:11], off
	v_mov_b32_e32 v7, v11
	buffer_wbl2 sc0 sc1
	s_waitcnt vmcnt(0)
	global_atomic_cmpswap_x2 v[6:7], v8, v[4:7], s[44:45] offset:24 sc0 sc1
	s_waitcnt vmcnt(0)
	v_cmp_ne_u64_e32 vcc, v[6:7], v[10:11]
	s_and_b64 exec, exec, vcc
	s_cbranch_execz .LBB11_1307
.LBB11_1306:                            ; =>This Inner Loop Header: Depth=1
	s_sleep 1
	global_store_dwordx2 v[0:1], v[6:7], off
	buffer_wbl2 sc0 sc1
	s_waitcnt vmcnt(0)
	global_atomic_cmpswap_x2 v[10:11], v8, v[4:7], s[44:45] offset:24 sc0 sc1
	s_waitcnt vmcnt(0)
	v_cmp_eq_u64_e32 vcc, v[10:11], v[6:7]
	s_or_b64 s[0:1], vcc, s[0:1]
	v_mov_b64_e32 v[6:7], v[10:11]
	s_andn2_b64 exec, exec, s[0:1]
	s_cbranch_execnz .LBB11_1306
.LBB11_1307:
	s_or_b64 exec, exec, s[6:7]
.LBB11_1308:
	v_readfirstlane_b32 s0, v47
	s_waitcnt vmcnt(0)
	v_mov_b64_e32 v[0:1], 0
	v_cmp_eq_u32_e64 s[0:1], s0, v47
	s_and_saveexec_b64 s[4:5], s[0:1]
	s_cbranch_execz .LBB11_1314
; %bb.1309:
	v_mov_b32_e32 v4, 0
	global_load_dwordx2 v[8:9], v4, s[44:45] offset:24 sc0 sc1
	s_waitcnt vmcnt(0)
	buffer_inv sc0 sc1
	global_load_dwordx2 v[0:1], v4, s[44:45] offset:40
	global_load_dwordx2 v[6:7], v4, s[44:45]
	s_waitcnt vmcnt(1)
	v_and_b32_e32 v0, v0, v8
	v_and_b32_e32 v1, v1, v9
	v_mul_lo_u32 v1, v1, 24
	v_mul_hi_u32 v5, v0, 24
	v_add_u32_e32 v1, v5, v1
	v_mul_lo_u32 v0, v0, 24
	s_waitcnt vmcnt(0)
	v_lshl_add_u64 v[0:1], v[6:7], 0, v[0:1]
	global_load_dwordx2 v[6:7], v[0:1], off sc0 sc1
	s_waitcnt vmcnt(0)
	global_atomic_cmpswap_x2 v[0:1], v4, v[6:9], s[44:45] offset:24 sc0 sc1
	s_waitcnt vmcnt(0)
	buffer_inv sc0 sc1
	v_cmp_ne_u64_e32 vcc, v[0:1], v[8:9]
	s_and_saveexec_b64 s[6:7], vcc
	s_cbranch_execz .LBB11_1313
; %bb.1310:
	s_mov_b64 s[10:11], 0
.LBB11_1311:                            ; =>This Inner Loop Header: Depth=1
	s_sleep 1
	global_load_dwordx2 v[6:7], v4, s[44:45] offset:40
	global_load_dwordx2 v[10:11], v4, s[44:45]
	v_mov_b64_e32 v[8:9], v[0:1]
	s_waitcnt vmcnt(1)
	v_and_b32_e32 v0, v6, v8
	s_waitcnt vmcnt(0)
	v_mad_u64_u32 v[0:1], s[16:17], v0, 24, v[10:11]
	v_and_b32_e32 v5, v7, v9
	v_mov_b32_e32 v6, v1
	v_mad_u64_u32 v[6:7], s[16:17], v5, 24, v[6:7]
	v_mov_b32_e32 v1, v6
	global_load_dwordx2 v[6:7], v[0:1], off sc0 sc1
	s_waitcnt vmcnt(0)
	global_atomic_cmpswap_x2 v[0:1], v4, v[6:9], s[44:45] offset:24 sc0 sc1
	s_waitcnt vmcnt(0)
	buffer_inv sc0 sc1
	v_cmp_eq_u64_e32 vcc, v[0:1], v[8:9]
	s_or_b64 s[10:11], vcc, s[10:11]
	s_andn2_b64 exec, exec, s[10:11]
	s_cbranch_execnz .LBB11_1311
; %bb.1312:
	s_or_b64 exec, exec, s[10:11]
.LBB11_1313:
	s_or_b64 exec, exec, s[6:7]
.LBB11_1314:
	s_or_b64 exec, exec, s[4:5]
	v_mov_b32_e32 v5, 0
	global_load_dwordx2 v[10:11], v5, s[44:45] offset:40
	global_load_dwordx4 v[6:9], v5, s[44:45]
	v_readfirstlane_b32 s4, v0
	v_readfirstlane_b32 s5, v1
	s_mov_b64 s[6:7], exec
	s_waitcnt vmcnt(1)
	v_readfirstlane_b32 s10, v10
	v_readfirstlane_b32 s11, v11
	s_and_b64 s[10:11], s[4:5], s[10:11]
	s_mul_i32 s15, s11, 24
	s_mul_hi_u32 s16, s10, 24
	s_add_i32 s17, s16, s15
	s_mul_i32 s16, s10, 24
	s_waitcnt vmcnt(0)
	v_lshl_add_u64 v[10:11], v[6:7], 0, s[16:17]
	s_and_saveexec_b64 s[16:17], s[0:1]
	s_cbranch_execz .LBB11_1316
; %bb.1315:
	v_mov_b64_e32 v[12:13], s[6:7]
	v_mov_b32_e32 v14, 2
	v_mov_b32_e32 v15, 1
	global_store_dwordx4 v[10:11], v[12:15], off offset:8
.LBB11_1316:
	s_or_b64 exec, exec, s[16:17]
	s_lshl_b64 s[6:7], s[10:11], 12
	v_lshl_add_u64 v[0:1], v[8:9], 0, s[6:7]
	s_movk_i32 s6, 0xff1d
	s_mov_b32 s16, 0
	v_and_or_b32 v2, v2, s6, 34
	v_mov_b32_e32 v4, 10
	v_readfirstlane_b32 s6, v0
	v_readfirstlane_b32 s7, v1
	s_mov_b32 s17, s16
	s_mov_b32 s18, s16
	;; [unrolled: 1-line block ×3, first 2 shown]
	s_nop 1
	global_store_dwordx4 v60, v[2:5], s[6:7]
	v_mov_b64_e32 v[0:1], s[16:17]
	s_nop 0
	v_mov_b64_e32 v[2:3], s[18:19]
	global_store_dwordx4 v60, v[0:3], s[6:7] offset:16
	global_store_dwordx4 v60, v[0:3], s[6:7] offset:32
	;; [unrolled: 1-line block ×3, first 2 shown]
	s_and_saveexec_b64 s[6:7], s[0:1]
	s_cbranch_execz .LBB11_1324
; %bb.1317:
	v_mov_b32_e32 v8, 0
	global_load_dwordx2 v[14:15], v8, s[44:45] offset:32 sc0 sc1
	global_load_dwordx2 v[0:1], v8, s[44:45] offset:40
	v_mov_b32_e32 v12, s4
	v_mov_b32_e32 v13, s5
	s_waitcnt vmcnt(0)
	v_readfirstlane_b32 s10, v0
	v_readfirstlane_b32 s11, v1
	s_and_b64 s[10:11], s[10:11], s[4:5]
	s_mul_i32 s11, s11, 24
	s_mul_hi_u32 s15, s10, 24
	s_mul_i32 s10, s10, 24
	s_add_i32 s11, s15, s11
	v_lshl_add_u64 v[4:5], v[6:7], 0, s[10:11]
	global_store_dwordx2 v[4:5], v[14:15], off
	buffer_wbl2 sc0 sc1
	s_waitcnt vmcnt(0)
	global_atomic_cmpswap_x2 v[2:3], v8, v[12:15], s[44:45] offset:32 sc0 sc1
	s_waitcnt vmcnt(0)
	v_cmp_ne_u64_e32 vcc, v[2:3], v[14:15]
	s_and_saveexec_b64 s[10:11], vcc
	s_cbranch_execz .LBB11_1320
; %bb.1318:
	s_mov_b64 s[16:17], 0
.LBB11_1319:                            ; =>This Inner Loop Header: Depth=1
	s_sleep 1
	global_store_dwordx2 v[4:5], v[2:3], off
	v_mov_b32_e32 v0, s4
	v_mov_b32_e32 v1, s5
	buffer_wbl2 sc0 sc1
	s_waitcnt vmcnt(0)
	global_atomic_cmpswap_x2 v[0:1], v8, v[0:3], s[44:45] offset:32 sc0 sc1
	s_waitcnt vmcnt(0)
	v_cmp_eq_u64_e32 vcc, v[0:1], v[2:3]
	s_or_b64 s[16:17], vcc, s[16:17]
	v_mov_b64_e32 v[2:3], v[0:1]
	s_andn2_b64 exec, exec, s[16:17]
	s_cbranch_execnz .LBB11_1319
.LBB11_1320:
	s_or_b64 exec, exec, s[10:11]
	v_mov_b32_e32 v3, 0
	global_load_dwordx2 v[0:1], v3, s[44:45] offset:16
	s_mov_b64 s[10:11], exec
	v_mbcnt_lo_u32_b32 v2, s10, 0
	v_mbcnt_hi_u32_b32 v2, s11, v2
	v_cmp_eq_u32_e32 vcc, 0, v2
	s_and_saveexec_b64 s[16:17], vcc
	s_cbranch_execz .LBB11_1322
; %bb.1321:
	s_bcnt1_i32_b64 s10, s[10:11]
	v_mov_b32_e32 v2, s10
	buffer_wbl2 sc0 sc1
	s_waitcnt vmcnt(0)
	global_atomic_add_x2 v[0:1], v[2:3], off offset:8 sc1
.LBB11_1322:
	s_or_b64 exec, exec, s[16:17]
	s_waitcnt vmcnt(0)
	global_load_dwordx2 v[2:3], v[0:1], off offset:16
	s_waitcnt vmcnt(0)
	v_cmp_eq_u64_e32 vcc, 0, v[2:3]
	s_cbranch_vccnz .LBB11_1324
; %bb.1323:
	global_load_dword v0, v[0:1], off offset:24
	v_mov_b32_e32 v1, 0
	buffer_wbl2 sc0 sc1
	s_waitcnt vmcnt(0)
	global_store_dwordx2 v[2:3], v[0:1], off sc0 sc1
	v_and_b32_e32 v0, 0xffffff, v0
	s_nop 0
	v_readfirstlane_b32 m0, v0
	s_sendmsg sendmsg(MSG_INTERRUPT)
.LBB11_1324:
	s_or_b64 exec, exec, s[6:7]
	s_branch .LBB11_1328
.LBB11_1325:                            ;   in Loop: Header=BB11_1328 Depth=1
	s_or_b64 exec, exec, s[6:7]
	v_readfirstlane_b32 s6, v0
	s_cmp_eq_u32 s6, 0
	s_cbranch_scc1 .LBB11_1327
; %bb.1326:                             ;   in Loop: Header=BB11_1328 Depth=1
	s_sleep 1
	s_cbranch_execnz .LBB11_1328
	s_branch .LBB11_1330
.LBB11_1327:
	s_branch .LBB11_1330
.LBB11_1328:                            ; =>This Inner Loop Header: Depth=1
	v_mov_b32_e32 v0, 1
	s_and_saveexec_b64 s[6:7], s[0:1]
	s_cbranch_execz .LBB11_1325
; %bb.1329:                             ;   in Loop: Header=BB11_1328 Depth=1
	global_load_dword v0, v[10:11], off offset:20 sc0 sc1
	s_waitcnt vmcnt(0)
	buffer_inv sc0 sc1
	v_and_b32_e32 v0, 1, v0
	s_branch .LBB11_1325
.LBB11_1330:
	s_and_saveexec_b64 s[6:7], s[0:1]
	s_cbranch_execz .LBB11_1333
; %bb.1331:
	v_mov_b32_e32 v6, 0
	global_load_dwordx2 v[4:5], v6, s[44:45] offset:40
	global_load_dwordx2 v[8:9], v6, s[44:45] offset:24 sc0 sc1
	global_load_dwordx2 v[10:11], v6, s[44:45]
	s_mov_b64 s[0:1], 0
	s_waitcnt vmcnt(2)
	v_lshl_add_u64 v[0:1], v[4:5], 0, 1
	v_lshl_add_u64 v[12:13], v[0:1], 0, s[4:5]
	v_cmp_eq_u64_e32 vcc, 0, v[12:13]
	s_waitcnt vmcnt(1)
	v_mov_b32_e32 v2, v8
	v_cndmask_b32_e32 v1, v13, v1, vcc
	v_cndmask_b32_e32 v0, v12, v0, vcc
	v_and_b32_e32 v3, v1, v5
	v_and_b32_e32 v4, v0, v4
	v_mul_lo_u32 v3, v3, 24
	v_mul_hi_u32 v5, v4, 24
	v_mul_lo_u32 v4, v4, 24
	v_add_u32_e32 v5, v5, v3
	s_waitcnt vmcnt(0)
	v_lshl_add_u64 v[4:5], v[10:11], 0, v[4:5]
	global_store_dwordx2 v[4:5], v[8:9], off
	v_mov_b32_e32 v3, v9
	buffer_wbl2 sc0 sc1
	s_waitcnt vmcnt(0)
	global_atomic_cmpswap_x2 v[2:3], v6, v[0:3], s[44:45] offset:24 sc0 sc1
	s_waitcnt vmcnt(0)
	v_cmp_ne_u64_e32 vcc, v[2:3], v[8:9]
	s_and_b64 exec, exec, vcc
	s_cbranch_execz .LBB11_1333
.LBB11_1332:                            ; =>This Inner Loop Header: Depth=1
	s_sleep 1
	global_store_dwordx2 v[4:5], v[2:3], off
	buffer_wbl2 sc0 sc1
	s_waitcnt vmcnt(0)
	global_atomic_cmpswap_x2 v[8:9], v6, v[0:3], s[44:45] offset:24 sc0 sc1
	s_waitcnt vmcnt(0)
	v_cmp_eq_u64_e32 vcc, v[8:9], v[2:3]
	s_or_b64 s[0:1], vcc, s[0:1]
	v_mov_b64_e32 v[2:3], v[8:9]
	s_andn2_b64 exec, exec, s[0:1]
	s_cbranch_execnz .LBB11_1332
.LBB11_1333:
	s_or_b64 exec, exec, s[6:7]
	v_readfirstlane_b32 s0, v47
	v_mov_b64_e32 v[4:5], 0
	s_nop 0
	v_cmp_eq_u32_e64 s[0:1], s0, v47
	s_and_saveexec_b64 s[4:5], s[0:1]
	s_cbranch_execz .LBB11_1339
; %bb.1334:
	v_mov_b32_e32 v0, 0
	global_load_dwordx2 v[6:7], v0, s[44:45] offset:24 sc0 sc1
	s_waitcnt vmcnt(0)
	buffer_inv sc0 sc1
	global_load_dwordx2 v[2:3], v0, s[44:45] offset:40
	global_load_dwordx2 v[4:5], v0, s[44:45]
	s_waitcnt vmcnt(1)
	v_and_b32_e32 v1, v2, v6
	v_and_b32_e32 v2, v3, v7
	v_mul_lo_u32 v2, v2, 24
	v_mul_hi_u32 v3, v1, 24
	v_add_u32_e32 v3, v3, v2
	v_mul_lo_u32 v2, v1, 24
	s_waitcnt vmcnt(0)
	v_lshl_add_u64 v[2:3], v[4:5], 0, v[2:3]
	global_load_dwordx2 v[4:5], v[2:3], off sc0 sc1
	s_waitcnt vmcnt(0)
	global_atomic_cmpswap_x2 v[4:5], v0, v[4:7], s[44:45] offset:24 sc0 sc1
	s_waitcnt vmcnt(0)
	buffer_inv sc0 sc1
	v_cmp_ne_u64_e32 vcc, v[4:5], v[6:7]
	s_and_saveexec_b64 s[6:7], vcc
	s_cbranch_execz .LBB11_1338
; %bb.1335:
	s_mov_b64 s[10:11], 0
.LBB11_1336:                            ; =>This Inner Loop Header: Depth=1
	s_sleep 1
	global_load_dwordx2 v[2:3], v0, s[44:45] offset:40
	global_load_dwordx2 v[8:9], v0, s[44:45]
	v_mov_b64_e32 v[6:7], v[4:5]
	s_waitcnt vmcnt(1)
	v_and_b32_e32 v2, v2, v6
	v_and_b32_e32 v1, v3, v7
	s_waitcnt vmcnt(0)
	v_mad_u64_u32 v[2:3], s[16:17], v2, 24, v[8:9]
	v_mov_b32_e32 v4, v3
	v_mad_u64_u32 v[4:5], s[16:17], v1, 24, v[4:5]
	v_mov_b32_e32 v3, v4
	global_load_dwordx2 v[4:5], v[2:3], off sc0 sc1
	s_waitcnt vmcnt(0)
	global_atomic_cmpswap_x2 v[4:5], v0, v[4:7], s[44:45] offset:24 sc0 sc1
	s_waitcnt vmcnt(0)
	buffer_inv sc0 sc1
	v_cmp_eq_u64_e32 vcc, v[4:5], v[6:7]
	s_or_b64 s[10:11], vcc, s[10:11]
	s_andn2_b64 exec, exec, s[10:11]
	s_cbranch_execnz .LBB11_1336
; %bb.1337:
	s_or_b64 exec, exec, s[10:11]
.LBB11_1338:
	s_or_b64 exec, exec, s[6:7]
.LBB11_1339:
	s_or_b64 exec, exec, s[4:5]
	v_mov_b32_e32 v61, 0
	global_load_dwordx2 v[6:7], v61, s[44:45] offset:40
	global_load_dwordx4 v[0:3], v61, s[44:45]
	v_readfirstlane_b32 s4, v4
	v_readfirstlane_b32 s5, v5
	s_mov_b64 s[6:7], exec
	s_waitcnt vmcnt(1)
	v_readfirstlane_b32 s10, v6
	v_readfirstlane_b32 s11, v7
	s_and_b64 s[10:11], s[4:5], s[10:11]
	s_mul_i32 s15, s11, 24
	s_mul_hi_u32 s16, s10, 24
	s_add_i32 s17, s16, s15
	s_mul_i32 s16, s10, 24
	s_waitcnt vmcnt(0)
	v_lshl_add_u64 v[4:5], v[0:1], 0, s[16:17]
	s_and_saveexec_b64 s[16:17], s[0:1]
	s_cbranch_execz .LBB11_1341
; %bb.1340:
	v_mov_b64_e32 v[6:7], s[6:7]
	v_mov_b32_e32 v8, 2
	v_mov_b32_e32 v9, 1
	global_store_dwordx4 v[4:5], v[6:9], off offset:8
.LBB11_1341:
	s_or_b64 exec, exec, s[16:17]
	s_lshl_b64 s[6:7], s[10:11], 12
	v_lshl_add_u64 v[6:7], v[2:3], 0, s[6:7]
	s_mov_b32 s16, 0
	v_mov_b32_e32 v8, 33
	v_mov_b32_e32 v9, v61
	;; [unrolled: 1-line block ×4, first 2 shown]
	v_readfirstlane_b32 s6, v6
	v_readfirstlane_b32 s7, v7
	s_mov_b32 s17, s16
	s_mov_b32 s18, s16
	;; [unrolled: 1-line block ×3, first 2 shown]
	s_nop 1
	global_store_dwordx4 v60, v[8:11], s[6:7]
	s_nop 1
	v_mov_b64_e32 v[8:9], s[16:17]
	v_mov_b64_e32 v[10:11], s[18:19]
	global_store_dwordx4 v60, v[8:11], s[6:7] offset:16
	global_store_dwordx4 v60, v[8:11], s[6:7] offset:32
	;; [unrolled: 1-line block ×3, first 2 shown]
	s_and_saveexec_b64 s[6:7], s[0:1]
	s_cbranch_execz .LBB11_1349
; %bb.1342:
	v_mov_b32_e32 v10, 0
	global_load_dwordx2 v[14:15], v10, s[44:45] offset:32 sc0 sc1
	global_load_dwordx2 v[2:3], v10, s[44:45] offset:40
	v_mov_b32_e32 v12, s4
	v_mov_b32_e32 v13, s5
	s_waitcnt vmcnt(0)
	v_readfirstlane_b32 s10, v2
	v_readfirstlane_b32 s11, v3
	s_and_b64 s[10:11], s[10:11], s[4:5]
	s_mul_i32 s11, s11, 24
	s_mul_hi_u32 s15, s10, 24
	s_mul_i32 s10, s10, 24
	s_add_i32 s11, s15, s11
	v_lshl_add_u64 v[8:9], v[0:1], 0, s[10:11]
	global_store_dwordx2 v[8:9], v[14:15], off
	buffer_wbl2 sc0 sc1
	s_waitcnt vmcnt(0)
	global_atomic_cmpswap_x2 v[2:3], v10, v[12:15], s[44:45] offset:32 sc0 sc1
	s_waitcnt vmcnt(0)
	v_cmp_ne_u64_e32 vcc, v[2:3], v[14:15]
	s_and_saveexec_b64 s[10:11], vcc
	s_cbranch_execz .LBB11_1345
; %bb.1343:
	s_mov_b64 s[16:17], 0
.LBB11_1344:                            ; =>This Inner Loop Header: Depth=1
	s_sleep 1
	global_store_dwordx2 v[8:9], v[2:3], off
	v_mov_b32_e32 v0, s4
	v_mov_b32_e32 v1, s5
	buffer_wbl2 sc0 sc1
	s_waitcnt vmcnt(0)
	global_atomic_cmpswap_x2 v[0:1], v10, v[0:3], s[44:45] offset:32 sc0 sc1
	s_waitcnt vmcnt(0)
	v_cmp_eq_u64_e32 vcc, v[0:1], v[2:3]
	s_or_b64 s[16:17], vcc, s[16:17]
	v_mov_b64_e32 v[2:3], v[0:1]
	s_andn2_b64 exec, exec, s[16:17]
	s_cbranch_execnz .LBB11_1344
.LBB11_1345:
	s_or_b64 exec, exec, s[10:11]
	v_mov_b32_e32 v3, 0
	global_load_dwordx2 v[0:1], v3, s[44:45] offset:16
	s_mov_b64 s[10:11], exec
	v_mbcnt_lo_u32_b32 v2, s10, 0
	v_mbcnt_hi_u32_b32 v2, s11, v2
	v_cmp_eq_u32_e32 vcc, 0, v2
	s_and_saveexec_b64 s[16:17], vcc
	s_cbranch_execz .LBB11_1347
; %bb.1346:
	s_bcnt1_i32_b64 s10, s[10:11]
	v_mov_b32_e32 v2, s10
	buffer_wbl2 sc0 sc1
	s_waitcnt vmcnt(0)
	global_atomic_add_x2 v[0:1], v[2:3], off offset:8 sc1
.LBB11_1347:
	s_or_b64 exec, exec, s[16:17]
	s_waitcnt vmcnt(0)
	global_load_dwordx2 v[2:3], v[0:1], off offset:16
	s_waitcnt vmcnt(0)
	v_cmp_eq_u64_e32 vcc, 0, v[2:3]
	s_cbranch_vccnz .LBB11_1349
; %bb.1348:
	global_load_dword v0, v[0:1], off offset:24
	v_mov_b32_e32 v1, 0
	buffer_wbl2 sc0 sc1
	s_waitcnt vmcnt(0)
	global_store_dwordx2 v[2:3], v[0:1], off sc0 sc1
	v_and_b32_e32 v0, 0xffffff, v0
	s_nop 0
	v_readfirstlane_b32 m0, v0
	s_sendmsg sendmsg(MSG_INTERRUPT)
.LBB11_1349:
	s_or_b64 exec, exec, s[6:7]
	v_lshl_add_u64 v[0:1], v[6:7], 0, v[60:61]
	s_branch .LBB11_1353
.LBB11_1350:                            ;   in Loop: Header=BB11_1353 Depth=1
	s_or_b64 exec, exec, s[6:7]
	v_readfirstlane_b32 s6, v2
	s_cmp_eq_u32 s6, 0
	s_cbranch_scc1 .LBB11_1352
; %bb.1351:                             ;   in Loop: Header=BB11_1353 Depth=1
	s_sleep 1
	s_cbranch_execnz .LBB11_1353
	s_branch .LBB11_1355
.LBB11_1352:
	s_branch .LBB11_1355
.LBB11_1353:                            ; =>This Inner Loop Header: Depth=1
	v_mov_b32_e32 v2, 1
	s_and_saveexec_b64 s[6:7], s[0:1]
	s_cbranch_execz .LBB11_1350
; %bb.1354:                             ;   in Loop: Header=BB11_1353 Depth=1
	global_load_dword v2, v[4:5], off offset:20 sc0 sc1
	s_waitcnt vmcnt(0)
	buffer_inv sc0 sc1
	v_and_b32_e32 v2, 1, v2
	s_branch .LBB11_1350
.LBB11_1355:
	global_load_dwordx2 v[4:5], v[0:1], off
	s_and_saveexec_b64 s[6:7], s[0:1]
	s_cbranch_execz .LBB11_1358
; %bb.1356:
	v_mov_b32_e32 v8, 0
	global_load_dwordx2 v[6:7], v8, s[44:45] offset:40
	global_load_dwordx2 v[10:11], v8, s[44:45] offset:24 sc0 sc1
	global_load_dwordx2 v[12:13], v8, s[44:45]
	s_mov_b64 s[0:1], 0
	s_waitcnt vmcnt(2)
	v_lshl_add_u64 v[0:1], v[6:7], 0, 1
	v_lshl_add_u64 v[14:15], v[0:1], 0, s[4:5]
	v_cmp_eq_u64_e32 vcc, 0, v[14:15]
	s_waitcnt vmcnt(1)
	v_mov_b32_e32 v2, v10
	v_cndmask_b32_e32 v1, v15, v1, vcc
	v_cndmask_b32_e32 v0, v14, v0, vcc
	v_and_b32_e32 v3, v1, v7
	v_and_b32_e32 v6, v0, v6
	v_mul_lo_u32 v3, v3, 24
	v_mul_hi_u32 v7, v6, 24
	v_mul_lo_u32 v6, v6, 24
	v_add_u32_e32 v7, v7, v3
	s_waitcnt vmcnt(0)
	v_lshl_add_u64 v[6:7], v[12:13], 0, v[6:7]
	global_store_dwordx2 v[6:7], v[10:11], off
	v_mov_b32_e32 v3, v11
	buffer_wbl2 sc0 sc1
	s_waitcnt vmcnt(0)
	global_atomic_cmpswap_x2 v[2:3], v8, v[0:3], s[44:45] offset:24 sc0 sc1
	s_waitcnt vmcnt(0)
	v_cmp_ne_u64_e32 vcc, v[2:3], v[10:11]
	s_and_b64 exec, exec, vcc
	s_cbranch_execz .LBB11_1358
.LBB11_1357:                            ; =>This Inner Loop Header: Depth=1
	s_sleep 1
	global_store_dwordx2 v[6:7], v[2:3], off
	buffer_wbl2 sc0 sc1
	s_waitcnt vmcnt(0)
	global_atomic_cmpswap_x2 v[10:11], v8, v[0:3], s[44:45] offset:24 sc0 sc1
	s_waitcnt vmcnt(0)
	v_cmp_eq_u64_e32 vcc, v[10:11], v[2:3]
	s_or_b64 s[0:1], vcc, s[0:1]
	v_mov_b64_e32 v[2:3], v[10:11]
	s_andn2_b64 exec, exec, s[0:1]
	s_cbranch_execnz .LBB11_1357
.LBB11_1358:
	s_or_b64 exec, exec, s[6:7]
	s_and_b64 vcc, exec, s[2:3]
	s_cbranch_vccz .LBB11_1443
; %bb.1359:
	s_waitcnt vmcnt(0)
	v_and_b32_e32 v26, 2, v4
	v_mov_b32_e32 v29, 0
	v_and_b32_e32 v0, -3, v4
	v_mov_b32_e32 v1, v5
	s_mov_b64 s[4:5], 3
	v_mov_b32_e32 v8, 2
	v_mov_b32_e32 v9, 1
	s_getpc_b64 s[2:3]
	s_add_u32 s2, s2, .str.5@rel32@lo+4
	s_addc_u32 s3, s3, .str.5@rel32@hi+12
	s_branch .LBB11_1361
.LBB11_1360:                            ;   in Loop: Header=BB11_1361 Depth=1
	s_or_b64 exec, exec, s[16:17]
	s_sub_u32 s4, s4, s6
	s_subb_u32 s5, s5, s7
	s_add_u32 s2, s2, s6
	s_addc_u32 s3, s3, s7
	s_cmp_lg_u64 s[4:5], 0
	s_cbranch_scc0 .LBB11_1442
.LBB11_1361:                            ; =>This Loop Header: Depth=1
                                        ;     Child Loop BB11_1364 Depth 2
                                        ;     Child Loop BB11_1371 Depth 2
                                        ;     Child Loop BB11_1379 Depth 2
                                        ;     Child Loop BB11_1387 Depth 2
                                        ;     Child Loop BB11_1395 Depth 2
                                        ;     Child Loop BB11_1403 Depth 2
                                        ;     Child Loop BB11_1411 Depth 2
                                        ;     Child Loop BB11_1419 Depth 2
                                        ;     Child Loop BB11_1427 Depth 2
                                        ;     Child Loop BB11_1436 Depth 2
                                        ;     Child Loop BB11_1441 Depth 2
	v_cmp_lt_u64_e64 s[0:1], s[4:5], 56
	s_and_b64 s[0:1], s[0:1], exec
	v_cmp_gt_u64_e64 s[0:1], s[4:5], 7
	s_cselect_b32 s7, s5, 0
	s_cselect_b32 s6, s4, 56
	s_and_b64 vcc, exec, s[0:1]
	s_cbranch_vccnz .LBB11_1366
; %bb.1362:                             ;   in Loop: Header=BB11_1361 Depth=1
	s_mov_b64 s[0:1], 0
	s_cmp_eq_u64 s[4:5], 0
	s_waitcnt vmcnt(0)
	v_mov_b64_e32 v[2:3], 0
	s_cbranch_scc1 .LBB11_1365
; %bb.1363:                             ;   in Loop: Header=BB11_1361 Depth=1
	s_lshl_b64 s[10:11], s[6:7], 3
	s_mov_b64 s[16:17], 0
	v_mov_b64_e32 v[2:3], 0
	s_mov_b64 s[18:19], s[2:3]
.LBB11_1364:                            ;   Parent Loop BB11_1361 Depth=1
                                        ; =>  This Inner Loop Header: Depth=2
	global_load_ubyte v6, v29, s[18:19]
	s_waitcnt vmcnt(0)
	v_and_b32_e32 v28, 0xffff, v6
	v_lshlrev_b64 v[6:7], s16, v[28:29]
	s_add_u32 s16, s16, 8
	s_addc_u32 s17, s17, 0
	s_add_u32 s18, s18, 1
	s_addc_u32 s19, s19, 0
	v_or_b32_e32 v2, v6, v2
	s_cmp_lg_u32 s10, s16
	v_or_b32_e32 v3, v7, v3
	s_cbranch_scc1 .LBB11_1364
.LBB11_1365:                            ;   in Loop: Header=BB11_1361 Depth=1
	s_mov_b32 s15, 0
	s_andn2_b64 vcc, exec, s[0:1]
	s_mov_b64 s[0:1], s[2:3]
	s_cbranch_vccz .LBB11_1367
	s_branch .LBB11_1368
.LBB11_1366:                            ;   in Loop: Header=BB11_1361 Depth=1
                                        ; implicit-def: $vgpr2_vgpr3
                                        ; implicit-def: $sgpr15
	s_mov_b64 s[0:1], s[2:3]
.LBB11_1367:                            ;   in Loop: Header=BB11_1361 Depth=1
	global_load_dwordx2 v[2:3], v29, s[2:3]
	s_add_i32 s15, s6, -8
	s_add_u32 s0, s2, 8
	s_addc_u32 s1, s3, 0
.LBB11_1368:                            ;   in Loop: Header=BB11_1361 Depth=1
	s_cmp_gt_u32 s15, 7
	s_cbranch_scc1 .LBB11_1372
; %bb.1369:                             ;   in Loop: Header=BB11_1361 Depth=1
	s_cmp_eq_u32 s15, 0
	s_cbranch_scc1 .LBB11_1373
; %bb.1370:                             ;   in Loop: Header=BB11_1361 Depth=1
	s_mov_b64 s[10:11], 0
	v_mov_b64_e32 v[10:11], 0
	s_mov_b64 s[16:17], 0
.LBB11_1371:                            ;   Parent Loop BB11_1361 Depth=1
                                        ; =>  This Inner Loop Header: Depth=2
	s_add_u32 s18, s0, s16
	s_addc_u32 s19, s1, s17
	global_load_ubyte v6, v29, s[18:19]
	s_add_u32 s16, s16, 1
	s_addc_u32 s17, s17, 0
	s_waitcnt vmcnt(0)
	v_and_b32_e32 v28, 0xffff, v6
	v_lshlrev_b64 v[6:7], s10, v[28:29]
	s_add_u32 s10, s10, 8
	s_addc_u32 s11, s11, 0
	v_or_b32_e32 v10, v6, v10
	s_cmp_lg_u32 s15, s16
	v_or_b32_e32 v11, v7, v11
	s_cbranch_scc1 .LBB11_1371
	s_branch .LBB11_1374
.LBB11_1372:                            ;   in Loop: Header=BB11_1361 Depth=1
                                        ; implicit-def: $vgpr10_vgpr11
                                        ; implicit-def: $sgpr18
	s_branch .LBB11_1375
.LBB11_1373:                            ;   in Loop: Header=BB11_1361 Depth=1
	v_mov_b64_e32 v[10:11], 0
.LBB11_1374:                            ;   in Loop: Header=BB11_1361 Depth=1
	s_mov_b32 s18, 0
	s_cbranch_execnz .LBB11_1376
.LBB11_1375:                            ;   in Loop: Header=BB11_1361 Depth=1
	global_load_dwordx2 v[10:11], v29, s[0:1]
	s_add_i32 s18, s15, -8
	s_add_u32 s0, s0, 8
	s_addc_u32 s1, s1, 0
.LBB11_1376:                            ;   in Loop: Header=BB11_1361 Depth=1
	s_cmp_gt_u32 s18, 7
	s_cbranch_scc1 .LBB11_1380
; %bb.1377:                             ;   in Loop: Header=BB11_1361 Depth=1
	s_cmp_eq_u32 s18, 0
	s_cbranch_scc1 .LBB11_1381
; %bb.1378:                             ;   in Loop: Header=BB11_1361 Depth=1
	s_mov_b64 s[10:11], 0
	v_mov_b64_e32 v[12:13], 0
	s_mov_b64 s[16:17], 0
.LBB11_1379:                            ;   Parent Loop BB11_1361 Depth=1
                                        ; =>  This Inner Loop Header: Depth=2
	s_add_u32 s20, s0, s16
	s_addc_u32 s21, s1, s17
	global_load_ubyte v6, v29, s[20:21]
	s_add_u32 s16, s16, 1
	s_addc_u32 s17, s17, 0
	s_waitcnt vmcnt(0)
	v_and_b32_e32 v28, 0xffff, v6
	v_lshlrev_b64 v[6:7], s10, v[28:29]
	s_add_u32 s10, s10, 8
	s_addc_u32 s11, s11, 0
	v_or_b32_e32 v12, v6, v12
	s_cmp_lg_u32 s18, s16
	v_or_b32_e32 v13, v7, v13
	s_cbranch_scc1 .LBB11_1379
	s_branch .LBB11_1382
.LBB11_1380:                            ;   in Loop: Header=BB11_1361 Depth=1
                                        ; implicit-def: $sgpr15
	s_branch .LBB11_1383
.LBB11_1381:                            ;   in Loop: Header=BB11_1361 Depth=1
	v_mov_b64_e32 v[12:13], 0
.LBB11_1382:                            ;   in Loop: Header=BB11_1361 Depth=1
	s_mov_b32 s15, 0
	s_cbranch_execnz .LBB11_1384
.LBB11_1383:                            ;   in Loop: Header=BB11_1361 Depth=1
	global_load_dwordx2 v[12:13], v29, s[0:1]
	s_add_i32 s15, s18, -8
	s_add_u32 s0, s0, 8
	s_addc_u32 s1, s1, 0
.LBB11_1384:                            ;   in Loop: Header=BB11_1361 Depth=1
	s_cmp_gt_u32 s15, 7
	s_cbranch_scc1 .LBB11_1388
; %bb.1385:                             ;   in Loop: Header=BB11_1361 Depth=1
	s_cmp_eq_u32 s15, 0
	s_cbranch_scc1 .LBB11_1389
; %bb.1386:                             ;   in Loop: Header=BB11_1361 Depth=1
	s_mov_b64 s[10:11], 0
	v_mov_b64_e32 v[14:15], 0
	s_mov_b64 s[16:17], 0
.LBB11_1387:                            ;   Parent Loop BB11_1361 Depth=1
                                        ; =>  This Inner Loop Header: Depth=2
	s_add_u32 s18, s0, s16
	s_addc_u32 s19, s1, s17
	global_load_ubyte v6, v29, s[18:19]
	s_add_u32 s16, s16, 1
	s_addc_u32 s17, s17, 0
	s_waitcnt vmcnt(0)
	v_and_b32_e32 v28, 0xffff, v6
	v_lshlrev_b64 v[6:7], s10, v[28:29]
	s_add_u32 s10, s10, 8
	s_addc_u32 s11, s11, 0
	v_or_b32_e32 v14, v6, v14
	s_cmp_lg_u32 s15, s16
	v_or_b32_e32 v15, v7, v15
	s_cbranch_scc1 .LBB11_1387
	s_branch .LBB11_1390
.LBB11_1388:                            ;   in Loop: Header=BB11_1361 Depth=1
                                        ; implicit-def: $vgpr14_vgpr15
                                        ; implicit-def: $sgpr18
	s_branch .LBB11_1391
.LBB11_1389:                            ;   in Loop: Header=BB11_1361 Depth=1
	v_mov_b64_e32 v[14:15], 0
.LBB11_1390:                            ;   in Loop: Header=BB11_1361 Depth=1
	s_mov_b32 s18, 0
	s_cbranch_execnz .LBB11_1392
.LBB11_1391:                            ;   in Loop: Header=BB11_1361 Depth=1
	global_load_dwordx2 v[14:15], v29, s[0:1]
	s_add_i32 s18, s15, -8
	s_add_u32 s0, s0, 8
	s_addc_u32 s1, s1, 0
.LBB11_1392:                            ;   in Loop: Header=BB11_1361 Depth=1
	s_cmp_gt_u32 s18, 7
	s_cbranch_scc1 .LBB11_1396
; %bb.1393:                             ;   in Loop: Header=BB11_1361 Depth=1
	s_cmp_eq_u32 s18, 0
	s_cbranch_scc1 .LBB11_1397
; %bb.1394:                             ;   in Loop: Header=BB11_1361 Depth=1
	s_mov_b64 s[10:11], 0
	v_mov_b64_e32 v[16:17], 0
	s_mov_b64 s[16:17], 0
.LBB11_1395:                            ;   Parent Loop BB11_1361 Depth=1
                                        ; =>  This Inner Loop Header: Depth=2
	s_add_u32 s20, s0, s16
	s_addc_u32 s21, s1, s17
	global_load_ubyte v6, v29, s[20:21]
	s_add_u32 s16, s16, 1
	s_addc_u32 s17, s17, 0
	s_waitcnt vmcnt(0)
	v_and_b32_e32 v28, 0xffff, v6
	v_lshlrev_b64 v[6:7], s10, v[28:29]
	s_add_u32 s10, s10, 8
	s_addc_u32 s11, s11, 0
	v_or_b32_e32 v16, v6, v16
	s_cmp_lg_u32 s18, s16
	v_or_b32_e32 v17, v7, v17
	s_cbranch_scc1 .LBB11_1395
	s_branch .LBB11_1398
.LBB11_1396:                            ;   in Loop: Header=BB11_1361 Depth=1
                                        ; implicit-def: $sgpr15
	s_branch .LBB11_1399
.LBB11_1397:                            ;   in Loop: Header=BB11_1361 Depth=1
	v_mov_b64_e32 v[16:17], 0
.LBB11_1398:                            ;   in Loop: Header=BB11_1361 Depth=1
	s_mov_b32 s15, 0
	s_cbranch_execnz .LBB11_1400
.LBB11_1399:                            ;   in Loop: Header=BB11_1361 Depth=1
	global_load_dwordx2 v[16:17], v29, s[0:1]
	s_add_i32 s15, s18, -8
	s_add_u32 s0, s0, 8
	s_addc_u32 s1, s1, 0
.LBB11_1400:                            ;   in Loop: Header=BB11_1361 Depth=1
	s_cmp_gt_u32 s15, 7
	s_cbranch_scc1 .LBB11_1404
; %bb.1401:                             ;   in Loop: Header=BB11_1361 Depth=1
	s_cmp_eq_u32 s15, 0
	s_cbranch_scc1 .LBB11_1405
; %bb.1402:                             ;   in Loop: Header=BB11_1361 Depth=1
	s_mov_b64 s[10:11], 0
	v_mov_b64_e32 v[18:19], 0
	s_mov_b64 s[16:17], 0
.LBB11_1403:                            ;   Parent Loop BB11_1361 Depth=1
                                        ; =>  This Inner Loop Header: Depth=2
	s_add_u32 s18, s0, s16
	s_addc_u32 s19, s1, s17
	global_load_ubyte v6, v29, s[18:19]
	s_add_u32 s16, s16, 1
	s_addc_u32 s17, s17, 0
	s_waitcnt vmcnt(0)
	v_and_b32_e32 v28, 0xffff, v6
	v_lshlrev_b64 v[6:7], s10, v[28:29]
	s_add_u32 s10, s10, 8
	s_addc_u32 s11, s11, 0
	v_or_b32_e32 v18, v6, v18
	s_cmp_lg_u32 s15, s16
	v_or_b32_e32 v19, v7, v19
	s_cbranch_scc1 .LBB11_1403
	s_branch .LBB11_1406
.LBB11_1404:                            ;   in Loop: Header=BB11_1361 Depth=1
                                        ; implicit-def: $vgpr18_vgpr19
                                        ; implicit-def: $sgpr18
	s_branch .LBB11_1407
.LBB11_1405:                            ;   in Loop: Header=BB11_1361 Depth=1
	v_mov_b64_e32 v[18:19], 0
.LBB11_1406:                            ;   in Loop: Header=BB11_1361 Depth=1
	s_mov_b32 s18, 0
	s_cbranch_execnz .LBB11_1408
.LBB11_1407:                            ;   in Loop: Header=BB11_1361 Depth=1
	global_load_dwordx2 v[18:19], v29, s[0:1]
	s_add_i32 s18, s15, -8
	s_add_u32 s0, s0, 8
	s_addc_u32 s1, s1, 0
.LBB11_1408:                            ;   in Loop: Header=BB11_1361 Depth=1
	s_cmp_gt_u32 s18, 7
	s_cbranch_scc1 .LBB11_1412
; %bb.1409:                             ;   in Loop: Header=BB11_1361 Depth=1
	s_cmp_eq_u32 s18, 0
	s_cbranch_scc1 .LBB11_1413
; %bb.1410:                             ;   in Loop: Header=BB11_1361 Depth=1
	s_mov_b64 s[10:11], 0
	v_mov_b64_e32 v[20:21], 0
	s_mov_b64 s[16:17], s[0:1]
.LBB11_1411:                            ;   Parent Loop BB11_1361 Depth=1
                                        ; =>  This Inner Loop Header: Depth=2
	global_load_ubyte v6, v29, s[16:17]
	s_add_i32 s18, s18, -1
	s_waitcnt vmcnt(0)
	v_and_b32_e32 v28, 0xffff, v6
	v_lshlrev_b64 v[6:7], s10, v[28:29]
	s_add_u32 s10, s10, 8
	s_addc_u32 s11, s11, 0
	s_add_u32 s16, s16, 1
	s_addc_u32 s17, s17, 0
	v_or_b32_e32 v20, v6, v20
	s_cmp_lg_u32 s18, 0
	v_or_b32_e32 v21, v7, v21
	s_cbranch_scc1 .LBB11_1411
	s_branch .LBB11_1414
.LBB11_1412:                            ;   in Loop: Header=BB11_1361 Depth=1
	s_branch .LBB11_1415
.LBB11_1413:                            ;   in Loop: Header=BB11_1361 Depth=1
	v_mov_b64_e32 v[20:21], 0
.LBB11_1414:                            ;   in Loop: Header=BB11_1361 Depth=1
	s_cbranch_execnz .LBB11_1416
.LBB11_1415:                            ;   in Loop: Header=BB11_1361 Depth=1
	global_load_dwordx2 v[20:21], v29, s[0:1]
.LBB11_1416:                            ;   in Loop: Header=BB11_1361 Depth=1
	v_readfirstlane_b32 s0, v47
	v_mov_b64_e32 v[6:7], 0
	s_nop 0
	v_cmp_eq_u32_e64 s[0:1], s0, v47
	s_and_saveexec_b64 s[10:11], s[0:1]
	s_cbranch_execz .LBB11_1422
; %bb.1417:                             ;   in Loop: Header=BB11_1361 Depth=1
	global_load_dwordx2 v[24:25], v29, s[44:45] offset:24 sc0 sc1
	s_waitcnt vmcnt(0)
	buffer_inv sc0 sc1
	global_load_dwordx2 v[6:7], v29, s[44:45] offset:40
	global_load_dwordx2 v[22:23], v29, s[44:45]
	s_waitcnt vmcnt(1)
	v_and_b32_e32 v6, v6, v24
	v_and_b32_e32 v7, v7, v25
	v_mul_lo_u32 v7, v7, 24
	v_mul_hi_u32 v27, v6, 24
	v_add_u32_e32 v7, v27, v7
	v_mul_lo_u32 v6, v6, 24
	s_waitcnt vmcnt(0)
	v_lshl_add_u64 v[6:7], v[22:23], 0, v[6:7]
	global_load_dwordx2 v[22:23], v[6:7], off sc0 sc1
	s_waitcnt vmcnt(0)
	global_atomic_cmpswap_x2 v[6:7], v29, v[22:25], s[44:45] offset:24 sc0 sc1
	s_waitcnt vmcnt(0)
	buffer_inv sc0 sc1
	v_cmp_ne_u64_e32 vcc, v[6:7], v[24:25]
	s_and_saveexec_b64 s[16:17], vcc
	s_cbranch_execz .LBB11_1421
; %bb.1418:                             ;   in Loop: Header=BB11_1361 Depth=1
	s_mov_b64 s[18:19], 0
.LBB11_1419:                            ;   Parent Loop BB11_1361 Depth=1
                                        ; =>  This Inner Loop Header: Depth=2
	s_sleep 1
	global_load_dwordx2 v[22:23], v29, s[44:45] offset:40
	global_load_dwordx2 v[30:31], v29, s[44:45]
	v_mov_b64_e32 v[24:25], v[6:7]
	s_waitcnt vmcnt(1)
	v_and_b32_e32 v6, v22, v24
	s_waitcnt vmcnt(0)
	v_mad_u64_u32 v[6:7], s[20:21], v6, 24, v[30:31]
	v_and_b32_e32 v23, v23, v25
	v_mov_b32_e32 v22, v7
	v_mad_u64_u32 v[22:23], s[20:21], v23, 24, v[22:23]
	v_mov_b32_e32 v7, v22
	global_load_dwordx2 v[22:23], v[6:7], off sc0 sc1
	s_waitcnt vmcnt(0)
	global_atomic_cmpswap_x2 v[6:7], v29, v[22:25], s[44:45] offset:24 sc0 sc1
	s_waitcnt vmcnt(0)
	buffer_inv sc0 sc1
	v_cmp_eq_u64_e32 vcc, v[6:7], v[24:25]
	s_or_b64 s[18:19], vcc, s[18:19]
	s_andn2_b64 exec, exec, s[18:19]
	s_cbranch_execnz .LBB11_1419
; %bb.1420:                             ;   in Loop: Header=BB11_1361 Depth=1
	s_or_b64 exec, exec, s[18:19]
.LBB11_1421:                            ;   in Loop: Header=BB11_1361 Depth=1
	s_or_b64 exec, exec, s[16:17]
.LBB11_1422:                            ;   in Loop: Header=BB11_1361 Depth=1
	s_or_b64 exec, exec, s[10:11]
	global_load_dwordx2 v[30:31], v29, s[44:45] offset:40
	global_load_dwordx4 v[22:25], v29, s[44:45]
	v_readfirstlane_b32 s10, v6
	v_readfirstlane_b32 s11, v7
	s_mov_b64 s[16:17], exec
	s_waitcnt vmcnt(1)
	v_readfirstlane_b32 s18, v30
	v_readfirstlane_b32 s19, v31
	s_and_b64 s[18:19], s[10:11], s[18:19]
	s_mul_i32 s15, s19, 24
	s_mul_hi_u32 s20, s18, 24
	s_add_i32 s21, s20, s15
	s_mul_i32 s20, s18, 24
	s_waitcnt vmcnt(0)
	v_lshl_add_u64 v[30:31], v[22:23], 0, s[20:21]
	s_and_saveexec_b64 s[20:21], s[0:1]
	s_cbranch_execz .LBB11_1424
; %bb.1423:                             ;   in Loop: Header=BB11_1361 Depth=1
	v_mov_b64_e32 v[6:7], s[16:17]
	global_store_dwordx4 v[30:31], v[6:9], off offset:8
.LBB11_1424:                            ;   in Loop: Header=BB11_1361 Depth=1
	s_or_b64 exec, exec, s[20:21]
	s_lshl_b64 s[16:17], s[18:19], 12
	v_lshl_add_u64 v[6:7], v[24:25], 0, s[16:17]
	v_or_b32_e32 v25, v0, v26
	v_cmp_gt_u64_e64 vcc, s[4:5], 56
	s_lshl_b32 s15, s6, 2
	s_add_i32 s15, s15, 28
	v_cndmask_b32_e32 v0, v25, v0, vcc
	v_or_b32_e32 v24, 0, v1
	s_and_b32 s15, s15, 0x1e0
	v_and_b32_e32 v0, 0xffffff1f, v0
	v_cndmask_b32_e32 v1, v24, v1, vcc
	v_or_b32_e32 v0, s15, v0
	v_readfirstlane_b32 s16, v6
	v_readfirstlane_b32 s17, v7
	s_nop 4
	global_store_dwordx4 v60, v[0:3], s[16:17]
	global_store_dwordx4 v60, v[10:13], s[16:17] offset:16
	global_store_dwordx4 v60, v[14:17], s[16:17] offset:32
	;; [unrolled: 1-line block ×3, first 2 shown]
	s_and_saveexec_b64 s[16:17], s[0:1]
	s_cbranch_execz .LBB11_1432
; %bb.1425:                             ;   in Loop: Header=BB11_1361 Depth=1
	global_load_dwordx2 v[14:15], v29, s[44:45] offset:32 sc0 sc1
	global_load_dwordx2 v[0:1], v29, s[44:45] offset:40
	v_mov_b32_e32 v12, s10
	v_mov_b32_e32 v13, s11
	s_waitcnt vmcnt(0)
	v_readfirstlane_b32 s18, v0
	v_readfirstlane_b32 s19, v1
	s_and_b64 s[18:19], s[18:19], s[10:11]
	s_mul_i32 s15, s19, 24
	s_mul_hi_u32 s19, s18, 24
	s_mul_i32 s18, s18, 24
	s_add_i32 s19, s19, s15
	v_lshl_add_u64 v[10:11], v[22:23], 0, s[18:19]
	global_store_dwordx2 v[10:11], v[14:15], off
	buffer_wbl2 sc0 sc1
	s_waitcnt vmcnt(0)
	global_atomic_cmpswap_x2 v[2:3], v29, v[12:15], s[44:45] offset:32 sc0 sc1
	s_waitcnt vmcnt(0)
	v_cmp_ne_u64_e32 vcc, v[2:3], v[14:15]
	s_and_saveexec_b64 s[18:19], vcc
	s_cbranch_execz .LBB11_1428
; %bb.1426:                             ;   in Loop: Header=BB11_1361 Depth=1
	s_mov_b64 s[20:21], 0
.LBB11_1427:                            ;   Parent Loop BB11_1361 Depth=1
                                        ; =>  This Inner Loop Header: Depth=2
	s_sleep 1
	global_store_dwordx2 v[10:11], v[2:3], off
	v_mov_b32_e32 v0, s10
	v_mov_b32_e32 v1, s11
	buffer_wbl2 sc0 sc1
	s_waitcnt vmcnt(0)
	global_atomic_cmpswap_x2 v[0:1], v29, v[0:3], s[44:45] offset:32 sc0 sc1
	s_waitcnt vmcnt(0)
	v_cmp_eq_u64_e32 vcc, v[0:1], v[2:3]
	s_or_b64 s[20:21], vcc, s[20:21]
	v_mov_b64_e32 v[2:3], v[0:1]
	s_andn2_b64 exec, exec, s[20:21]
	s_cbranch_execnz .LBB11_1427
.LBB11_1428:                            ;   in Loop: Header=BB11_1361 Depth=1
	s_or_b64 exec, exec, s[18:19]
	global_load_dwordx2 v[0:1], v29, s[44:45] offset:16
	s_mov_b64 s[20:21], exec
	v_mbcnt_lo_u32_b32 v2, s20, 0
	v_mbcnt_hi_u32_b32 v2, s21, v2
	v_cmp_eq_u32_e32 vcc, 0, v2
	s_and_saveexec_b64 s[18:19], vcc
	s_cbranch_execz .LBB11_1430
; %bb.1429:                             ;   in Loop: Header=BB11_1361 Depth=1
	s_bcnt1_i32_b64 s15, s[20:21]
	v_mov_b32_e32 v28, s15
	buffer_wbl2 sc0 sc1
	s_waitcnt vmcnt(0)
	global_atomic_add_x2 v[0:1], v[28:29], off offset:8 sc1
.LBB11_1430:                            ;   in Loop: Header=BB11_1361 Depth=1
	s_or_b64 exec, exec, s[18:19]
	s_waitcnt vmcnt(0)
	global_load_dwordx2 v[2:3], v[0:1], off offset:16
	s_waitcnt vmcnt(0)
	v_cmp_eq_u64_e32 vcc, 0, v[2:3]
	s_cbranch_vccnz .LBB11_1432
; %bb.1431:                             ;   in Loop: Header=BB11_1361 Depth=1
	global_load_dword v28, v[0:1], off offset:24
	s_waitcnt vmcnt(0)
	v_and_b32_e32 v0, 0xffffff, v28
	s_nop 0
	v_readfirstlane_b32 m0, v0
	buffer_wbl2 sc0 sc1
	global_store_dwordx2 v[2:3], v[28:29], off sc0 sc1
	s_sendmsg sendmsg(MSG_INTERRUPT)
.LBB11_1432:                            ;   in Loop: Header=BB11_1361 Depth=1
	s_or_b64 exec, exec, s[16:17]
	v_mov_b32_e32 v61, v29
	v_lshl_add_u64 v[0:1], v[6:7], 0, v[60:61]
	s_branch .LBB11_1436
.LBB11_1433:                            ;   in Loop: Header=BB11_1436 Depth=2
	s_or_b64 exec, exec, s[16:17]
	v_readfirstlane_b32 s15, v2
	s_cmp_eq_u32 s15, 0
	s_cbranch_scc1 .LBB11_1435
; %bb.1434:                             ;   in Loop: Header=BB11_1436 Depth=2
	s_sleep 1
	s_cbranch_execnz .LBB11_1436
	s_branch .LBB11_1438
.LBB11_1435:                            ;   in Loop: Header=BB11_1361 Depth=1
	s_branch .LBB11_1438
.LBB11_1436:                            ;   Parent Loop BB11_1361 Depth=1
                                        ; =>  This Inner Loop Header: Depth=2
	v_mov_b32_e32 v2, 1
	s_and_saveexec_b64 s[16:17], s[0:1]
	s_cbranch_execz .LBB11_1433
; %bb.1437:                             ;   in Loop: Header=BB11_1436 Depth=2
	global_load_dword v2, v[30:31], off offset:20 sc0 sc1
	s_waitcnt vmcnt(0)
	buffer_inv sc0 sc1
	v_and_b32_e32 v2, 1, v2
	s_branch .LBB11_1433
.LBB11_1438:                            ;   in Loop: Header=BB11_1361 Depth=1
	global_load_dwordx4 v[0:3], v[0:1], off
	s_and_saveexec_b64 s[16:17], s[0:1]
	s_cbranch_execz .LBB11_1360
; %bb.1439:                             ;   in Loop: Header=BB11_1361 Depth=1
	global_load_dwordx2 v[2:3], v29, s[44:45] offset:40
	global_load_dwordx2 v[6:7], v29, s[44:45] offset:24 sc0 sc1
	global_load_dwordx2 v[14:15], v29, s[44:45]
	s_waitcnt vmcnt(2)
	v_lshl_add_u64 v[10:11], v[2:3], 0, 1
	v_lshl_add_u64 v[16:17], v[10:11], 0, s[10:11]
	v_cmp_eq_u64_e32 vcc, 0, v[16:17]
	s_waitcnt vmcnt(1)
	v_mov_b32_e32 v12, v6
	v_cndmask_b32_e32 v11, v17, v11, vcc
	v_cndmask_b32_e32 v10, v16, v10, vcc
	v_and_b32_e32 v3, v11, v3
	v_and_b32_e32 v2, v10, v2
	v_mul_lo_u32 v3, v3, 24
	v_mul_hi_u32 v13, v2, 24
	v_mul_lo_u32 v2, v2, 24
	v_add_u32_e32 v3, v13, v3
	s_waitcnt vmcnt(0)
	v_lshl_add_u64 v[2:3], v[14:15], 0, v[2:3]
	global_store_dwordx2 v[2:3], v[6:7], off
	v_mov_b32_e32 v13, v7
	buffer_wbl2 sc0 sc1
	s_waitcnt vmcnt(0)
	global_atomic_cmpswap_x2 v[12:13], v29, v[10:13], s[44:45] offset:24 sc0 sc1
	s_waitcnt vmcnt(0)
	v_cmp_ne_u64_e32 vcc, v[12:13], v[6:7]
	s_and_b64 exec, exec, vcc
	s_cbranch_execz .LBB11_1360
; %bb.1440:                             ;   in Loop: Header=BB11_1361 Depth=1
	s_mov_b64 s[0:1], 0
.LBB11_1441:                            ;   Parent Loop BB11_1361 Depth=1
                                        ; =>  This Inner Loop Header: Depth=2
	s_sleep 1
	global_store_dwordx2 v[2:3], v[12:13], off
	buffer_wbl2 sc0 sc1
	s_waitcnt vmcnt(0)
	global_atomic_cmpswap_x2 v[6:7], v29, v[10:13], s[44:45] offset:24 sc0 sc1
	s_waitcnt vmcnt(0)
	v_cmp_eq_u64_e32 vcc, v[6:7], v[12:13]
	s_or_b64 s[0:1], vcc, s[0:1]
	v_mov_b64_e32 v[12:13], v[6:7]
	s_andn2_b64 exec, exec, s[0:1]
	s_cbranch_execnz .LBB11_1441
	s_branch .LBB11_1360
.LBB11_1442:
	s_branch .LBB11_1470
.LBB11_1443:
                                        ; implicit-def: $vgpr0_vgpr1
	s_cbranch_execz .LBB11_1470
; %bb.1444:
	v_readfirstlane_b32 s0, v47
	v_mov_b64_e32 v[6:7], 0
	s_nop 0
	v_cmp_eq_u32_e64 s[0:1], s0, v47
	s_and_saveexec_b64 s[2:3], s[0:1]
	s_cbranch_execz .LBB11_1450
; %bb.1445:
	s_waitcnt vmcnt(0)
	v_mov_b32_e32 v0, 0
	global_load_dwordx2 v[8:9], v0, s[44:45] offset:24 sc0 sc1
	s_waitcnt vmcnt(0)
	buffer_inv sc0 sc1
	global_load_dwordx2 v[2:3], v0, s[44:45] offset:40
	global_load_dwordx2 v[6:7], v0, s[44:45]
	s_waitcnt vmcnt(1)
	v_and_b32_e32 v1, v2, v8
	v_and_b32_e32 v2, v3, v9
	v_mul_lo_u32 v2, v2, 24
	v_mul_hi_u32 v3, v1, 24
	v_add_u32_e32 v3, v3, v2
	v_mul_lo_u32 v2, v1, 24
	s_waitcnt vmcnt(0)
	v_lshl_add_u64 v[2:3], v[6:7], 0, v[2:3]
	global_load_dwordx2 v[6:7], v[2:3], off sc0 sc1
	s_waitcnt vmcnt(0)
	global_atomic_cmpswap_x2 v[6:7], v0, v[6:9], s[44:45] offset:24 sc0 sc1
	s_waitcnt vmcnt(0)
	buffer_inv sc0 sc1
	v_cmp_ne_u64_e32 vcc, v[6:7], v[8:9]
	s_and_saveexec_b64 s[4:5], vcc
	s_cbranch_execz .LBB11_1449
; %bb.1446:
	s_mov_b64 s[6:7], 0
.LBB11_1447:                            ; =>This Inner Loop Header: Depth=1
	s_sleep 1
	global_load_dwordx2 v[2:3], v0, s[44:45] offset:40
	global_load_dwordx2 v[10:11], v0, s[44:45]
	v_mov_b64_e32 v[8:9], v[6:7]
	s_waitcnt vmcnt(1)
	v_and_b32_e32 v2, v2, v8
	v_and_b32_e32 v1, v3, v9
	s_waitcnt vmcnt(0)
	v_mad_u64_u32 v[2:3], s[10:11], v2, 24, v[10:11]
	v_mov_b32_e32 v6, v3
	v_mad_u64_u32 v[6:7], s[10:11], v1, 24, v[6:7]
	v_mov_b32_e32 v3, v6
	global_load_dwordx2 v[6:7], v[2:3], off sc0 sc1
	s_waitcnt vmcnt(0)
	global_atomic_cmpswap_x2 v[6:7], v0, v[6:9], s[44:45] offset:24 sc0 sc1
	s_waitcnt vmcnt(0)
	buffer_inv sc0 sc1
	v_cmp_eq_u64_e32 vcc, v[6:7], v[8:9]
	s_or_b64 s[6:7], vcc, s[6:7]
	s_andn2_b64 exec, exec, s[6:7]
	s_cbranch_execnz .LBB11_1447
; %bb.1448:
	s_or_b64 exec, exec, s[6:7]
.LBB11_1449:
	s_or_b64 exec, exec, s[4:5]
.LBB11_1450:
	s_or_b64 exec, exec, s[2:3]
	v_mov_b32_e32 v61, 0
	global_load_dwordx2 v[8:9], v61, s[44:45] offset:40
	global_load_dwordx4 v[0:3], v61, s[44:45]
	v_readfirstlane_b32 s2, v6
	v_readfirstlane_b32 s3, v7
	s_mov_b64 s[4:5], exec
	s_waitcnt vmcnt(1)
	v_readfirstlane_b32 s6, v8
	v_readfirstlane_b32 s7, v9
	s_and_b64 s[6:7], s[2:3], s[6:7]
	s_mul_i32 s10, s7, 24
	s_mul_hi_u32 s11, s6, 24
	s_add_i32 s11, s11, s10
	s_mul_i32 s10, s6, 24
	s_waitcnt vmcnt(0)
	v_lshl_add_u64 v[8:9], v[0:1], 0, s[10:11]
	s_and_saveexec_b64 s[10:11], s[0:1]
	s_cbranch_execz .LBB11_1452
; %bb.1451:
	v_mov_b64_e32 v[10:11], s[4:5]
	v_mov_b32_e32 v12, 2
	v_mov_b32_e32 v13, 1
	global_store_dwordx4 v[8:9], v[10:13], off offset:8
.LBB11_1452:
	s_or_b64 exec, exec, s[10:11]
	s_lshl_b64 s[4:5], s[6:7], 12
	v_lshl_add_u64 v[10:11], v[2:3], 0, s[4:5]
	s_movk_i32 s4, 0xff1f
	v_and_or_b32 v4, v4, s4, 32
	s_mov_b32 s4, 0
	v_mov_b32_e32 v6, v61
	v_mov_b32_e32 v7, v61
	v_readfirstlane_b32 s10, v10
	v_readfirstlane_b32 s11, v11
	s_mov_b32 s5, s4
	s_mov_b32 s6, s4
	;; [unrolled: 1-line block ×3, first 2 shown]
	s_nop 1
	global_store_dwordx4 v60, v[4:7], s[10:11]
	v_mov_b64_e32 v[2:3], s[4:5]
	s_nop 0
	v_mov_b64_e32 v[4:5], s[6:7]
	global_store_dwordx4 v60, v[2:5], s[10:11] offset:16
	global_store_dwordx4 v60, v[2:5], s[10:11] offset:32
	;; [unrolled: 1-line block ×3, first 2 shown]
	s_and_saveexec_b64 s[4:5], s[0:1]
	s_cbranch_execz .LBB11_1460
; %bb.1453:
	v_mov_b32_e32 v6, 0
	global_load_dwordx2 v[14:15], v6, s[44:45] offset:32 sc0 sc1
	global_load_dwordx2 v[2:3], v6, s[44:45] offset:40
	v_mov_b32_e32 v12, s2
	v_mov_b32_e32 v13, s3
	s_waitcnt vmcnt(0)
	v_readfirstlane_b32 s6, v2
	v_readfirstlane_b32 s7, v3
	s_and_b64 s[6:7], s[6:7], s[2:3]
	s_mul_i32 s7, s7, 24
	s_mul_hi_u32 s10, s6, 24
	s_mul_i32 s6, s6, 24
	s_add_i32 s7, s10, s7
	v_lshl_add_u64 v[4:5], v[0:1], 0, s[6:7]
	global_store_dwordx2 v[4:5], v[14:15], off
	buffer_wbl2 sc0 sc1
	s_waitcnt vmcnt(0)
	global_atomic_cmpswap_x2 v[2:3], v6, v[12:15], s[44:45] offset:32 sc0 sc1
	s_waitcnt vmcnt(0)
	v_cmp_ne_u64_e32 vcc, v[2:3], v[14:15]
	s_and_saveexec_b64 s[6:7], vcc
	s_cbranch_execz .LBB11_1456
; %bb.1454:
	s_mov_b64 s[10:11], 0
.LBB11_1455:                            ; =>This Inner Loop Header: Depth=1
	s_sleep 1
	global_store_dwordx2 v[4:5], v[2:3], off
	v_mov_b32_e32 v0, s2
	v_mov_b32_e32 v1, s3
	buffer_wbl2 sc0 sc1
	s_waitcnt vmcnt(0)
	global_atomic_cmpswap_x2 v[0:1], v6, v[0:3], s[44:45] offset:32 sc0 sc1
	s_waitcnt vmcnt(0)
	v_cmp_eq_u64_e32 vcc, v[0:1], v[2:3]
	s_or_b64 s[10:11], vcc, s[10:11]
	v_mov_b64_e32 v[2:3], v[0:1]
	s_andn2_b64 exec, exec, s[10:11]
	s_cbranch_execnz .LBB11_1455
.LBB11_1456:
	s_or_b64 exec, exec, s[6:7]
	v_mov_b32_e32 v3, 0
	global_load_dwordx2 v[0:1], v3, s[44:45] offset:16
	s_mov_b64 s[6:7], exec
	v_mbcnt_lo_u32_b32 v2, s6, 0
	v_mbcnt_hi_u32_b32 v2, s7, v2
	v_cmp_eq_u32_e32 vcc, 0, v2
	s_and_saveexec_b64 s[10:11], vcc
	s_cbranch_execz .LBB11_1458
; %bb.1457:
	s_bcnt1_i32_b64 s6, s[6:7]
	v_mov_b32_e32 v2, s6
	buffer_wbl2 sc0 sc1
	s_waitcnt vmcnt(0)
	global_atomic_add_x2 v[0:1], v[2:3], off offset:8 sc1
.LBB11_1458:
	s_or_b64 exec, exec, s[10:11]
	s_waitcnt vmcnt(0)
	global_load_dwordx2 v[2:3], v[0:1], off offset:16
	s_waitcnt vmcnt(0)
	v_cmp_eq_u64_e32 vcc, 0, v[2:3]
	s_cbranch_vccnz .LBB11_1460
; %bb.1459:
	global_load_dword v0, v[0:1], off offset:24
	v_mov_b32_e32 v1, 0
	buffer_wbl2 sc0 sc1
	s_waitcnt vmcnt(0)
	global_store_dwordx2 v[2:3], v[0:1], off sc0 sc1
	v_and_b32_e32 v0, 0xffffff, v0
	s_nop 0
	v_readfirstlane_b32 m0, v0
	s_sendmsg sendmsg(MSG_INTERRUPT)
.LBB11_1460:
	s_or_b64 exec, exec, s[4:5]
	v_lshl_add_u64 v[0:1], v[10:11], 0, v[60:61]
	s_branch .LBB11_1464
.LBB11_1461:                            ;   in Loop: Header=BB11_1464 Depth=1
	s_or_b64 exec, exec, s[4:5]
	v_readfirstlane_b32 s4, v2
	s_cmp_eq_u32 s4, 0
	s_cbranch_scc1 .LBB11_1463
; %bb.1462:                             ;   in Loop: Header=BB11_1464 Depth=1
	s_sleep 1
	s_cbranch_execnz .LBB11_1464
	s_branch .LBB11_1466
.LBB11_1463:
	s_branch .LBB11_1466
.LBB11_1464:                            ; =>This Inner Loop Header: Depth=1
	v_mov_b32_e32 v2, 1
	s_and_saveexec_b64 s[4:5], s[0:1]
	s_cbranch_execz .LBB11_1461
; %bb.1465:                             ;   in Loop: Header=BB11_1464 Depth=1
	global_load_dword v2, v[8:9], off offset:20 sc0 sc1
	s_waitcnt vmcnt(0)
	buffer_inv sc0 sc1
	v_and_b32_e32 v2, 1, v2
	s_branch .LBB11_1461
.LBB11_1466:
	global_load_dwordx2 v[0:1], v[0:1], off
	s_and_saveexec_b64 s[4:5], s[0:1]
	s_cbranch_execz .LBB11_1469
; %bb.1467:
	v_mov_b32_e32 v8, 0
	global_load_dwordx2 v[6:7], v8, s[44:45] offset:40
	global_load_dwordx2 v[10:11], v8, s[44:45] offset:24 sc0 sc1
	global_load_dwordx2 v[12:13], v8, s[44:45]
	s_mov_b64 s[0:1], 0
	s_waitcnt vmcnt(2)
	v_lshl_add_u64 v[2:3], v[6:7], 0, 1
	v_lshl_add_u64 v[14:15], v[2:3], 0, s[2:3]
	v_cmp_eq_u64_e32 vcc, 0, v[14:15]
	s_waitcnt vmcnt(1)
	v_mov_b32_e32 v4, v10
	v_cndmask_b32_e32 v3, v15, v3, vcc
	v_cndmask_b32_e32 v2, v14, v2, vcc
	v_and_b32_e32 v5, v3, v7
	v_and_b32_e32 v6, v2, v6
	v_mul_lo_u32 v5, v5, 24
	v_mul_hi_u32 v7, v6, 24
	v_mul_lo_u32 v6, v6, 24
	v_add_u32_e32 v7, v7, v5
	s_waitcnt vmcnt(0)
	v_lshl_add_u64 v[6:7], v[12:13], 0, v[6:7]
	global_store_dwordx2 v[6:7], v[10:11], off
	v_mov_b32_e32 v5, v11
	buffer_wbl2 sc0 sc1
	s_waitcnt vmcnt(0)
	global_atomic_cmpswap_x2 v[4:5], v8, v[2:5], s[44:45] offset:24 sc0 sc1
	s_waitcnt vmcnt(0)
	v_cmp_ne_u64_e32 vcc, v[4:5], v[10:11]
	s_and_b64 exec, exec, vcc
	s_cbranch_execz .LBB11_1469
.LBB11_1468:                            ; =>This Inner Loop Header: Depth=1
	s_sleep 1
	global_store_dwordx2 v[6:7], v[4:5], off
	buffer_wbl2 sc0 sc1
	s_waitcnt vmcnt(0)
	global_atomic_cmpswap_x2 v[10:11], v8, v[2:5], s[44:45] offset:24 sc0 sc1
	s_waitcnt vmcnt(0)
	v_cmp_eq_u64_e32 vcc, v[10:11], v[4:5]
	s_or_b64 s[0:1], vcc, s[0:1]
	v_mov_b64_e32 v[4:5], v[10:11]
	s_andn2_b64 exec, exec, s[0:1]
	s_cbranch_execnz .LBB11_1468
.LBB11_1469:
	s_or_b64 exec, exec, s[4:5]
.LBB11_1470:
	s_getpc_b64 s[2:3]
	s_add_u32 s2, s2, .str.2@rel32@lo+4
	s_addc_u32 s3, s3, .str.2@rel32@hi+12
	s_cmp_lg_u64 s[2:3], 0
	s_cbranch_scc0 .LBB11_1555
; %bb.1471:
	s_waitcnt vmcnt(0)
	v_and_b32_e32 v6, -3, v0
	v_mov_b32_e32 v7, v1
	s_mov_b64 s[4:5], 13
	v_mov_b32_e32 v27, 0
	v_mov_b32_e32 v4, 2
	;; [unrolled: 1-line block ×3, first 2 shown]
	s_branch .LBB11_1473
.LBB11_1472:                            ;   in Loop: Header=BB11_1473 Depth=1
	s_or_b64 exec, exec, s[16:17]
	s_sub_u32 s4, s4, s6
	s_subb_u32 s5, s5, s7
	s_add_u32 s2, s2, s6
	s_addc_u32 s3, s3, s7
	s_cmp_lg_u64 s[4:5], 0
	s_cbranch_scc0 .LBB11_1554
.LBB11_1473:                            ; =>This Loop Header: Depth=1
                                        ;     Child Loop BB11_1476 Depth 2
                                        ;     Child Loop BB11_1483 Depth 2
	;; [unrolled: 1-line block ×11, first 2 shown]
	v_cmp_lt_u64_e64 s[0:1], s[4:5], 56
	s_and_b64 s[0:1], s[0:1], exec
	v_cmp_gt_u64_e64 s[0:1], s[4:5], 7
	s_cselect_b32 s7, s5, 0
	s_cselect_b32 s6, s4, 56
	s_and_b64 vcc, exec, s[0:1]
	s_cbranch_vccnz .LBB11_1478
; %bb.1474:                             ;   in Loop: Header=BB11_1473 Depth=1
	s_mov_b64 s[0:1], 0
	s_cmp_eq_u64 s[4:5], 0
	s_waitcnt vmcnt(0)
	v_mov_b64_e32 v[8:9], 0
	s_cbranch_scc1 .LBB11_1477
; %bb.1475:                             ;   in Loop: Header=BB11_1473 Depth=1
	s_lshl_b64 s[10:11], s[6:7], 3
	s_mov_b64 s[16:17], 0
	v_mov_b64_e32 v[8:9], 0
	s_mov_b64 s[18:19], s[2:3]
.LBB11_1476:                            ;   Parent Loop BB11_1473 Depth=1
                                        ; =>  This Inner Loop Header: Depth=2
	global_load_ubyte v2, v27, s[18:19]
	s_waitcnt vmcnt(0)
	v_and_b32_e32 v26, 0xffff, v2
	v_lshlrev_b64 v[2:3], s16, v[26:27]
	s_add_u32 s16, s16, 8
	s_addc_u32 s17, s17, 0
	s_add_u32 s18, s18, 1
	s_addc_u32 s19, s19, 0
	v_or_b32_e32 v8, v2, v8
	s_cmp_lg_u32 s10, s16
	v_or_b32_e32 v9, v3, v9
	s_cbranch_scc1 .LBB11_1476
.LBB11_1477:                            ;   in Loop: Header=BB11_1473 Depth=1
	s_mov_b32 s15, 0
	s_andn2_b64 vcc, exec, s[0:1]
	s_mov_b64 s[0:1], s[2:3]
	s_cbranch_vccz .LBB11_1479
	s_branch .LBB11_1480
.LBB11_1478:                            ;   in Loop: Header=BB11_1473 Depth=1
                                        ; implicit-def: $sgpr15
	s_mov_b64 s[0:1], s[2:3]
.LBB11_1479:                            ;   in Loop: Header=BB11_1473 Depth=1
	global_load_dwordx2 v[8:9], v27, s[2:3]
	s_add_i32 s15, s6, -8
	s_add_u32 s0, s2, 8
	s_addc_u32 s1, s3, 0
.LBB11_1480:                            ;   in Loop: Header=BB11_1473 Depth=1
	s_cmp_gt_u32 s15, 7
	s_cbranch_scc1 .LBB11_1484
; %bb.1481:                             ;   in Loop: Header=BB11_1473 Depth=1
	s_cmp_eq_u32 s15, 0
	s_cbranch_scc1 .LBB11_1485
; %bb.1482:                             ;   in Loop: Header=BB11_1473 Depth=1
	s_mov_b64 s[10:11], 0
	v_mov_b64_e32 v[10:11], 0
	s_mov_b64 s[16:17], 0
.LBB11_1483:                            ;   Parent Loop BB11_1473 Depth=1
                                        ; =>  This Inner Loop Header: Depth=2
	s_add_u32 s18, s0, s16
	s_addc_u32 s19, s1, s17
	global_load_ubyte v2, v27, s[18:19]
	s_add_u32 s16, s16, 1
	s_addc_u32 s17, s17, 0
	s_waitcnt vmcnt(0)
	v_and_b32_e32 v26, 0xffff, v2
	v_lshlrev_b64 v[2:3], s10, v[26:27]
	s_add_u32 s10, s10, 8
	s_addc_u32 s11, s11, 0
	v_or_b32_e32 v10, v2, v10
	s_cmp_lg_u32 s15, s16
	v_or_b32_e32 v11, v3, v11
	s_cbranch_scc1 .LBB11_1483
	s_branch .LBB11_1486
.LBB11_1484:                            ;   in Loop: Header=BB11_1473 Depth=1
                                        ; implicit-def: $vgpr10_vgpr11
                                        ; implicit-def: $sgpr18
	s_branch .LBB11_1487
.LBB11_1485:                            ;   in Loop: Header=BB11_1473 Depth=1
	v_mov_b64_e32 v[10:11], 0
.LBB11_1486:                            ;   in Loop: Header=BB11_1473 Depth=1
	s_mov_b32 s18, 0
	s_cbranch_execnz .LBB11_1488
.LBB11_1487:                            ;   in Loop: Header=BB11_1473 Depth=1
	global_load_dwordx2 v[10:11], v27, s[0:1]
	s_add_i32 s18, s15, -8
	s_add_u32 s0, s0, 8
	s_addc_u32 s1, s1, 0
.LBB11_1488:                            ;   in Loop: Header=BB11_1473 Depth=1
	s_cmp_gt_u32 s18, 7
	s_cbranch_scc1 .LBB11_1492
; %bb.1489:                             ;   in Loop: Header=BB11_1473 Depth=1
	s_cmp_eq_u32 s18, 0
	s_cbranch_scc1 .LBB11_1493
; %bb.1490:                             ;   in Loop: Header=BB11_1473 Depth=1
	s_mov_b64 s[10:11], 0
	v_mov_b64_e32 v[12:13], 0
	s_mov_b64 s[16:17], 0
.LBB11_1491:                            ;   Parent Loop BB11_1473 Depth=1
                                        ; =>  This Inner Loop Header: Depth=2
	s_add_u32 s20, s0, s16
	s_addc_u32 s21, s1, s17
	global_load_ubyte v2, v27, s[20:21]
	s_add_u32 s16, s16, 1
	s_addc_u32 s17, s17, 0
	s_waitcnt vmcnt(0)
	v_and_b32_e32 v26, 0xffff, v2
	v_lshlrev_b64 v[2:3], s10, v[26:27]
	s_add_u32 s10, s10, 8
	s_addc_u32 s11, s11, 0
	v_or_b32_e32 v12, v2, v12
	s_cmp_lg_u32 s18, s16
	v_or_b32_e32 v13, v3, v13
	s_cbranch_scc1 .LBB11_1491
	s_branch .LBB11_1494
.LBB11_1492:                            ;   in Loop: Header=BB11_1473 Depth=1
                                        ; implicit-def: $sgpr15
	s_branch .LBB11_1495
.LBB11_1493:                            ;   in Loop: Header=BB11_1473 Depth=1
	v_mov_b64_e32 v[12:13], 0
.LBB11_1494:                            ;   in Loop: Header=BB11_1473 Depth=1
	s_mov_b32 s15, 0
	s_cbranch_execnz .LBB11_1496
.LBB11_1495:                            ;   in Loop: Header=BB11_1473 Depth=1
	global_load_dwordx2 v[12:13], v27, s[0:1]
	s_add_i32 s15, s18, -8
	s_add_u32 s0, s0, 8
	s_addc_u32 s1, s1, 0
.LBB11_1496:                            ;   in Loop: Header=BB11_1473 Depth=1
	s_cmp_gt_u32 s15, 7
	s_cbranch_scc1 .LBB11_1500
; %bb.1497:                             ;   in Loop: Header=BB11_1473 Depth=1
	s_cmp_eq_u32 s15, 0
	s_cbranch_scc1 .LBB11_1501
; %bb.1498:                             ;   in Loop: Header=BB11_1473 Depth=1
	s_mov_b64 s[10:11], 0
	v_mov_b64_e32 v[14:15], 0
	s_mov_b64 s[16:17], 0
.LBB11_1499:                            ;   Parent Loop BB11_1473 Depth=1
                                        ; =>  This Inner Loop Header: Depth=2
	s_add_u32 s18, s0, s16
	s_addc_u32 s19, s1, s17
	global_load_ubyte v2, v27, s[18:19]
	s_add_u32 s16, s16, 1
	s_addc_u32 s17, s17, 0
	s_waitcnt vmcnt(0)
	v_and_b32_e32 v26, 0xffff, v2
	v_lshlrev_b64 v[2:3], s10, v[26:27]
	s_add_u32 s10, s10, 8
	s_addc_u32 s11, s11, 0
	v_or_b32_e32 v14, v2, v14
	s_cmp_lg_u32 s15, s16
	v_or_b32_e32 v15, v3, v15
	s_cbranch_scc1 .LBB11_1499
	s_branch .LBB11_1502
.LBB11_1500:                            ;   in Loop: Header=BB11_1473 Depth=1
                                        ; implicit-def: $vgpr14_vgpr15
                                        ; implicit-def: $sgpr18
	s_branch .LBB11_1503
.LBB11_1501:                            ;   in Loop: Header=BB11_1473 Depth=1
	v_mov_b64_e32 v[14:15], 0
.LBB11_1502:                            ;   in Loop: Header=BB11_1473 Depth=1
	s_mov_b32 s18, 0
	s_cbranch_execnz .LBB11_1504
.LBB11_1503:                            ;   in Loop: Header=BB11_1473 Depth=1
	global_load_dwordx2 v[14:15], v27, s[0:1]
	s_add_i32 s18, s15, -8
	s_add_u32 s0, s0, 8
	s_addc_u32 s1, s1, 0
.LBB11_1504:                            ;   in Loop: Header=BB11_1473 Depth=1
	s_cmp_gt_u32 s18, 7
	s_cbranch_scc1 .LBB11_1508
; %bb.1505:                             ;   in Loop: Header=BB11_1473 Depth=1
	s_cmp_eq_u32 s18, 0
	s_cbranch_scc1 .LBB11_1509
; %bb.1506:                             ;   in Loop: Header=BB11_1473 Depth=1
	s_mov_b64 s[10:11], 0
	v_mov_b64_e32 v[16:17], 0
	s_mov_b64 s[16:17], 0
.LBB11_1507:                            ;   Parent Loop BB11_1473 Depth=1
                                        ; =>  This Inner Loop Header: Depth=2
	s_add_u32 s20, s0, s16
	s_addc_u32 s21, s1, s17
	global_load_ubyte v2, v27, s[20:21]
	s_add_u32 s16, s16, 1
	s_addc_u32 s17, s17, 0
	s_waitcnt vmcnt(0)
	v_and_b32_e32 v26, 0xffff, v2
	v_lshlrev_b64 v[2:3], s10, v[26:27]
	s_add_u32 s10, s10, 8
	s_addc_u32 s11, s11, 0
	v_or_b32_e32 v16, v2, v16
	s_cmp_lg_u32 s18, s16
	v_or_b32_e32 v17, v3, v17
	s_cbranch_scc1 .LBB11_1507
	s_branch .LBB11_1510
.LBB11_1508:                            ;   in Loop: Header=BB11_1473 Depth=1
                                        ; implicit-def: $sgpr15
	s_branch .LBB11_1511
.LBB11_1509:                            ;   in Loop: Header=BB11_1473 Depth=1
	v_mov_b64_e32 v[16:17], 0
.LBB11_1510:                            ;   in Loop: Header=BB11_1473 Depth=1
	s_mov_b32 s15, 0
	s_cbranch_execnz .LBB11_1512
.LBB11_1511:                            ;   in Loop: Header=BB11_1473 Depth=1
	global_load_dwordx2 v[16:17], v27, s[0:1]
	s_add_i32 s15, s18, -8
	s_add_u32 s0, s0, 8
	s_addc_u32 s1, s1, 0
.LBB11_1512:                            ;   in Loop: Header=BB11_1473 Depth=1
	s_cmp_gt_u32 s15, 7
	s_cbranch_scc1 .LBB11_1516
; %bb.1513:                             ;   in Loop: Header=BB11_1473 Depth=1
	s_cmp_eq_u32 s15, 0
	s_cbranch_scc1 .LBB11_1517
; %bb.1514:                             ;   in Loop: Header=BB11_1473 Depth=1
	s_mov_b64 s[10:11], 0
	v_mov_b64_e32 v[18:19], 0
	s_mov_b64 s[16:17], 0
.LBB11_1515:                            ;   Parent Loop BB11_1473 Depth=1
                                        ; =>  This Inner Loop Header: Depth=2
	s_add_u32 s18, s0, s16
	s_addc_u32 s19, s1, s17
	global_load_ubyte v2, v27, s[18:19]
	s_add_u32 s16, s16, 1
	s_addc_u32 s17, s17, 0
	s_waitcnt vmcnt(0)
	v_and_b32_e32 v26, 0xffff, v2
	v_lshlrev_b64 v[2:3], s10, v[26:27]
	s_add_u32 s10, s10, 8
	s_addc_u32 s11, s11, 0
	v_or_b32_e32 v18, v2, v18
	s_cmp_lg_u32 s15, s16
	v_or_b32_e32 v19, v3, v19
	s_cbranch_scc1 .LBB11_1515
	s_branch .LBB11_1518
.LBB11_1516:                            ;   in Loop: Header=BB11_1473 Depth=1
                                        ; implicit-def: $vgpr18_vgpr19
                                        ; implicit-def: $sgpr18
	s_branch .LBB11_1519
.LBB11_1517:                            ;   in Loop: Header=BB11_1473 Depth=1
	v_mov_b64_e32 v[18:19], 0
.LBB11_1518:                            ;   in Loop: Header=BB11_1473 Depth=1
	s_mov_b32 s18, 0
	s_cbranch_execnz .LBB11_1520
.LBB11_1519:                            ;   in Loop: Header=BB11_1473 Depth=1
	global_load_dwordx2 v[18:19], v27, s[0:1]
	s_add_i32 s18, s15, -8
	s_add_u32 s0, s0, 8
	s_addc_u32 s1, s1, 0
.LBB11_1520:                            ;   in Loop: Header=BB11_1473 Depth=1
	s_cmp_gt_u32 s18, 7
	s_cbranch_scc1 .LBB11_1524
; %bb.1521:                             ;   in Loop: Header=BB11_1473 Depth=1
	s_cmp_eq_u32 s18, 0
	s_cbranch_scc1 .LBB11_1525
; %bb.1522:                             ;   in Loop: Header=BB11_1473 Depth=1
	s_mov_b64 s[10:11], 0
	v_mov_b64_e32 v[20:21], 0
	s_mov_b64 s[16:17], s[0:1]
.LBB11_1523:                            ;   Parent Loop BB11_1473 Depth=1
                                        ; =>  This Inner Loop Header: Depth=2
	global_load_ubyte v2, v27, s[16:17]
	s_add_i32 s18, s18, -1
	s_waitcnt vmcnt(0)
	v_and_b32_e32 v26, 0xffff, v2
	v_lshlrev_b64 v[2:3], s10, v[26:27]
	s_add_u32 s10, s10, 8
	s_addc_u32 s11, s11, 0
	s_add_u32 s16, s16, 1
	s_addc_u32 s17, s17, 0
	v_or_b32_e32 v20, v2, v20
	s_cmp_lg_u32 s18, 0
	v_or_b32_e32 v21, v3, v21
	s_cbranch_scc1 .LBB11_1523
	s_branch .LBB11_1526
.LBB11_1524:                            ;   in Loop: Header=BB11_1473 Depth=1
	s_branch .LBB11_1527
.LBB11_1525:                            ;   in Loop: Header=BB11_1473 Depth=1
	v_mov_b64_e32 v[20:21], 0
.LBB11_1526:                            ;   in Loop: Header=BB11_1473 Depth=1
	s_cbranch_execnz .LBB11_1528
.LBB11_1527:                            ;   in Loop: Header=BB11_1473 Depth=1
	global_load_dwordx2 v[20:21], v27, s[0:1]
.LBB11_1528:                            ;   in Loop: Header=BB11_1473 Depth=1
	v_readfirstlane_b32 s0, v47
	v_mov_b64_e32 v[2:3], 0
	s_nop 0
	v_cmp_eq_u32_e64 s[0:1], s0, v47
	s_and_saveexec_b64 s[10:11], s[0:1]
	s_cbranch_execz .LBB11_1534
; %bb.1529:                             ;   in Loop: Header=BB11_1473 Depth=1
	global_load_dwordx2 v[24:25], v27, s[44:45] offset:24 sc0 sc1
	s_waitcnt vmcnt(0)
	buffer_inv sc0 sc1
	global_load_dwordx2 v[2:3], v27, s[44:45] offset:40
	global_load_dwordx2 v[22:23], v27, s[44:45]
	s_waitcnt vmcnt(1)
	v_and_b32_e32 v2, v2, v24
	v_and_b32_e32 v3, v3, v25
	v_mul_lo_u32 v3, v3, 24
	v_mul_hi_u32 v26, v2, 24
	v_add_u32_e32 v3, v26, v3
	v_mul_lo_u32 v2, v2, 24
	s_waitcnt vmcnt(0)
	v_lshl_add_u64 v[2:3], v[22:23], 0, v[2:3]
	global_load_dwordx2 v[22:23], v[2:3], off sc0 sc1
	s_waitcnt vmcnt(0)
	global_atomic_cmpswap_x2 v[2:3], v27, v[22:25], s[44:45] offset:24 sc0 sc1
	s_waitcnt vmcnt(0)
	buffer_inv sc0 sc1
	v_cmp_ne_u64_e32 vcc, v[2:3], v[24:25]
	s_and_saveexec_b64 s[16:17], vcc
	s_cbranch_execz .LBB11_1533
; %bb.1530:                             ;   in Loop: Header=BB11_1473 Depth=1
	s_mov_b64 s[18:19], 0
.LBB11_1531:                            ;   Parent Loop BB11_1473 Depth=1
                                        ; =>  This Inner Loop Header: Depth=2
	s_sleep 1
	global_load_dwordx2 v[22:23], v27, s[44:45] offset:40
	global_load_dwordx2 v[28:29], v27, s[44:45]
	v_mov_b64_e32 v[24:25], v[2:3]
	s_waitcnt vmcnt(1)
	v_and_b32_e32 v2, v22, v24
	s_waitcnt vmcnt(0)
	v_mad_u64_u32 v[2:3], s[20:21], v2, 24, v[28:29]
	v_and_b32_e32 v23, v23, v25
	v_mov_b32_e32 v22, v3
	v_mad_u64_u32 v[22:23], s[20:21], v23, 24, v[22:23]
	v_mov_b32_e32 v3, v22
	global_load_dwordx2 v[22:23], v[2:3], off sc0 sc1
	s_waitcnt vmcnt(0)
	global_atomic_cmpswap_x2 v[2:3], v27, v[22:25], s[44:45] offset:24 sc0 sc1
	s_waitcnt vmcnt(0)
	buffer_inv sc0 sc1
	v_cmp_eq_u64_e32 vcc, v[2:3], v[24:25]
	s_or_b64 s[18:19], vcc, s[18:19]
	s_andn2_b64 exec, exec, s[18:19]
	s_cbranch_execnz .LBB11_1531
; %bb.1532:                             ;   in Loop: Header=BB11_1473 Depth=1
	s_or_b64 exec, exec, s[18:19]
.LBB11_1533:                            ;   in Loop: Header=BB11_1473 Depth=1
	s_or_b64 exec, exec, s[16:17]
.LBB11_1534:                            ;   in Loop: Header=BB11_1473 Depth=1
	s_or_b64 exec, exec, s[10:11]
	global_load_dwordx2 v[28:29], v27, s[44:45] offset:40
	global_load_dwordx4 v[22:25], v27, s[44:45]
	v_readfirstlane_b32 s10, v2
	v_readfirstlane_b32 s11, v3
	s_mov_b64 s[16:17], exec
	s_waitcnt vmcnt(1)
	v_readfirstlane_b32 s18, v28
	v_readfirstlane_b32 s19, v29
	s_and_b64 s[18:19], s[10:11], s[18:19]
	s_mul_i32 s15, s19, 24
	s_mul_hi_u32 s20, s18, 24
	s_add_i32 s21, s20, s15
	s_mul_i32 s20, s18, 24
	s_waitcnt vmcnt(0)
	v_lshl_add_u64 v[28:29], v[22:23], 0, s[20:21]
	s_and_saveexec_b64 s[20:21], s[0:1]
	s_cbranch_execz .LBB11_1536
; %bb.1535:                             ;   in Loop: Header=BB11_1473 Depth=1
	v_mov_b64_e32 v[2:3], s[16:17]
	global_store_dwordx4 v[28:29], v[2:5], off offset:8
.LBB11_1536:                            ;   in Loop: Header=BB11_1473 Depth=1
	s_or_b64 exec, exec, s[20:21]
	s_lshl_b64 s[16:17], s[18:19], 12
	v_lshl_add_u64 v[2:3], v[24:25], 0, s[16:17]
	v_or_b32_e32 v24, 2, v6
	v_cmp_gt_u64_e64 vcc, s[4:5], 56
	s_lshl_b32 s15, s6, 2
	s_add_i32 s15, s15, 28
	v_cndmask_b32_e32 v6, v24, v6, vcc
	s_and_b32 s15, s15, 0x1e0
	v_and_b32_e32 v6, 0xffffff1f, v6
	v_or_b32_e32 v6, s15, v6
	v_readfirstlane_b32 s16, v2
	v_readfirstlane_b32 s17, v3
	s_nop 4
	global_store_dwordx4 v60, v[6:9], s[16:17]
	global_store_dwordx4 v60, v[10:13], s[16:17] offset:16
	global_store_dwordx4 v60, v[14:17], s[16:17] offset:32
	;; [unrolled: 1-line block ×3, first 2 shown]
	s_and_saveexec_b64 s[16:17], s[0:1]
	s_cbranch_execz .LBB11_1544
; %bb.1537:                             ;   in Loop: Header=BB11_1473 Depth=1
	global_load_dwordx2 v[14:15], v27, s[44:45] offset:32 sc0 sc1
	global_load_dwordx2 v[6:7], v27, s[44:45] offset:40
	v_mov_b32_e32 v12, s10
	v_mov_b32_e32 v13, s11
	s_waitcnt vmcnt(0)
	v_readfirstlane_b32 s18, v6
	v_readfirstlane_b32 s19, v7
	s_and_b64 s[18:19], s[18:19], s[10:11]
	s_mul_i32 s15, s19, 24
	s_mul_hi_u32 s19, s18, 24
	s_mul_i32 s18, s18, 24
	s_add_i32 s19, s19, s15
	v_lshl_add_u64 v[10:11], v[22:23], 0, s[18:19]
	global_store_dwordx2 v[10:11], v[14:15], off
	buffer_wbl2 sc0 sc1
	s_waitcnt vmcnt(0)
	global_atomic_cmpswap_x2 v[8:9], v27, v[12:15], s[44:45] offset:32 sc0 sc1
	s_waitcnt vmcnt(0)
	v_cmp_ne_u64_e32 vcc, v[8:9], v[14:15]
	s_and_saveexec_b64 s[18:19], vcc
	s_cbranch_execz .LBB11_1540
; %bb.1538:                             ;   in Loop: Header=BB11_1473 Depth=1
	s_mov_b64 s[20:21], 0
.LBB11_1539:                            ;   Parent Loop BB11_1473 Depth=1
                                        ; =>  This Inner Loop Header: Depth=2
	s_sleep 1
	global_store_dwordx2 v[10:11], v[8:9], off
	v_mov_b32_e32 v6, s10
	v_mov_b32_e32 v7, s11
	buffer_wbl2 sc0 sc1
	s_waitcnt vmcnt(0)
	global_atomic_cmpswap_x2 v[6:7], v27, v[6:9], s[44:45] offset:32 sc0 sc1
	s_waitcnt vmcnt(0)
	v_cmp_eq_u64_e32 vcc, v[6:7], v[8:9]
	s_or_b64 s[20:21], vcc, s[20:21]
	v_mov_b64_e32 v[8:9], v[6:7]
	s_andn2_b64 exec, exec, s[20:21]
	s_cbranch_execnz .LBB11_1539
.LBB11_1540:                            ;   in Loop: Header=BB11_1473 Depth=1
	s_or_b64 exec, exec, s[18:19]
	global_load_dwordx2 v[6:7], v27, s[44:45] offset:16
	s_mov_b64 s[20:21], exec
	v_mbcnt_lo_u32_b32 v8, s20, 0
	v_mbcnt_hi_u32_b32 v8, s21, v8
	v_cmp_eq_u32_e32 vcc, 0, v8
	s_and_saveexec_b64 s[18:19], vcc
	s_cbranch_execz .LBB11_1542
; %bb.1541:                             ;   in Loop: Header=BB11_1473 Depth=1
	s_bcnt1_i32_b64 s15, s[20:21]
	v_mov_b32_e32 v26, s15
	buffer_wbl2 sc0 sc1
	s_waitcnt vmcnt(0)
	global_atomic_add_x2 v[6:7], v[26:27], off offset:8 sc1
.LBB11_1542:                            ;   in Loop: Header=BB11_1473 Depth=1
	s_or_b64 exec, exec, s[18:19]
	s_waitcnt vmcnt(0)
	global_load_dwordx2 v[8:9], v[6:7], off offset:16
	s_waitcnt vmcnt(0)
	v_cmp_eq_u64_e32 vcc, 0, v[8:9]
	s_cbranch_vccnz .LBB11_1544
; %bb.1543:                             ;   in Loop: Header=BB11_1473 Depth=1
	global_load_dword v26, v[6:7], off offset:24
	s_waitcnt vmcnt(0)
	v_and_b32_e32 v6, 0xffffff, v26
	s_nop 0
	v_readfirstlane_b32 m0, v6
	buffer_wbl2 sc0 sc1
	global_store_dwordx2 v[8:9], v[26:27], off sc0 sc1
	s_sendmsg sendmsg(MSG_INTERRUPT)
.LBB11_1544:                            ;   in Loop: Header=BB11_1473 Depth=1
	s_or_b64 exec, exec, s[16:17]
	v_mov_b32_e32 v61, v27
	v_lshl_add_u64 v[2:3], v[2:3], 0, v[60:61]
	s_branch .LBB11_1548
.LBB11_1545:                            ;   in Loop: Header=BB11_1548 Depth=2
	s_or_b64 exec, exec, s[16:17]
	v_readfirstlane_b32 s15, v6
	s_cmp_eq_u32 s15, 0
	s_cbranch_scc1 .LBB11_1547
; %bb.1546:                             ;   in Loop: Header=BB11_1548 Depth=2
	s_sleep 1
	s_cbranch_execnz .LBB11_1548
	s_branch .LBB11_1550
.LBB11_1547:                            ;   in Loop: Header=BB11_1473 Depth=1
	s_branch .LBB11_1550
.LBB11_1548:                            ;   Parent Loop BB11_1473 Depth=1
                                        ; =>  This Inner Loop Header: Depth=2
	v_mov_b32_e32 v6, 1
	s_and_saveexec_b64 s[16:17], s[0:1]
	s_cbranch_execz .LBB11_1545
; %bb.1549:                             ;   in Loop: Header=BB11_1548 Depth=2
	global_load_dword v6, v[28:29], off offset:20 sc0 sc1
	s_waitcnt vmcnt(0)
	buffer_inv sc0 sc1
	v_and_b32_e32 v6, 1, v6
	s_branch .LBB11_1545
.LBB11_1550:                            ;   in Loop: Header=BB11_1473 Depth=1
	global_load_dwordx4 v[6:9], v[2:3], off
	s_and_saveexec_b64 s[16:17], s[0:1]
	s_cbranch_execz .LBB11_1472
; %bb.1551:                             ;   in Loop: Header=BB11_1473 Depth=1
	global_load_dwordx2 v[2:3], v27, s[44:45] offset:40
	global_load_dwordx2 v[12:13], v27, s[44:45] offset:24 sc0 sc1
	global_load_dwordx2 v[14:15], v27, s[44:45]
	s_waitcnt vmcnt(2)
	v_lshl_add_u64 v[8:9], v[2:3], 0, 1
	v_lshl_add_u64 v[16:17], v[8:9], 0, s[10:11]
	v_cmp_eq_u64_e32 vcc, 0, v[16:17]
	s_waitcnt vmcnt(1)
	v_mov_b32_e32 v10, v12
	v_cndmask_b32_e32 v9, v17, v9, vcc
	v_cndmask_b32_e32 v8, v16, v8, vcc
	v_and_b32_e32 v3, v9, v3
	v_and_b32_e32 v2, v8, v2
	v_mul_lo_u32 v3, v3, 24
	v_mul_hi_u32 v11, v2, 24
	v_mul_lo_u32 v2, v2, 24
	v_add_u32_e32 v3, v11, v3
	s_waitcnt vmcnt(0)
	v_lshl_add_u64 v[2:3], v[14:15], 0, v[2:3]
	global_store_dwordx2 v[2:3], v[12:13], off
	v_mov_b32_e32 v11, v13
	buffer_wbl2 sc0 sc1
	s_waitcnt vmcnt(0)
	global_atomic_cmpswap_x2 v[10:11], v27, v[8:11], s[44:45] offset:24 sc0 sc1
	s_waitcnt vmcnt(0)
	v_cmp_ne_u64_e32 vcc, v[10:11], v[12:13]
	s_and_b64 exec, exec, vcc
	s_cbranch_execz .LBB11_1472
; %bb.1552:                             ;   in Loop: Header=BB11_1473 Depth=1
	s_mov_b64 s[0:1], 0
.LBB11_1553:                            ;   Parent Loop BB11_1473 Depth=1
                                        ; =>  This Inner Loop Header: Depth=2
	s_sleep 1
	global_store_dwordx2 v[2:3], v[10:11], off
	buffer_wbl2 sc0 sc1
	s_waitcnt vmcnt(0)
	global_atomic_cmpswap_x2 v[12:13], v27, v[8:11], s[44:45] offset:24 sc0 sc1
	s_waitcnt vmcnt(0)
	v_cmp_eq_u64_e32 vcc, v[12:13], v[10:11]
	s_or_b64 s[0:1], vcc, s[0:1]
	v_mov_b64_e32 v[10:11], v[12:13]
	s_andn2_b64 exec, exec, s[0:1]
	s_cbranch_execnz .LBB11_1553
	s_branch .LBB11_1472
.LBB11_1554:
	s_mov_b64 s[0:1], 0
	s_branch .LBB11_1556
.LBB11_1555:
	s_mov_b64 s[0:1], -1
.LBB11_1556:
	s_mov_b32 s48, s12
	s_mov_b32 s49, s13
	;; [unrolled: 1-line block ×3, first 2 shown]
	s_and_b64 vcc, exec, s[0:1]
	s_cbranch_vccz .LBB11_1583
; %bb.1557:
	v_readfirstlane_b32 s0, v47
	s_waitcnt vmcnt(0)
	v_mov_b64_e32 v[8:9], 0
	v_cmp_eq_u32_e64 s[0:1], s0, v47
	s_and_saveexec_b64 s[2:3], s[0:1]
	s_cbranch_execz .LBB11_1563
; %bb.1558:
	v_mov_b32_e32 v2, 0
	global_load_dwordx2 v[6:7], v2, s[44:45] offset:24 sc0 sc1
	s_waitcnt vmcnt(0)
	buffer_inv sc0 sc1
	global_load_dwordx2 v[4:5], v2, s[44:45] offset:40
	global_load_dwordx2 v[8:9], v2, s[44:45]
	s_waitcnt vmcnt(1)
	v_and_b32_e32 v3, v4, v6
	v_and_b32_e32 v4, v5, v7
	v_mul_lo_u32 v4, v4, 24
	v_mul_hi_u32 v5, v3, 24
	v_add_u32_e32 v5, v5, v4
	v_mul_lo_u32 v4, v3, 24
	s_waitcnt vmcnt(0)
	v_lshl_add_u64 v[4:5], v[8:9], 0, v[4:5]
	global_load_dwordx2 v[4:5], v[4:5], off sc0 sc1
	s_waitcnt vmcnt(0)
	global_atomic_cmpswap_x2 v[8:9], v2, v[4:7], s[44:45] offset:24 sc0 sc1
	s_waitcnt vmcnt(0)
	buffer_inv sc0 sc1
	v_cmp_ne_u64_e32 vcc, v[8:9], v[6:7]
	s_and_saveexec_b64 s[4:5], vcc
	s_cbranch_execz .LBB11_1562
; %bb.1559:
	s_mov_b64 s[6:7], 0
.LBB11_1560:                            ; =>This Inner Loop Header: Depth=1
	s_sleep 1
	global_load_dwordx2 v[4:5], v2, s[44:45] offset:40
	global_load_dwordx2 v[10:11], v2, s[44:45]
	v_mov_b64_e32 v[6:7], v[8:9]
	s_waitcnt vmcnt(1)
	v_and_b32_e32 v4, v4, v6
	v_and_b32_e32 v3, v5, v7
	s_waitcnt vmcnt(0)
	v_mad_u64_u32 v[4:5], s[10:11], v4, 24, v[10:11]
	v_mov_b32_e32 v8, v5
	v_mad_u64_u32 v[8:9], s[10:11], v3, 24, v[8:9]
	v_mov_b32_e32 v5, v8
	global_load_dwordx2 v[4:5], v[4:5], off sc0 sc1
	s_waitcnt vmcnt(0)
	global_atomic_cmpswap_x2 v[8:9], v2, v[4:7], s[44:45] offset:24 sc0 sc1
	s_waitcnt vmcnt(0)
	buffer_inv sc0 sc1
	v_cmp_eq_u64_e32 vcc, v[8:9], v[6:7]
	s_or_b64 s[6:7], vcc, s[6:7]
	s_andn2_b64 exec, exec, s[6:7]
	s_cbranch_execnz .LBB11_1560
; %bb.1561:
	s_or_b64 exec, exec, s[6:7]
.LBB11_1562:
	s_or_b64 exec, exec, s[4:5]
.LBB11_1563:
	s_or_b64 exec, exec, s[2:3]
	v_mov_b32_e32 v2, 0
	global_load_dwordx2 v[10:11], v2, s[44:45] offset:40
	global_load_dwordx4 v[4:7], v2, s[44:45]
	v_readfirstlane_b32 s2, v8
	v_readfirstlane_b32 s3, v9
	s_mov_b64 s[4:5], exec
	s_waitcnt vmcnt(1)
	v_readfirstlane_b32 s6, v10
	v_readfirstlane_b32 s7, v11
	s_and_b64 s[6:7], s[2:3], s[6:7]
	s_mul_i32 s10, s7, 24
	s_mul_hi_u32 s11, s6, 24
	s_add_i32 s11, s11, s10
	s_mul_i32 s10, s6, 24
	s_waitcnt vmcnt(0)
	v_lshl_add_u64 v[8:9], v[4:5], 0, s[10:11]
	s_and_saveexec_b64 s[10:11], s[0:1]
	s_cbranch_execz .LBB11_1565
; %bb.1564:
	v_mov_b64_e32 v[10:11], s[4:5]
	v_mov_b32_e32 v12, 2
	v_mov_b32_e32 v13, 1
	global_store_dwordx4 v[8:9], v[10:13], off offset:8
.LBB11_1565:
	s_or_b64 exec, exec, s[10:11]
	s_lshl_b64 s[4:5], s[6:7], 12
	v_lshl_add_u64 v[6:7], v[6:7], 0, s[4:5]
	s_movk_i32 s4, 0xff1d
	v_and_or_b32 v0, v0, s4, 34
	s_mov_b32 s4, 0
	v_mov_b32_e32 v3, v2
	v_readfirstlane_b32 s10, v6
	v_readfirstlane_b32 s11, v7
	s_mov_b32 s5, s4
	s_mov_b32 s6, s4
	;; [unrolled: 1-line block ×3, first 2 shown]
	s_nop 1
	global_store_dwordx4 v60, v[0:3], s[10:11]
	s_nop 1
	v_mov_b64_e32 v[0:1], s[4:5]
	v_mov_b64_e32 v[2:3], s[6:7]
	global_store_dwordx4 v60, v[0:3], s[10:11] offset:16
	global_store_dwordx4 v60, v[0:3], s[10:11] offset:32
	;; [unrolled: 1-line block ×3, first 2 shown]
	s_and_saveexec_b64 s[4:5], s[0:1]
	s_cbranch_execz .LBB11_1573
; %bb.1566:
	v_mov_b32_e32 v6, 0
	global_load_dwordx2 v[12:13], v6, s[44:45] offset:32 sc0 sc1
	global_load_dwordx2 v[0:1], v6, s[44:45] offset:40
	v_mov_b32_e32 v10, s2
	v_mov_b32_e32 v11, s3
	s_waitcnt vmcnt(0)
	v_readfirstlane_b32 s6, v0
	v_readfirstlane_b32 s7, v1
	s_and_b64 s[6:7], s[6:7], s[2:3]
	s_mul_i32 s7, s7, 24
	s_mul_hi_u32 s10, s6, 24
	s_mul_i32 s6, s6, 24
	s_add_i32 s7, s10, s7
	v_lshl_add_u64 v[4:5], v[4:5], 0, s[6:7]
	global_store_dwordx2 v[4:5], v[12:13], off
	buffer_wbl2 sc0 sc1
	s_waitcnt vmcnt(0)
	global_atomic_cmpswap_x2 v[2:3], v6, v[10:13], s[44:45] offset:32 sc0 sc1
	s_waitcnt vmcnt(0)
	v_cmp_ne_u64_e32 vcc, v[2:3], v[12:13]
	s_and_saveexec_b64 s[6:7], vcc
	s_cbranch_execz .LBB11_1569
; %bb.1567:
	s_mov_b64 s[10:11], 0
.LBB11_1568:                            ; =>This Inner Loop Header: Depth=1
	s_sleep 1
	global_store_dwordx2 v[4:5], v[2:3], off
	v_mov_b32_e32 v0, s2
	v_mov_b32_e32 v1, s3
	buffer_wbl2 sc0 sc1
	s_waitcnt vmcnt(0)
	global_atomic_cmpswap_x2 v[0:1], v6, v[0:3], s[44:45] offset:32 sc0 sc1
	s_waitcnt vmcnt(0)
	v_cmp_eq_u64_e32 vcc, v[0:1], v[2:3]
	s_or_b64 s[10:11], vcc, s[10:11]
	v_mov_b64_e32 v[2:3], v[0:1]
	s_andn2_b64 exec, exec, s[10:11]
	s_cbranch_execnz .LBB11_1568
.LBB11_1569:
	s_or_b64 exec, exec, s[6:7]
	v_mov_b32_e32 v3, 0
	global_load_dwordx2 v[0:1], v3, s[44:45] offset:16
	s_mov_b64 s[6:7], exec
	v_mbcnt_lo_u32_b32 v2, s6, 0
	v_mbcnt_hi_u32_b32 v2, s7, v2
	v_cmp_eq_u32_e32 vcc, 0, v2
	s_and_saveexec_b64 s[10:11], vcc
	s_cbranch_execz .LBB11_1571
; %bb.1570:
	s_bcnt1_i32_b64 s6, s[6:7]
	v_mov_b32_e32 v2, s6
	buffer_wbl2 sc0 sc1
	s_waitcnt vmcnt(0)
	global_atomic_add_x2 v[0:1], v[2:3], off offset:8 sc1
.LBB11_1571:
	s_or_b64 exec, exec, s[10:11]
	s_waitcnt vmcnt(0)
	global_load_dwordx2 v[2:3], v[0:1], off offset:16
	s_waitcnt vmcnt(0)
	v_cmp_eq_u64_e32 vcc, 0, v[2:3]
	s_cbranch_vccnz .LBB11_1573
; %bb.1572:
	global_load_dword v0, v[0:1], off offset:24
	v_mov_b32_e32 v1, 0
	buffer_wbl2 sc0 sc1
	s_waitcnt vmcnt(0)
	global_store_dwordx2 v[2:3], v[0:1], off sc0 sc1
	v_and_b32_e32 v0, 0xffffff, v0
	s_nop 0
	v_readfirstlane_b32 m0, v0
	s_sendmsg sendmsg(MSG_INTERRUPT)
.LBB11_1573:
	s_or_b64 exec, exec, s[4:5]
	s_branch .LBB11_1577
.LBB11_1574:                            ;   in Loop: Header=BB11_1577 Depth=1
	s_or_b64 exec, exec, s[4:5]
	v_readfirstlane_b32 s4, v0
	s_cmp_eq_u32 s4, 0
	s_cbranch_scc1 .LBB11_1576
; %bb.1575:                             ;   in Loop: Header=BB11_1577 Depth=1
	s_sleep 1
	s_cbranch_execnz .LBB11_1577
	s_branch .LBB11_1579
.LBB11_1576:
	s_branch .LBB11_1579
.LBB11_1577:                            ; =>This Inner Loop Header: Depth=1
	v_mov_b32_e32 v0, 1
	s_and_saveexec_b64 s[4:5], s[0:1]
	s_cbranch_execz .LBB11_1574
; %bb.1578:                             ;   in Loop: Header=BB11_1577 Depth=1
	global_load_dword v0, v[8:9], off offset:20 sc0 sc1
	s_waitcnt vmcnt(0)
	buffer_inv sc0 sc1
	v_and_b32_e32 v0, 1, v0
	s_branch .LBB11_1574
.LBB11_1579:
	s_and_saveexec_b64 s[4:5], s[0:1]
	s_cbranch_execz .LBB11_1582
; %bb.1580:
	v_mov_b32_e32 v6, 0
	global_load_dwordx2 v[4:5], v6, s[44:45] offset:40
	global_load_dwordx2 v[8:9], v6, s[44:45] offset:24 sc0 sc1
	global_load_dwordx2 v[10:11], v6, s[44:45]
	s_mov_b64 s[0:1], 0
	s_waitcnt vmcnt(2)
	v_lshl_add_u64 v[0:1], v[4:5], 0, 1
	v_lshl_add_u64 v[12:13], v[0:1], 0, s[2:3]
	v_cmp_eq_u64_e32 vcc, 0, v[12:13]
	s_waitcnt vmcnt(1)
	v_mov_b32_e32 v2, v8
	v_cndmask_b32_e32 v1, v13, v1, vcc
	v_cndmask_b32_e32 v0, v12, v0, vcc
	v_and_b32_e32 v3, v1, v5
	v_and_b32_e32 v4, v0, v4
	v_mul_lo_u32 v3, v3, 24
	v_mul_hi_u32 v5, v4, 24
	v_mul_lo_u32 v4, v4, 24
	v_add_u32_e32 v5, v5, v3
	s_waitcnt vmcnt(0)
	v_lshl_add_u64 v[4:5], v[10:11], 0, v[4:5]
	global_store_dwordx2 v[4:5], v[8:9], off
	v_mov_b32_e32 v3, v9
	buffer_wbl2 sc0 sc1
	s_waitcnt vmcnt(0)
	global_atomic_cmpswap_x2 v[2:3], v6, v[0:3], s[44:45] offset:24 sc0 sc1
	s_waitcnt vmcnt(0)
	v_cmp_ne_u64_e32 vcc, v[2:3], v[8:9]
	s_and_b64 exec, exec, vcc
	s_cbranch_execz .LBB11_1582
.LBB11_1581:                            ; =>This Inner Loop Header: Depth=1
	s_sleep 1
	global_store_dwordx2 v[4:5], v[2:3], off
	buffer_wbl2 sc0 sc1
	s_waitcnt vmcnt(0)
	global_atomic_cmpswap_x2 v[8:9], v6, v[0:3], s[44:45] offset:24 sc0 sc1
	s_waitcnt vmcnt(0)
	v_cmp_eq_u64_e32 vcc, v[8:9], v[2:3]
	s_or_b64 s[0:1], vcc, s[0:1]
	v_mov_b64_e32 v[2:3], v[8:9]
	s_andn2_b64 exec, exec, s[0:1]
	s_cbranch_execnz .LBB11_1581
.LBB11_1582:
	s_or_b64 exec, exec, s[4:5]
.LBB11_1583:
	s_getpc_b64 s[0:1]
	s_add_u32 s0, s0, .str@rel32@lo+4
	s_addc_u32 s1, s1, .str@rel32@hi+12
	s_waitcnt vmcnt(0)
	v_mov_b32_e32 v0, s0
	v_mov_b32_e32 v1, s1
	s_mov_b64 s[18:19], src_private_base
	s_getpc_b64 s[52:53]
	s_add_u32 s52, s52, _ZNK8migraphx13basic_printerIZNS_4coutEvEUlT_E_ElsEPKc@rel32@lo+4
	s_addc_u32 s53, s53, _ZNK8migraphx13basic_printerIZNS_4coutEvEUlT_E_ElsEPKc@rel32@hi+12
	s_mov_b64 s[38:39], s[8:9]
	s_swappc_b64 s[30:31], s[52:53]
	s_getpc_b64 s[0:1]
	s_add_u32 s0, s0, .str.3@rel32@lo+4
	s_addc_u32 s1, s1, .str.3@rel32@hi+12
	s_mov_b64 s[8:9], s[38:39]
	v_mov_b32_e32 v0, s0
	v_mov_b32_e32 v1, s1
	s_swappc_b64 s[30:31], s[52:53]
	s_getpc_b64 s[0:1]
	s_add_u32 s0, s0, _ZN8migraphx4testlsIKNS_13basic_printerIZNS_4coutEvEUlT_E_EEEERS3_S7_RKNS0_10expressionINS0_14lhs_expressionIRNS_5arrayIiLj2EEENS0_3nopEEESC_NS0_5equalEEE@rel32@lo+4
	s_addc_u32 s1, s1, _ZN8migraphx4testlsIKNS_13basic_printerIZNS_4coutEvEUlT_E_EEEERS3_S7_RKNS0_10expressionINS0_14lhs_expressionIRNS_5arrayIiLj2EEENS0_3nopEEESC_NS0_5equalEEE@rel32@hi+12
	s_add_i32 s2, s33, 24
	s_mov_b64 s[8:9], s[38:39]
	v_mov_b32_e32 v0, s2
	v_mov_b32_e32 v1, s19
	s_swappc_b64 s[30:31], s[0:1]
	s_getpc_b64 s[0:1]
	s_add_u32 s0, s0, .str.4@rel32@lo+4
	s_addc_u32 s1, s1, .str.4@rel32@hi+12
	s_mov_b64 s[8:9], s[38:39]
	v_mov_b32_e32 v0, s0
	v_mov_b32_e32 v1, s1
	s_mov_b64 s[18:19], s[38:39]
	s_swappc_b64 s[30:31], s[52:53]
	v_readfirstlane_b32 s0, v47
	v_mov_b64_e32 v[4:5], 0
	s_nop 0
	v_cmp_eq_u32_e64 s[0:1], s0, v47
	s_and_saveexec_b64 s[2:3], s[0:1]
	s_mov_b32 s14, s50
	s_mov_b32 s13, s49
	;; [unrolled: 1-line block ×3, first 2 shown]
	s_cbranch_execz .LBB11_1589
; %bb.1584:
	v_mov_b32_e32 v0, 0
	global_load_dwordx2 v[6:7], v0, s[44:45] offset:24 sc0 sc1
	s_waitcnt vmcnt(0)
	buffer_inv sc0 sc1
	global_load_dwordx2 v[2:3], v0, s[44:45] offset:40
	global_load_dwordx2 v[4:5], v0, s[44:45]
	s_waitcnt vmcnt(1)
	v_and_b32_e32 v1, v2, v6
	v_and_b32_e32 v2, v3, v7
	v_mul_lo_u32 v2, v2, 24
	v_mul_hi_u32 v3, v1, 24
	v_add_u32_e32 v3, v3, v2
	v_mul_lo_u32 v2, v1, 24
	s_waitcnt vmcnt(0)
	v_lshl_add_u64 v[2:3], v[4:5], 0, v[2:3]
	global_load_dwordx2 v[4:5], v[2:3], off sc0 sc1
	s_waitcnt vmcnt(0)
	global_atomic_cmpswap_x2 v[4:5], v0, v[4:7], s[44:45] offset:24 sc0 sc1
	s_waitcnt vmcnt(0)
	buffer_inv sc0 sc1
	v_cmp_ne_u64_e32 vcc, v[4:5], v[6:7]
	s_and_saveexec_b64 s[4:5], vcc
	s_cbranch_execz .LBB11_1588
; %bb.1585:
	s_mov_b64 s[6:7], 0
.LBB11_1586:                            ; =>This Inner Loop Header: Depth=1
	s_sleep 1
	global_load_dwordx2 v[2:3], v0, s[44:45] offset:40
	global_load_dwordx2 v[8:9], v0, s[44:45]
	v_mov_b64_e32 v[6:7], v[4:5]
	s_waitcnt vmcnt(1)
	v_and_b32_e32 v2, v2, v6
	v_and_b32_e32 v1, v3, v7
	s_waitcnt vmcnt(0)
	v_mad_u64_u32 v[2:3], s[8:9], v2, 24, v[8:9]
	v_mov_b32_e32 v4, v3
	v_mad_u64_u32 v[4:5], s[8:9], v1, 24, v[4:5]
	v_mov_b32_e32 v3, v4
	global_load_dwordx2 v[4:5], v[2:3], off sc0 sc1
	s_waitcnt vmcnt(0)
	global_atomic_cmpswap_x2 v[4:5], v0, v[4:7], s[44:45] offset:24 sc0 sc1
	s_waitcnt vmcnt(0)
	buffer_inv sc0 sc1
	v_cmp_eq_u64_e32 vcc, v[4:5], v[6:7]
	s_or_b64 s[6:7], vcc, s[6:7]
	s_andn2_b64 exec, exec, s[6:7]
	s_cbranch_execnz .LBB11_1586
; %bb.1587:
	s_or_b64 exec, exec, s[6:7]
.LBB11_1588:
	s_or_b64 exec, exec, s[4:5]
.LBB11_1589:
	s_or_b64 exec, exec, s[2:3]
	v_mov_b32_e32 v61, 0
	global_load_dwordx2 v[6:7], v61, s[44:45] offset:40
	global_load_dwordx4 v[0:3], v61, s[44:45]
	v_readfirstlane_b32 s2, v4
	v_readfirstlane_b32 s3, v5
	s_mov_b64 s[4:5], exec
	s_waitcnt vmcnt(1)
	v_readfirstlane_b32 s6, v6
	v_readfirstlane_b32 s7, v7
	s_and_b64 s[6:7], s[2:3], s[6:7]
	s_mul_i32 s8, s7, 24
	s_mul_hi_u32 s9, s6, 24
	s_add_i32 s9, s9, s8
	s_mul_i32 s8, s6, 24
	s_waitcnt vmcnt(0)
	v_lshl_add_u64 v[4:5], v[0:1], 0, s[8:9]
	s_and_saveexec_b64 s[8:9], s[0:1]
	s_cbranch_execz .LBB11_1591
; %bb.1590:
	v_mov_b64_e32 v[6:7], s[4:5]
	v_mov_b32_e32 v8, 2
	v_mov_b32_e32 v9, 1
	global_store_dwordx4 v[4:5], v[6:9], off offset:8
.LBB11_1591:
	s_or_b64 exec, exec, s[8:9]
	s_lshl_b64 s[4:5], s[6:7], 12
	v_lshl_add_u64 v[6:7], v[2:3], 0, s[4:5]
	s_mov_b32 s4, 0
	v_mov_b32_e32 v8, 33
	v_mov_b32_e32 v9, v61
	v_mov_b32_e32 v10, v61
	v_mov_b32_e32 v11, v61
	v_readfirstlane_b32 s8, v6
	v_readfirstlane_b32 s9, v7
	s_mov_b32 s6, s4
	s_mov_b32 s7, s4
	;; [unrolled: 1-line block ×3, first 2 shown]
	s_nop 1
	global_store_dwordx4 v60, v[8:11], s[8:9]
	s_nop 1
	v_mov_b64_e32 v[10:11], s[6:7]
	v_mov_b64_e32 v[8:9], s[4:5]
	global_store_dwordx4 v60, v[8:11], s[8:9] offset:16
	global_store_dwordx4 v60, v[8:11], s[8:9] offset:32
	;; [unrolled: 1-line block ×3, first 2 shown]
	s_and_saveexec_b64 s[4:5], s[0:1]
	s_mov_b64 s[8:9], s[18:19]
	s_cbranch_execz .LBB11_1599
; %bb.1592:
	v_mov_b32_e32 v10, 0
	global_load_dwordx2 v[14:15], v10, s[44:45] offset:32 sc0 sc1
	global_load_dwordx2 v[2:3], v10, s[44:45] offset:40
	v_mov_b32_e32 v12, s2
	v_mov_b32_e32 v13, s3
	s_waitcnt vmcnt(0)
	v_readfirstlane_b32 s6, v2
	v_readfirstlane_b32 s7, v3
	s_and_b64 s[6:7], s[6:7], s[2:3]
	s_mul_i32 s7, s7, 24
	s_mul_hi_u32 s10, s6, 24
	s_mul_i32 s6, s6, 24
	s_add_i32 s7, s10, s7
	v_lshl_add_u64 v[8:9], v[0:1], 0, s[6:7]
	global_store_dwordx2 v[8:9], v[14:15], off
	buffer_wbl2 sc0 sc1
	s_waitcnt vmcnt(0)
	global_atomic_cmpswap_x2 v[2:3], v10, v[12:15], s[44:45] offset:32 sc0 sc1
	s_waitcnt vmcnt(0)
	v_cmp_ne_u64_e32 vcc, v[2:3], v[14:15]
	s_and_saveexec_b64 s[6:7], vcc
	s_cbranch_execz .LBB11_1595
; %bb.1593:
	s_mov_b64 s[10:11], 0
.LBB11_1594:                            ; =>This Inner Loop Header: Depth=1
	s_sleep 1
	global_store_dwordx2 v[8:9], v[2:3], off
	v_mov_b32_e32 v0, s2
	v_mov_b32_e32 v1, s3
	buffer_wbl2 sc0 sc1
	s_waitcnt vmcnt(0)
	global_atomic_cmpswap_x2 v[0:1], v10, v[0:3], s[44:45] offset:32 sc0 sc1
	s_waitcnt vmcnt(0)
	v_cmp_eq_u64_e32 vcc, v[0:1], v[2:3]
	s_or_b64 s[10:11], vcc, s[10:11]
	v_mov_b64_e32 v[2:3], v[0:1]
	s_andn2_b64 exec, exec, s[10:11]
	s_cbranch_execnz .LBB11_1594
.LBB11_1595:
	s_or_b64 exec, exec, s[6:7]
	v_mov_b32_e32 v3, 0
	global_load_dwordx2 v[0:1], v3, s[44:45] offset:16
	s_mov_b64 s[6:7], exec
	v_mbcnt_lo_u32_b32 v2, s6, 0
	v_mbcnt_hi_u32_b32 v2, s7, v2
	v_cmp_eq_u32_e32 vcc, 0, v2
	s_and_saveexec_b64 s[10:11], vcc
	s_cbranch_execz .LBB11_1597
; %bb.1596:
	s_bcnt1_i32_b64 s6, s[6:7]
	v_mov_b32_e32 v2, s6
	buffer_wbl2 sc0 sc1
	s_waitcnt vmcnt(0)
	global_atomic_add_x2 v[0:1], v[2:3], off offset:8 sc1
.LBB11_1597:
	s_or_b64 exec, exec, s[10:11]
	s_waitcnt vmcnt(0)
	global_load_dwordx2 v[2:3], v[0:1], off offset:16
	s_waitcnt vmcnt(0)
	v_cmp_eq_u64_e32 vcc, 0, v[2:3]
	s_cbranch_vccnz .LBB11_1599
; %bb.1598:
	global_load_dword v0, v[0:1], off offset:24
	v_mov_b32_e32 v1, 0
	buffer_wbl2 sc0 sc1
	s_waitcnt vmcnt(0)
	global_store_dwordx2 v[2:3], v[0:1], off sc0 sc1
	v_and_b32_e32 v0, 0xffffff, v0
	s_nop 0
	v_readfirstlane_b32 m0, v0
	s_sendmsg sendmsg(MSG_INTERRUPT)
.LBB11_1599:
	s_or_b64 exec, exec, s[4:5]
	v_lshl_add_u64 v[0:1], v[6:7], 0, v[60:61]
	s_branch .LBB11_1603
.LBB11_1600:                            ;   in Loop: Header=BB11_1603 Depth=1
	s_or_b64 exec, exec, s[4:5]
	v_readfirstlane_b32 s4, v2
	s_cmp_eq_u32 s4, 0
	s_cbranch_scc1 .LBB11_1602
; %bb.1601:                             ;   in Loop: Header=BB11_1603 Depth=1
	s_sleep 1
	s_cbranch_execnz .LBB11_1603
	s_branch .LBB11_1605
.LBB11_1602:
	s_branch .LBB11_1605
.LBB11_1603:                            ; =>This Inner Loop Header: Depth=1
	v_mov_b32_e32 v2, 1
	s_and_saveexec_b64 s[4:5], s[0:1]
	s_cbranch_execz .LBB11_1600
; %bb.1604:                             ;   in Loop: Header=BB11_1603 Depth=1
	global_load_dword v2, v[4:5], off offset:20 sc0 sc1
	s_waitcnt vmcnt(0)
	buffer_inv sc0 sc1
	v_and_b32_e32 v2, 1, v2
	s_branch .LBB11_1600
.LBB11_1605:
	global_load_dwordx2 v[0:1], v[0:1], off
	s_and_saveexec_b64 s[4:5], s[0:1]
	s_cbranch_execz .LBB11_1608
; %bb.1606:
	v_mov_b32_e32 v8, 0
	global_load_dwordx2 v[6:7], v8, s[44:45] offset:40
	global_load_dwordx2 v[10:11], v8, s[44:45] offset:24 sc0 sc1
	global_load_dwordx2 v[12:13], v8, s[44:45]
	s_mov_b64 s[0:1], 0
	s_waitcnt vmcnt(2)
	v_lshl_add_u64 v[2:3], v[6:7], 0, 1
	v_lshl_add_u64 v[14:15], v[2:3], 0, s[2:3]
	v_cmp_eq_u64_e32 vcc, 0, v[14:15]
	s_waitcnt vmcnt(1)
	v_mov_b32_e32 v4, v10
	v_cndmask_b32_e32 v3, v15, v3, vcc
	v_cndmask_b32_e32 v2, v14, v2, vcc
	v_and_b32_e32 v5, v3, v7
	v_and_b32_e32 v6, v2, v6
	v_mul_lo_u32 v5, v5, 24
	v_mul_hi_u32 v7, v6, 24
	v_mul_lo_u32 v6, v6, 24
	v_add_u32_e32 v7, v7, v5
	s_waitcnt vmcnt(0)
	v_lshl_add_u64 v[6:7], v[12:13], 0, v[6:7]
	global_store_dwordx2 v[6:7], v[10:11], off
	v_mov_b32_e32 v5, v11
	buffer_wbl2 sc0 sc1
	s_waitcnt vmcnt(0)
	global_atomic_cmpswap_x2 v[4:5], v8, v[2:5], s[44:45] offset:24 sc0 sc1
	s_waitcnt vmcnt(0)
	v_cmp_ne_u64_e32 vcc, v[4:5], v[10:11]
	s_and_b64 exec, exec, vcc
	s_cbranch_execz .LBB11_1608
.LBB11_1607:                            ; =>This Inner Loop Header: Depth=1
	s_sleep 1
	global_store_dwordx2 v[6:7], v[4:5], off
	buffer_wbl2 sc0 sc1
	s_waitcnt vmcnt(0)
	global_atomic_cmpswap_x2 v[10:11], v8, v[2:5], s[44:45] offset:24 sc0 sc1
	s_waitcnt vmcnt(0)
	v_cmp_eq_u64_e32 vcc, v[10:11], v[4:5]
	s_or_b64 s[0:1], vcc, s[0:1]
	v_mov_b64_e32 v[4:5], v[10:11]
	s_andn2_b64 exec, exec, s[0:1]
	s_cbranch_execnz .LBB11_1607
.LBB11_1608:
	s_or_b64 exec, exec, s[4:5]
	s_and_b64 vcc, exec, s[46:47]
	s_cbranch_vccz .LBB11_1693
; %bb.1609:
	s_waitcnt vmcnt(0)
	v_and_b32_e32 v28, 2, v0
	v_mov_b32_e32 v31, 0
	v_and_b32_e32 v2, -3, v0
	v_mov_b32_e32 v3, v1
	s_mov_b64 s[4:5], 3
	v_mov_b32_e32 v6, 2
	v_mov_b32_e32 v7, 1
	s_getpc_b64 s[2:3]
	s_add_u32 s2, s2, .str.6@rel32@lo+4
	s_addc_u32 s3, s3, .str.6@rel32@hi+12
	s_branch .LBB11_1611
.LBB11_1610:                            ;   in Loop: Header=BB11_1611 Depth=1
	s_or_b64 exec, exec, s[16:17]
	s_sub_u32 s4, s4, s6
	s_subb_u32 s5, s5, s7
	s_add_u32 s2, s2, s6
	s_addc_u32 s3, s3, s7
	s_cmp_lg_u64 s[4:5], 0
	s_cbranch_scc0 .LBB11_1692
.LBB11_1611:                            ; =>This Loop Header: Depth=1
                                        ;     Child Loop BB11_1614 Depth 2
                                        ;     Child Loop BB11_1621 Depth 2
	;; [unrolled: 1-line block ×11, first 2 shown]
	v_cmp_lt_u64_e64 s[0:1], s[4:5], 56
	s_and_b64 s[0:1], s[0:1], exec
	v_cmp_gt_u64_e64 s[0:1], s[4:5], 7
	s_cselect_b32 s7, s5, 0
	s_cselect_b32 s6, s4, 56
	s_and_b64 vcc, exec, s[0:1]
	s_cbranch_vccnz .LBB11_1616
; %bb.1612:                             ;   in Loop: Header=BB11_1611 Depth=1
	s_mov_b64 s[0:1], 0
	s_cmp_eq_u64 s[4:5], 0
	v_mov_b64_e32 v[10:11], 0
	s_cbranch_scc1 .LBB11_1615
; %bb.1613:                             ;   in Loop: Header=BB11_1611 Depth=1
	s_lshl_b64 s[10:11], s[6:7], 3
	s_mov_b64 s[16:17], 0
	v_mov_b64_e32 v[10:11], 0
	s_mov_b64 s[18:19], s[2:3]
.LBB11_1614:                            ;   Parent Loop BB11_1611 Depth=1
                                        ; =>  This Inner Loop Header: Depth=2
	global_load_ubyte v4, v31, s[18:19]
	s_waitcnt vmcnt(0)
	v_and_b32_e32 v30, 0xffff, v4
	v_lshlrev_b64 v[4:5], s16, v[30:31]
	s_add_u32 s16, s16, 8
	s_addc_u32 s17, s17, 0
	s_add_u32 s18, s18, 1
	s_addc_u32 s19, s19, 0
	v_or_b32_e32 v10, v4, v10
	s_cmp_lg_u32 s10, s16
	v_or_b32_e32 v11, v5, v11
	s_cbranch_scc1 .LBB11_1614
.LBB11_1615:                            ;   in Loop: Header=BB11_1611 Depth=1
	s_mov_b32 s15, 0
	s_andn2_b64 vcc, exec, s[0:1]
	s_mov_b64 s[0:1], s[2:3]
	s_cbranch_vccz .LBB11_1617
	s_branch .LBB11_1618
.LBB11_1616:                            ;   in Loop: Header=BB11_1611 Depth=1
                                        ; implicit-def: $vgpr10_vgpr11
                                        ; implicit-def: $sgpr15
	s_mov_b64 s[0:1], s[2:3]
.LBB11_1617:                            ;   in Loop: Header=BB11_1611 Depth=1
	global_load_dwordx2 v[10:11], v31, s[2:3]
	s_add_i32 s15, s6, -8
	s_add_u32 s0, s2, 8
	s_addc_u32 s1, s3, 0
.LBB11_1618:                            ;   in Loop: Header=BB11_1611 Depth=1
	s_cmp_gt_u32 s15, 7
	s_cbranch_scc1 .LBB11_1622
; %bb.1619:                             ;   in Loop: Header=BB11_1611 Depth=1
	s_cmp_eq_u32 s15, 0
	s_cbranch_scc1 .LBB11_1623
; %bb.1620:                             ;   in Loop: Header=BB11_1611 Depth=1
	s_mov_b64 s[10:11], 0
	v_mov_b64_e32 v[12:13], 0
	s_mov_b64 s[16:17], 0
.LBB11_1621:                            ;   Parent Loop BB11_1611 Depth=1
                                        ; =>  This Inner Loop Header: Depth=2
	s_add_u32 s18, s0, s16
	s_addc_u32 s19, s1, s17
	global_load_ubyte v4, v31, s[18:19]
	s_add_u32 s16, s16, 1
	s_addc_u32 s17, s17, 0
	s_waitcnt vmcnt(0)
	v_and_b32_e32 v30, 0xffff, v4
	v_lshlrev_b64 v[4:5], s10, v[30:31]
	s_add_u32 s10, s10, 8
	s_addc_u32 s11, s11, 0
	v_or_b32_e32 v12, v4, v12
	s_cmp_lg_u32 s15, s16
	v_or_b32_e32 v13, v5, v13
	s_cbranch_scc1 .LBB11_1621
	s_branch .LBB11_1624
.LBB11_1622:                            ;   in Loop: Header=BB11_1611 Depth=1
                                        ; implicit-def: $vgpr12_vgpr13
                                        ; implicit-def: $sgpr18
	s_branch .LBB11_1625
.LBB11_1623:                            ;   in Loop: Header=BB11_1611 Depth=1
	v_mov_b64_e32 v[12:13], 0
.LBB11_1624:                            ;   in Loop: Header=BB11_1611 Depth=1
	s_mov_b32 s18, 0
	s_cbranch_execnz .LBB11_1626
.LBB11_1625:                            ;   in Loop: Header=BB11_1611 Depth=1
	global_load_dwordx2 v[12:13], v31, s[0:1]
	s_add_i32 s18, s15, -8
	s_add_u32 s0, s0, 8
	s_addc_u32 s1, s1, 0
.LBB11_1626:                            ;   in Loop: Header=BB11_1611 Depth=1
	s_cmp_gt_u32 s18, 7
	s_cbranch_scc1 .LBB11_1630
; %bb.1627:                             ;   in Loop: Header=BB11_1611 Depth=1
	s_cmp_eq_u32 s18, 0
	s_cbranch_scc1 .LBB11_1631
; %bb.1628:                             ;   in Loop: Header=BB11_1611 Depth=1
	s_mov_b64 s[10:11], 0
	v_mov_b64_e32 v[14:15], 0
	s_mov_b64 s[16:17], 0
.LBB11_1629:                            ;   Parent Loop BB11_1611 Depth=1
                                        ; =>  This Inner Loop Header: Depth=2
	s_add_u32 s20, s0, s16
	s_addc_u32 s21, s1, s17
	global_load_ubyte v4, v31, s[20:21]
	s_add_u32 s16, s16, 1
	s_addc_u32 s17, s17, 0
	s_waitcnt vmcnt(0)
	v_and_b32_e32 v30, 0xffff, v4
	v_lshlrev_b64 v[4:5], s10, v[30:31]
	s_add_u32 s10, s10, 8
	s_addc_u32 s11, s11, 0
	v_or_b32_e32 v14, v4, v14
	s_cmp_lg_u32 s18, s16
	v_or_b32_e32 v15, v5, v15
	s_cbranch_scc1 .LBB11_1629
	s_branch .LBB11_1632
.LBB11_1630:                            ;   in Loop: Header=BB11_1611 Depth=1
                                        ; implicit-def: $sgpr15
	s_branch .LBB11_1633
.LBB11_1631:                            ;   in Loop: Header=BB11_1611 Depth=1
	v_mov_b64_e32 v[14:15], 0
.LBB11_1632:                            ;   in Loop: Header=BB11_1611 Depth=1
	s_mov_b32 s15, 0
	s_cbranch_execnz .LBB11_1634
.LBB11_1633:                            ;   in Loop: Header=BB11_1611 Depth=1
	global_load_dwordx2 v[14:15], v31, s[0:1]
	s_add_i32 s15, s18, -8
	s_add_u32 s0, s0, 8
	s_addc_u32 s1, s1, 0
.LBB11_1634:                            ;   in Loop: Header=BB11_1611 Depth=1
	s_cmp_gt_u32 s15, 7
	s_cbranch_scc1 .LBB11_1638
; %bb.1635:                             ;   in Loop: Header=BB11_1611 Depth=1
	s_cmp_eq_u32 s15, 0
	s_cbranch_scc1 .LBB11_1639
; %bb.1636:                             ;   in Loop: Header=BB11_1611 Depth=1
	s_mov_b64 s[10:11], 0
	v_mov_b64_e32 v[16:17], 0
	s_mov_b64 s[16:17], 0
.LBB11_1637:                            ;   Parent Loop BB11_1611 Depth=1
                                        ; =>  This Inner Loop Header: Depth=2
	s_add_u32 s18, s0, s16
	s_addc_u32 s19, s1, s17
	global_load_ubyte v4, v31, s[18:19]
	s_add_u32 s16, s16, 1
	s_addc_u32 s17, s17, 0
	s_waitcnt vmcnt(0)
	v_and_b32_e32 v30, 0xffff, v4
	v_lshlrev_b64 v[4:5], s10, v[30:31]
	s_add_u32 s10, s10, 8
	s_addc_u32 s11, s11, 0
	v_or_b32_e32 v16, v4, v16
	s_cmp_lg_u32 s15, s16
	v_or_b32_e32 v17, v5, v17
	s_cbranch_scc1 .LBB11_1637
	s_branch .LBB11_1640
.LBB11_1638:                            ;   in Loop: Header=BB11_1611 Depth=1
                                        ; implicit-def: $vgpr16_vgpr17
                                        ; implicit-def: $sgpr18
	s_branch .LBB11_1641
.LBB11_1639:                            ;   in Loop: Header=BB11_1611 Depth=1
	v_mov_b64_e32 v[16:17], 0
.LBB11_1640:                            ;   in Loop: Header=BB11_1611 Depth=1
	s_mov_b32 s18, 0
	s_cbranch_execnz .LBB11_1642
.LBB11_1641:                            ;   in Loop: Header=BB11_1611 Depth=1
	global_load_dwordx2 v[16:17], v31, s[0:1]
	s_add_i32 s18, s15, -8
	s_add_u32 s0, s0, 8
	s_addc_u32 s1, s1, 0
.LBB11_1642:                            ;   in Loop: Header=BB11_1611 Depth=1
	s_cmp_gt_u32 s18, 7
	s_cbranch_scc1 .LBB11_1646
; %bb.1643:                             ;   in Loop: Header=BB11_1611 Depth=1
	s_cmp_eq_u32 s18, 0
	s_cbranch_scc1 .LBB11_1647
; %bb.1644:                             ;   in Loop: Header=BB11_1611 Depth=1
	s_mov_b64 s[10:11], 0
	v_mov_b64_e32 v[18:19], 0
	s_mov_b64 s[16:17], 0
.LBB11_1645:                            ;   Parent Loop BB11_1611 Depth=1
                                        ; =>  This Inner Loop Header: Depth=2
	s_add_u32 s20, s0, s16
	s_addc_u32 s21, s1, s17
	global_load_ubyte v4, v31, s[20:21]
	s_add_u32 s16, s16, 1
	s_addc_u32 s17, s17, 0
	s_waitcnt vmcnt(0)
	v_and_b32_e32 v30, 0xffff, v4
	v_lshlrev_b64 v[4:5], s10, v[30:31]
	s_add_u32 s10, s10, 8
	s_addc_u32 s11, s11, 0
	v_or_b32_e32 v18, v4, v18
	s_cmp_lg_u32 s18, s16
	v_or_b32_e32 v19, v5, v19
	s_cbranch_scc1 .LBB11_1645
	s_branch .LBB11_1648
.LBB11_1646:                            ;   in Loop: Header=BB11_1611 Depth=1
                                        ; implicit-def: $sgpr15
	s_branch .LBB11_1649
.LBB11_1647:                            ;   in Loop: Header=BB11_1611 Depth=1
	v_mov_b64_e32 v[18:19], 0
.LBB11_1648:                            ;   in Loop: Header=BB11_1611 Depth=1
	s_mov_b32 s15, 0
	s_cbranch_execnz .LBB11_1650
.LBB11_1649:                            ;   in Loop: Header=BB11_1611 Depth=1
	global_load_dwordx2 v[18:19], v31, s[0:1]
	s_add_i32 s15, s18, -8
	s_add_u32 s0, s0, 8
	s_addc_u32 s1, s1, 0
.LBB11_1650:                            ;   in Loop: Header=BB11_1611 Depth=1
	s_cmp_gt_u32 s15, 7
	s_cbranch_scc1 .LBB11_1654
; %bb.1651:                             ;   in Loop: Header=BB11_1611 Depth=1
	s_cmp_eq_u32 s15, 0
	s_cbranch_scc1 .LBB11_1655
; %bb.1652:                             ;   in Loop: Header=BB11_1611 Depth=1
	s_mov_b64 s[10:11], 0
	v_mov_b64_e32 v[20:21], 0
	s_mov_b64 s[16:17], 0
.LBB11_1653:                            ;   Parent Loop BB11_1611 Depth=1
                                        ; =>  This Inner Loop Header: Depth=2
	s_add_u32 s18, s0, s16
	s_addc_u32 s19, s1, s17
	global_load_ubyte v4, v31, s[18:19]
	s_add_u32 s16, s16, 1
	s_addc_u32 s17, s17, 0
	s_waitcnt vmcnt(0)
	v_and_b32_e32 v30, 0xffff, v4
	v_lshlrev_b64 v[4:5], s10, v[30:31]
	s_add_u32 s10, s10, 8
	s_addc_u32 s11, s11, 0
	v_or_b32_e32 v20, v4, v20
	s_cmp_lg_u32 s15, s16
	v_or_b32_e32 v21, v5, v21
	s_cbranch_scc1 .LBB11_1653
	s_branch .LBB11_1656
.LBB11_1654:                            ;   in Loop: Header=BB11_1611 Depth=1
                                        ; implicit-def: $vgpr20_vgpr21
                                        ; implicit-def: $sgpr18
	s_branch .LBB11_1657
.LBB11_1655:                            ;   in Loop: Header=BB11_1611 Depth=1
	v_mov_b64_e32 v[20:21], 0
.LBB11_1656:                            ;   in Loop: Header=BB11_1611 Depth=1
	s_mov_b32 s18, 0
	s_cbranch_execnz .LBB11_1658
.LBB11_1657:                            ;   in Loop: Header=BB11_1611 Depth=1
	global_load_dwordx2 v[20:21], v31, s[0:1]
	s_add_i32 s18, s15, -8
	s_add_u32 s0, s0, 8
	s_addc_u32 s1, s1, 0
.LBB11_1658:                            ;   in Loop: Header=BB11_1611 Depth=1
	s_cmp_gt_u32 s18, 7
	s_cbranch_scc1 .LBB11_1662
; %bb.1659:                             ;   in Loop: Header=BB11_1611 Depth=1
	s_cmp_eq_u32 s18, 0
	s_cbranch_scc1 .LBB11_1663
; %bb.1660:                             ;   in Loop: Header=BB11_1611 Depth=1
	s_mov_b64 s[10:11], 0
	v_mov_b64_e32 v[22:23], 0
	s_mov_b64 s[16:17], s[0:1]
.LBB11_1661:                            ;   Parent Loop BB11_1611 Depth=1
                                        ; =>  This Inner Loop Header: Depth=2
	global_load_ubyte v4, v31, s[16:17]
	s_add_i32 s18, s18, -1
	s_waitcnt vmcnt(0)
	v_and_b32_e32 v30, 0xffff, v4
	v_lshlrev_b64 v[4:5], s10, v[30:31]
	s_add_u32 s10, s10, 8
	s_addc_u32 s11, s11, 0
	s_add_u32 s16, s16, 1
	s_addc_u32 s17, s17, 0
	v_or_b32_e32 v22, v4, v22
	s_cmp_lg_u32 s18, 0
	v_or_b32_e32 v23, v5, v23
	s_cbranch_scc1 .LBB11_1661
	s_branch .LBB11_1664
.LBB11_1662:                            ;   in Loop: Header=BB11_1611 Depth=1
	s_branch .LBB11_1665
.LBB11_1663:                            ;   in Loop: Header=BB11_1611 Depth=1
	v_mov_b64_e32 v[22:23], 0
.LBB11_1664:                            ;   in Loop: Header=BB11_1611 Depth=1
	s_cbranch_execnz .LBB11_1666
.LBB11_1665:                            ;   in Loop: Header=BB11_1611 Depth=1
	global_load_dwordx2 v[22:23], v31, s[0:1]
.LBB11_1666:                            ;   in Loop: Header=BB11_1611 Depth=1
	v_readfirstlane_b32 s0, v47
	s_waitcnt vmcnt(0)
	v_mov_b64_e32 v[4:5], 0
	v_cmp_eq_u32_e64 s[0:1], s0, v47
	s_and_saveexec_b64 s[10:11], s[0:1]
	s_cbranch_execz .LBB11_1672
; %bb.1667:                             ;   in Loop: Header=BB11_1611 Depth=1
	global_load_dwordx2 v[26:27], v31, s[44:45] offset:24 sc0 sc1
	s_waitcnt vmcnt(0)
	buffer_inv sc0 sc1
	global_load_dwordx2 v[4:5], v31, s[44:45] offset:40
	global_load_dwordx2 v[8:9], v31, s[44:45]
	s_waitcnt vmcnt(1)
	v_and_b32_e32 v4, v4, v26
	v_and_b32_e32 v5, v5, v27
	v_mul_lo_u32 v5, v5, 24
	v_mul_hi_u32 v24, v4, 24
	v_add_u32_e32 v5, v24, v5
	v_mul_lo_u32 v4, v4, 24
	s_waitcnt vmcnt(0)
	v_lshl_add_u64 v[4:5], v[8:9], 0, v[4:5]
	global_load_dwordx2 v[24:25], v[4:5], off sc0 sc1
	s_waitcnt vmcnt(0)
	global_atomic_cmpswap_x2 v[4:5], v31, v[24:27], s[44:45] offset:24 sc0 sc1
	s_waitcnt vmcnt(0)
	buffer_inv sc0 sc1
	v_cmp_ne_u64_e32 vcc, v[4:5], v[26:27]
	s_and_saveexec_b64 s[16:17], vcc
	s_cbranch_execz .LBB11_1671
; %bb.1668:                             ;   in Loop: Header=BB11_1611 Depth=1
	s_mov_b64 s[18:19], 0
.LBB11_1669:                            ;   Parent Loop BB11_1611 Depth=1
                                        ; =>  This Inner Loop Header: Depth=2
	s_sleep 1
	global_load_dwordx2 v[8:9], v31, s[44:45] offset:40
	global_load_dwordx2 v[24:25], v31, s[44:45]
	v_mov_b64_e32 v[26:27], v[4:5]
	s_waitcnt vmcnt(1)
	v_and_b32_e32 v4, v8, v26
	s_waitcnt vmcnt(0)
	v_mad_u64_u32 v[4:5], s[20:21], v4, 24, v[24:25]
	v_and_b32_e32 v9, v9, v27
	v_mov_b32_e32 v8, v5
	v_mad_u64_u32 v[8:9], s[20:21], v9, 24, v[8:9]
	v_mov_b32_e32 v5, v8
	global_load_dwordx2 v[24:25], v[4:5], off sc0 sc1
	s_waitcnt vmcnt(0)
	global_atomic_cmpswap_x2 v[4:5], v31, v[24:27], s[44:45] offset:24 sc0 sc1
	s_waitcnt vmcnt(0)
	buffer_inv sc0 sc1
	v_cmp_eq_u64_e32 vcc, v[4:5], v[26:27]
	s_or_b64 s[18:19], vcc, s[18:19]
	s_andn2_b64 exec, exec, s[18:19]
	s_cbranch_execnz .LBB11_1669
; %bb.1670:                             ;   in Loop: Header=BB11_1611 Depth=1
	s_or_b64 exec, exec, s[18:19]
.LBB11_1671:                            ;   in Loop: Header=BB11_1611 Depth=1
	s_or_b64 exec, exec, s[16:17]
.LBB11_1672:                            ;   in Loop: Header=BB11_1611 Depth=1
	s_or_b64 exec, exec, s[10:11]
	global_load_dwordx2 v[8:9], v31, s[44:45] offset:40
	global_load_dwordx4 v[24:27], v31, s[44:45]
	v_readfirstlane_b32 s10, v4
	v_readfirstlane_b32 s11, v5
	s_mov_b64 s[16:17], exec
	s_waitcnt vmcnt(1)
	v_readfirstlane_b32 s18, v8
	v_readfirstlane_b32 s19, v9
	s_and_b64 s[18:19], s[10:11], s[18:19]
	s_mul_i32 s15, s19, 24
	s_mul_hi_u32 s20, s18, 24
	s_add_i32 s21, s20, s15
	s_mul_i32 s20, s18, 24
	s_waitcnt vmcnt(0)
	v_lshl_add_u64 v[32:33], v[24:25], 0, s[20:21]
	s_and_saveexec_b64 s[20:21], s[0:1]
	s_cbranch_execz .LBB11_1674
; %bb.1673:                             ;   in Loop: Header=BB11_1611 Depth=1
	v_mov_b64_e32 v[4:5], s[16:17]
	global_store_dwordx4 v[32:33], v[4:7], off offset:8
.LBB11_1674:                            ;   in Loop: Header=BB11_1611 Depth=1
	s_or_b64 exec, exec, s[20:21]
	s_nop 0
	v_or_b32_e32 v5, v2, v28
	v_cmp_gt_u64_e64 vcc, s[4:5], 56
	s_lshl_b32 s15, s6, 2
	s_lshl_b64 s[16:17], s[18:19], 12
	v_cndmask_b32_e32 v2, v5, v2, vcc
	s_add_i32 s15, s15, 28
	v_lshl_add_u64 v[26:27], v[26:27], 0, s[16:17]
	v_or_b32_e32 v4, 0, v3
	s_and_b32 s15, s15, 0x1e0
	v_and_b32_e32 v2, 0xffffff1f, v2
	v_cndmask_b32_e32 v9, v4, v3, vcc
	v_or_b32_e32 v8, s15, v2
	v_readfirstlane_b32 s16, v26
	v_readfirstlane_b32 s17, v27
	s_nop 4
	global_store_dwordx4 v60, v[8:11], s[16:17]
	global_store_dwordx4 v60, v[12:15], s[16:17] offset:16
	global_store_dwordx4 v60, v[16:19], s[16:17] offset:32
	;; [unrolled: 1-line block ×3, first 2 shown]
	s_and_saveexec_b64 s[16:17], s[0:1]
	s_cbranch_execz .LBB11_1682
; %bb.1675:                             ;   in Loop: Header=BB11_1611 Depth=1
	global_load_dwordx2 v[12:13], v31, s[44:45] offset:32 sc0 sc1
	global_load_dwordx2 v[2:3], v31, s[44:45] offset:40
	v_mov_b32_e32 v10, s10
	v_mov_b32_e32 v11, s11
	s_waitcnt vmcnt(0)
	v_readfirstlane_b32 s18, v2
	v_readfirstlane_b32 s19, v3
	s_and_b64 s[18:19], s[18:19], s[10:11]
	s_mul_i32 s15, s19, 24
	s_mul_hi_u32 s19, s18, 24
	s_mul_i32 s18, s18, 24
	s_add_i32 s19, s19, s15
	v_lshl_add_u64 v[8:9], v[24:25], 0, s[18:19]
	global_store_dwordx2 v[8:9], v[12:13], off
	buffer_wbl2 sc0 sc1
	s_waitcnt vmcnt(0)
	global_atomic_cmpswap_x2 v[4:5], v31, v[10:13], s[44:45] offset:32 sc0 sc1
	s_waitcnt vmcnt(0)
	v_cmp_ne_u64_e32 vcc, v[4:5], v[12:13]
	s_and_saveexec_b64 s[18:19], vcc
	s_cbranch_execz .LBB11_1678
; %bb.1676:                             ;   in Loop: Header=BB11_1611 Depth=1
	s_mov_b64 s[20:21], 0
.LBB11_1677:                            ;   Parent Loop BB11_1611 Depth=1
                                        ; =>  This Inner Loop Header: Depth=2
	s_sleep 1
	global_store_dwordx2 v[8:9], v[4:5], off
	v_mov_b32_e32 v2, s10
	v_mov_b32_e32 v3, s11
	buffer_wbl2 sc0 sc1
	s_waitcnt vmcnt(0)
	global_atomic_cmpswap_x2 v[2:3], v31, v[2:5], s[44:45] offset:32 sc0 sc1
	s_waitcnt vmcnt(0)
	v_cmp_eq_u64_e32 vcc, v[2:3], v[4:5]
	s_or_b64 s[20:21], vcc, s[20:21]
	v_mov_b64_e32 v[4:5], v[2:3]
	s_andn2_b64 exec, exec, s[20:21]
	s_cbranch_execnz .LBB11_1677
.LBB11_1678:                            ;   in Loop: Header=BB11_1611 Depth=1
	s_or_b64 exec, exec, s[18:19]
	global_load_dwordx2 v[2:3], v31, s[44:45] offset:16
	s_mov_b64 s[20:21], exec
	v_mbcnt_lo_u32_b32 v4, s20, 0
	v_mbcnt_hi_u32_b32 v4, s21, v4
	v_cmp_eq_u32_e32 vcc, 0, v4
	s_and_saveexec_b64 s[18:19], vcc
	s_cbranch_execz .LBB11_1680
; %bb.1679:                             ;   in Loop: Header=BB11_1611 Depth=1
	s_bcnt1_i32_b64 s15, s[20:21]
	v_mov_b32_e32 v30, s15
	buffer_wbl2 sc0 sc1
	s_waitcnt vmcnt(0)
	global_atomic_add_x2 v[2:3], v[30:31], off offset:8 sc1
.LBB11_1680:                            ;   in Loop: Header=BB11_1611 Depth=1
	s_or_b64 exec, exec, s[18:19]
	s_waitcnt vmcnt(0)
	global_load_dwordx2 v[4:5], v[2:3], off offset:16
	s_waitcnt vmcnt(0)
	v_cmp_eq_u64_e32 vcc, 0, v[4:5]
	s_cbranch_vccnz .LBB11_1682
; %bb.1681:                             ;   in Loop: Header=BB11_1611 Depth=1
	global_load_dword v30, v[2:3], off offset:24
	s_waitcnt vmcnt(0)
	v_and_b32_e32 v2, 0xffffff, v30
	s_nop 0
	v_readfirstlane_b32 m0, v2
	buffer_wbl2 sc0 sc1
	global_store_dwordx2 v[4:5], v[30:31], off sc0 sc1
	s_sendmsg sendmsg(MSG_INTERRUPT)
.LBB11_1682:                            ;   in Loop: Header=BB11_1611 Depth=1
	s_or_b64 exec, exec, s[16:17]
	v_mov_b32_e32 v61, v31
	v_lshl_add_u64 v[2:3], v[26:27], 0, v[60:61]
	s_branch .LBB11_1686
.LBB11_1683:                            ;   in Loop: Header=BB11_1686 Depth=2
	s_or_b64 exec, exec, s[16:17]
	v_readfirstlane_b32 s15, v4
	s_cmp_eq_u32 s15, 0
	s_cbranch_scc1 .LBB11_1685
; %bb.1684:                             ;   in Loop: Header=BB11_1686 Depth=2
	s_sleep 1
	s_cbranch_execnz .LBB11_1686
	s_branch .LBB11_1688
.LBB11_1685:                            ;   in Loop: Header=BB11_1611 Depth=1
	s_branch .LBB11_1688
.LBB11_1686:                            ;   Parent Loop BB11_1611 Depth=1
                                        ; =>  This Inner Loop Header: Depth=2
	v_mov_b32_e32 v4, 1
	s_and_saveexec_b64 s[16:17], s[0:1]
	s_cbranch_execz .LBB11_1683
; %bb.1687:                             ;   in Loop: Header=BB11_1686 Depth=2
	global_load_dword v4, v[32:33], off offset:20 sc0 sc1
	s_waitcnt vmcnt(0)
	buffer_inv sc0 sc1
	v_and_b32_e32 v4, 1, v4
	s_branch .LBB11_1683
.LBB11_1688:                            ;   in Loop: Header=BB11_1611 Depth=1
	global_load_dwordx4 v[2:5], v[2:3], off
	s_and_saveexec_b64 s[16:17], s[0:1]
	s_cbranch_execz .LBB11_1610
; %bb.1689:                             ;   in Loop: Header=BB11_1611 Depth=1
	global_load_dwordx2 v[4:5], v31, s[44:45] offset:40
	global_load_dwordx2 v[12:13], v31, s[44:45] offset:24 sc0 sc1
	global_load_dwordx2 v[14:15], v31, s[44:45]
	s_waitcnt vmcnt(2)
	v_lshl_add_u64 v[8:9], v[4:5], 0, 1
	v_lshl_add_u64 v[16:17], v[8:9], 0, s[10:11]
	v_cmp_eq_u64_e32 vcc, 0, v[16:17]
	s_waitcnt vmcnt(1)
	v_mov_b32_e32 v10, v12
	v_cndmask_b32_e32 v9, v17, v9, vcc
	v_cndmask_b32_e32 v8, v16, v8, vcc
	v_and_b32_e32 v5, v9, v5
	v_and_b32_e32 v4, v8, v4
	v_mul_lo_u32 v5, v5, 24
	v_mul_hi_u32 v11, v4, 24
	v_mul_lo_u32 v4, v4, 24
	v_add_u32_e32 v5, v11, v5
	s_waitcnt vmcnt(0)
	v_lshl_add_u64 v[4:5], v[14:15], 0, v[4:5]
	global_store_dwordx2 v[4:5], v[12:13], off
	v_mov_b32_e32 v11, v13
	buffer_wbl2 sc0 sc1
	s_waitcnt vmcnt(0)
	global_atomic_cmpswap_x2 v[10:11], v31, v[8:11], s[44:45] offset:24 sc0 sc1
	s_waitcnt vmcnt(0)
	v_cmp_ne_u64_e32 vcc, v[10:11], v[12:13]
	s_and_b64 exec, exec, vcc
	s_cbranch_execz .LBB11_1610
; %bb.1690:                             ;   in Loop: Header=BB11_1611 Depth=1
	s_mov_b64 s[0:1], 0
.LBB11_1691:                            ;   Parent Loop BB11_1611 Depth=1
                                        ; =>  This Inner Loop Header: Depth=2
	s_sleep 1
	global_store_dwordx2 v[4:5], v[10:11], off
	buffer_wbl2 sc0 sc1
	s_waitcnt vmcnt(0)
	global_atomic_cmpswap_x2 v[12:13], v31, v[8:11], s[44:45] offset:24 sc0 sc1
	s_waitcnt vmcnt(0)
	v_cmp_eq_u64_e32 vcc, v[12:13], v[10:11]
	s_or_b64 s[0:1], vcc, s[0:1]
	v_mov_b64_e32 v[10:11], v[12:13]
	s_andn2_b64 exec, exec, s[0:1]
	s_cbranch_execnz .LBB11_1691
	s_branch .LBB11_1610
.LBB11_1692:
	s_branch .LBB11_1720
.LBB11_1693:
                                        ; implicit-def: $vgpr2_vgpr3
	s_cbranch_execz .LBB11_1720
; %bb.1694:
	v_readfirstlane_b32 s0, v47
	s_waitcnt vmcnt(0)
	v_mov_b64_e32 v[2:3], 0
	v_cmp_eq_u32_e64 s[0:1], s0, v47
	s_and_saveexec_b64 s[2:3], s[0:1]
	s_cbranch_execz .LBB11_1700
; %bb.1695:
	v_mov_b32_e32 v4, 0
	global_load_dwordx2 v[8:9], v4, s[44:45] offset:24 sc0 sc1
	s_waitcnt vmcnt(0)
	buffer_inv sc0 sc1
	global_load_dwordx2 v[2:3], v4, s[44:45] offset:40
	global_load_dwordx2 v[6:7], v4, s[44:45]
	s_waitcnt vmcnt(1)
	v_and_b32_e32 v2, v2, v8
	v_and_b32_e32 v3, v3, v9
	v_mul_lo_u32 v3, v3, 24
	v_mul_hi_u32 v5, v2, 24
	v_add_u32_e32 v3, v5, v3
	v_mul_lo_u32 v2, v2, 24
	s_waitcnt vmcnt(0)
	v_lshl_add_u64 v[2:3], v[6:7], 0, v[2:3]
	global_load_dwordx2 v[6:7], v[2:3], off sc0 sc1
	s_waitcnt vmcnt(0)
	global_atomic_cmpswap_x2 v[2:3], v4, v[6:9], s[44:45] offset:24 sc0 sc1
	s_waitcnt vmcnt(0)
	buffer_inv sc0 sc1
	v_cmp_ne_u64_e32 vcc, v[2:3], v[8:9]
	s_and_saveexec_b64 s[4:5], vcc
	s_cbranch_execz .LBB11_1699
; %bb.1696:
	s_mov_b64 s[6:7], 0
.LBB11_1697:                            ; =>This Inner Loop Header: Depth=1
	s_sleep 1
	global_load_dwordx2 v[6:7], v4, s[44:45] offset:40
	global_load_dwordx2 v[10:11], v4, s[44:45]
	v_mov_b64_e32 v[8:9], v[2:3]
	s_waitcnt vmcnt(1)
	v_and_b32_e32 v2, v6, v8
	s_waitcnt vmcnt(0)
	v_mad_u64_u32 v[2:3], s[10:11], v2, 24, v[10:11]
	v_and_b32_e32 v5, v7, v9
	v_mov_b32_e32 v6, v3
	v_mad_u64_u32 v[6:7], s[10:11], v5, 24, v[6:7]
	v_mov_b32_e32 v3, v6
	global_load_dwordx2 v[6:7], v[2:3], off sc0 sc1
	s_waitcnt vmcnt(0)
	global_atomic_cmpswap_x2 v[2:3], v4, v[6:9], s[44:45] offset:24 sc0 sc1
	s_waitcnt vmcnt(0)
	buffer_inv sc0 sc1
	v_cmp_eq_u64_e32 vcc, v[2:3], v[8:9]
	s_or_b64 s[6:7], vcc, s[6:7]
	s_andn2_b64 exec, exec, s[6:7]
	s_cbranch_execnz .LBB11_1697
; %bb.1698:
	s_or_b64 exec, exec, s[6:7]
.LBB11_1699:
	s_or_b64 exec, exec, s[4:5]
.LBB11_1700:
	s_or_b64 exec, exec, s[2:3]
	v_mov_b32_e32 v61, 0
	global_load_dwordx2 v[8:9], v61, s[44:45] offset:40
	global_load_dwordx4 v[4:7], v61, s[44:45]
	v_readfirstlane_b32 s2, v2
	v_readfirstlane_b32 s3, v3
	s_mov_b64 s[4:5], exec
	s_waitcnt vmcnt(1)
	v_readfirstlane_b32 s6, v8
	v_readfirstlane_b32 s7, v9
	s_and_b64 s[6:7], s[2:3], s[6:7]
	s_mul_i32 s10, s7, 24
	s_mul_hi_u32 s11, s6, 24
	s_add_i32 s11, s11, s10
	s_mul_i32 s10, s6, 24
	s_waitcnt vmcnt(0)
	v_lshl_add_u64 v[8:9], v[4:5], 0, s[10:11]
	s_and_saveexec_b64 s[10:11], s[0:1]
	s_cbranch_execz .LBB11_1702
; %bb.1701:
	v_mov_b64_e32 v[10:11], s[4:5]
	v_mov_b32_e32 v12, 2
	v_mov_b32_e32 v13, 1
	global_store_dwordx4 v[8:9], v[10:13], off offset:8
.LBB11_1702:
	s_or_b64 exec, exec, s[10:11]
	s_lshl_b64 s[4:5], s[6:7], 12
	v_lshl_add_u64 v[6:7], v[6:7], 0, s[4:5]
	s_movk_i32 s4, 0xff1f
	v_and_or_b32 v0, v0, s4, 32
	s_mov_b32 s4, 0
	v_mov_b32_e32 v2, v61
	v_mov_b32_e32 v3, v61
	v_readfirstlane_b32 s10, v6
	v_readfirstlane_b32 s11, v7
	s_mov_b32 s5, s4
	s_mov_b32 s6, s4
	s_mov_b32 s7, s4
	s_nop 1
	global_store_dwordx4 v60, v[0:3], s[10:11]
	s_nop 1
	v_mov_b64_e32 v[0:1], s[4:5]
	v_mov_b64_e32 v[2:3], s[6:7]
	global_store_dwordx4 v60, v[0:3], s[10:11] offset:16
	global_store_dwordx4 v60, v[0:3], s[10:11] offset:32
	;; [unrolled: 1-line block ×3, first 2 shown]
	s_and_saveexec_b64 s[4:5], s[0:1]
	s_cbranch_execz .LBB11_1710
; %bb.1703:
	v_mov_b32_e32 v10, 0
	global_load_dwordx2 v[14:15], v10, s[44:45] offset:32 sc0 sc1
	global_load_dwordx2 v[0:1], v10, s[44:45] offset:40
	v_mov_b32_e32 v12, s2
	v_mov_b32_e32 v13, s3
	s_waitcnt vmcnt(0)
	v_readfirstlane_b32 s6, v0
	v_readfirstlane_b32 s7, v1
	s_and_b64 s[6:7], s[6:7], s[2:3]
	s_mul_i32 s7, s7, 24
	s_mul_hi_u32 s10, s6, 24
	s_mul_i32 s6, s6, 24
	s_add_i32 s7, s10, s7
	v_lshl_add_u64 v[4:5], v[4:5], 0, s[6:7]
	global_store_dwordx2 v[4:5], v[14:15], off
	buffer_wbl2 sc0 sc1
	s_waitcnt vmcnt(0)
	global_atomic_cmpswap_x2 v[2:3], v10, v[12:15], s[44:45] offset:32 sc0 sc1
	s_waitcnt vmcnt(0)
	v_cmp_ne_u64_e32 vcc, v[2:3], v[14:15]
	s_and_saveexec_b64 s[6:7], vcc
	s_cbranch_execz .LBB11_1706
; %bb.1704:
	s_mov_b64 s[10:11], 0
.LBB11_1705:                            ; =>This Inner Loop Header: Depth=1
	s_sleep 1
	global_store_dwordx2 v[4:5], v[2:3], off
	v_mov_b32_e32 v0, s2
	v_mov_b32_e32 v1, s3
	buffer_wbl2 sc0 sc1
	s_waitcnt vmcnt(0)
	global_atomic_cmpswap_x2 v[0:1], v10, v[0:3], s[44:45] offset:32 sc0 sc1
	s_waitcnt vmcnt(0)
	v_cmp_eq_u64_e32 vcc, v[0:1], v[2:3]
	s_or_b64 s[10:11], vcc, s[10:11]
	v_mov_b64_e32 v[2:3], v[0:1]
	s_andn2_b64 exec, exec, s[10:11]
	s_cbranch_execnz .LBB11_1705
.LBB11_1706:
	s_or_b64 exec, exec, s[6:7]
	v_mov_b32_e32 v3, 0
	global_load_dwordx2 v[0:1], v3, s[44:45] offset:16
	s_mov_b64 s[6:7], exec
	v_mbcnt_lo_u32_b32 v2, s6, 0
	v_mbcnt_hi_u32_b32 v2, s7, v2
	v_cmp_eq_u32_e32 vcc, 0, v2
	s_and_saveexec_b64 s[10:11], vcc
	s_cbranch_execz .LBB11_1708
; %bb.1707:
	s_bcnt1_i32_b64 s6, s[6:7]
	v_mov_b32_e32 v2, s6
	buffer_wbl2 sc0 sc1
	s_waitcnt vmcnt(0)
	global_atomic_add_x2 v[0:1], v[2:3], off offset:8 sc1
.LBB11_1708:
	s_or_b64 exec, exec, s[10:11]
	s_waitcnt vmcnt(0)
	global_load_dwordx2 v[2:3], v[0:1], off offset:16
	s_waitcnt vmcnt(0)
	v_cmp_eq_u64_e32 vcc, 0, v[2:3]
	s_cbranch_vccnz .LBB11_1710
; %bb.1709:
	global_load_dword v0, v[0:1], off offset:24
	v_mov_b32_e32 v1, 0
	buffer_wbl2 sc0 sc1
	s_waitcnt vmcnt(0)
	global_store_dwordx2 v[2:3], v[0:1], off sc0 sc1
	v_and_b32_e32 v0, 0xffffff, v0
	s_nop 0
	v_readfirstlane_b32 m0, v0
	s_sendmsg sendmsg(MSG_INTERRUPT)
.LBB11_1710:
	s_or_b64 exec, exec, s[4:5]
	v_lshl_add_u64 v[0:1], v[6:7], 0, v[60:61]
	s_branch .LBB11_1714
.LBB11_1711:                            ;   in Loop: Header=BB11_1714 Depth=1
	s_or_b64 exec, exec, s[4:5]
	v_readfirstlane_b32 s4, v2
	s_cmp_eq_u32 s4, 0
	s_cbranch_scc1 .LBB11_1713
; %bb.1712:                             ;   in Loop: Header=BB11_1714 Depth=1
	s_sleep 1
	s_cbranch_execnz .LBB11_1714
	s_branch .LBB11_1716
.LBB11_1713:
	s_branch .LBB11_1716
.LBB11_1714:                            ; =>This Inner Loop Header: Depth=1
	v_mov_b32_e32 v2, 1
	s_and_saveexec_b64 s[4:5], s[0:1]
	s_cbranch_execz .LBB11_1711
; %bb.1715:                             ;   in Loop: Header=BB11_1714 Depth=1
	global_load_dword v2, v[8:9], off offset:20 sc0 sc1
	s_waitcnt vmcnt(0)
	buffer_inv sc0 sc1
	v_and_b32_e32 v2, 1, v2
	s_branch .LBB11_1711
.LBB11_1716:
	global_load_dwordx2 v[2:3], v[0:1], off
	s_and_saveexec_b64 s[4:5], s[0:1]
	s_cbranch_execz .LBB11_1719
; %bb.1717:
	v_mov_b32_e32 v8, 0
	global_load_dwordx2 v[0:1], v8, s[44:45] offset:40
	global_load_dwordx2 v[10:11], v8, s[44:45] offset:24 sc0 sc1
	global_load_dwordx2 v[12:13], v8, s[44:45]
	s_mov_b64 s[0:1], 0
	s_waitcnt vmcnt(2)
	v_lshl_add_u64 v[4:5], v[0:1], 0, 1
	v_lshl_add_u64 v[14:15], v[4:5], 0, s[2:3]
	v_cmp_eq_u64_e32 vcc, 0, v[14:15]
	s_waitcnt vmcnt(1)
	v_mov_b32_e32 v6, v10
	v_cndmask_b32_e32 v5, v15, v5, vcc
	v_cndmask_b32_e32 v4, v14, v4, vcc
	v_and_b32_e32 v1, v5, v1
	v_and_b32_e32 v0, v4, v0
	v_mul_lo_u32 v1, v1, 24
	v_mul_hi_u32 v7, v0, 24
	v_mul_lo_u32 v0, v0, 24
	v_add_u32_e32 v1, v7, v1
	s_waitcnt vmcnt(0)
	v_lshl_add_u64 v[0:1], v[12:13], 0, v[0:1]
	global_store_dwordx2 v[0:1], v[10:11], off
	v_mov_b32_e32 v7, v11
	buffer_wbl2 sc0 sc1
	s_waitcnt vmcnt(0)
	global_atomic_cmpswap_x2 v[6:7], v8, v[4:7], s[44:45] offset:24 sc0 sc1
	s_waitcnt vmcnt(0)
	v_cmp_ne_u64_e32 vcc, v[6:7], v[10:11]
	s_and_b64 exec, exec, vcc
	s_cbranch_execz .LBB11_1719
.LBB11_1718:                            ; =>This Inner Loop Header: Depth=1
	s_sleep 1
	global_store_dwordx2 v[0:1], v[6:7], off
	buffer_wbl2 sc0 sc1
	s_waitcnt vmcnt(0)
	global_atomic_cmpswap_x2 v[10:11], v8, v[4:7], s[44:45] offset:24 sc0 sc1
	s_waitcnt vmcnt(0)
	v_cmp_eq_u64_e32 vcc, v[10:11], v[6:7]
	s_or_b64 s[0:1], vcc, s[0:1]
	v_mov_b64_e32 v[6:7], v[10:11]
	s_andn2_b64 exec, exec, s[0:1]
	s_cbranch_execnz .LBB11_1718
.LBB11_1719:
	s_or_b64 exec, exec, s[4:5]
.LBB11_1720:
	v_readfirstlane_b32 s0, v47
	s_waitcnt vmcnt(0)
	v_mov_b64_e32 v[0:1], 0
	v_cmp_eq_u32_e64 s[0:1], s0, v47
	s_and_saveexec_b64 s[2:3], s[0:1]
	s_cbranch_execz .LBB11_1726
; %bb.1721:
	v_mov_b32_e32 v4, 0
	global_load_dwordx2 v[8:9], v4, s[44:45] offset:24 sc0 sc1
	s_waitcnt vmcnt(0)
	buffer_inv sc0 sc1
	global_load_dwordx2 v[0:1], v4, s[44:45] offset:40
	global_load_dwordx2 v[6:7], v4, s[44:45]
	s_waitcnt vmcnt(1)
	v_and_b32_e32 v0, v0, v8
	v_and_b32_e32 v1, v1, v9
	v_mul_lo_u32 v1, v1, 24
	v_mul_hi_u32 v5, v0, 24
	v_add_u32_e32 v1, v5, v1
	v_mul_lo_u32 v0, v0, 24
	s_waitcnt vmcnt(0)
	v_lshl_add_u64 v[0:1], v[6:7], 0, v[0:1]
	global_load_dwordx2 v[6:7], v[0:1], off sc0 sc1
	s_waitcnt vmcnt(0)
	global_atomic_cmpswap_x2 v[0:1], v4, v[6:9], s[44:45] offset:24 sc0 sc1
	s_waitcnt vmcnt(0)
	buffer_inv sc0 sc1
	v_cmp_ne_u64_e32 vcc, v[0:1], v[8:9]
	s_and_saveexec_b64 s[4:5], vcc
	s_cbranch_execz .LBB11_1725
; %bb.1722:
	s_mov_b64 s[6:7], 0
.LBB11_1723:                            ; =>This Inner Loop Header: Depth=1
	s_sleep 1
	global_load_dwordx2 v[6:7], v4, s[44:45] offset:40
	global_load_dwordx2 v[10:11], v4, s[44:45]
	v_mov_b64_e32 v[8:9], v[0:1]
	s_waitcnt vmcnt(1)
	v_and_b32_e32 v0, v6, v8
	s_waitcnt vmcnt(0)
	v_mad_u64_u32 v[0:1], s[10:11], v0, 24, v[10:11]
	v_and_b32_e32 v5, v7, v9
	v_mov_b32_e32 v6, v1
	v_mad_u64_u32 v[6:7], s[10:11], v5, 24, v[6:7]
	v_mov_b32_e32 v1, v6
	global_load_dwordx2 v[6:7], v[0:1], off sc0 sc1
	s_waitcnt vmcnt(0)
	global_atomic_cmpswap_x2 v[0:1], v4, v[6:9], s[44:45] offset:24 sc0 sc1
	s_waitcnt vmcnt(0)
	buffer_inv sc0 sc1
	v_cmp_eq_u64_e32 vcc, v[0:1], v[8:9]
	s_or_b64 s[6:7], vcc, s[6:7]
	s_andn2_b64 exec, exec, s[6:7]
	s_cbranch_execnz .LBB11_1723
; %bb.1724:
	s_or_b64 exec, exec, s[6:7]
.LBB11_1725:
	s_or_b64 exec, exec, s[4:5]
.LBB11_1726:
	s_or_b64 exec, exec, s[2:3]
	v_mov_b32_e32 v5, 0
	global_load_dwordx2 v[10:11], v5, s[44:45] offset:40
	global_load_dwordx4 v[6:9], v5, s[44:45]
	v_readfirstlane_b32 s2, v0
	v_readfirstlane_b32 s3, v1
	s_mov_b64 s[4:5], exec
	s_waitcnt vmcnt(1)
	v_readfirstlane_b32 s6, v10
	v_readfirstlane_b32 s7, v11
	s_and_b64 s[6:7], s[2:3], s[6:7]
	s_mul_i32 s10, s7, 24
	s_mul_hi_u32 s11, s6, 24
	s_add_i32 s11, s11, s10
	s_mul_i32 s10, s6, 24
	s_waitcnt vmcnt(0)
	v_lshl_add_u64 v[10:11], v[6:7], 0, s[10:11]
	s_and_saveexec_b64 s[10:11], s[0:1]
	s_cbranch_execz .LBB11_1728
; %bb.1727:
	v_mov_b64_e32 v[12:13], s[4:5]
	v_mov_b32_e32 v14, 2
	v_mov_b32_e32 v15, 1
	global_store_dwordx4 v[10:11], v[12:15], off offset:8
.LBB11_1728:
	s_or_b64 exec, exec, s[10:11]
	s_lshl_b64 s[4:5], s[6:7], 12
	v_lshl_add_u64 v[0:1], v[8:9], 0, s[4:5]
	s_movk_i32 s4, 0xff1d
	v_and_or_b32 v2, v2, s4, 34
	s_mov_b32 s4, 0
	v_mov_b32_e32 v4, 10
	v_readfirstlane_b32 s10, v0
	v_readfirstlane_b32 s11, v1
	s_mov_b32 s5, s4
	s_mov_b32 s6, s4
	;; [unrolled: 1-line block ×3, first 2 shown]
	s_nop 1
	global_store_dwordx4 v60, v[2:5], s[10:11]
	v_mov_b64_e32 v[0:1], s[4:5]
	s_nop 0
	v_mov_b64_e32 v[2:3], s[6:7]
	global_store_dwordx4 v60, v[0:3], s[10:11] offset:16
	global_store_dwordx4 v60, v[0:3], s[10:11] offset:32
	global_store_dwordx4 v60, v[0:3], s[10:11] offset:48
	s_and_saveexec_b64 s[4:5], s[0:1]
	s_cbranch_execz .LBB11_1736
; %bb.1729:
	v_mov_b32_e32 v8, 0
	global_load_dwordx2 v[14:15], v8, s[44:45] offset:32 sc0 sc1
	global_load_dwordx2 v[0:1], v8, s[44:45] offset:40
	v_mov_b32_e32 v12, s2
	v_mov_b32_e32 v13, s3
	s_waitcnt vmcnt(0)
	v_readfirstlane_b32 s6, v0
	v_readfirstlane_b32 s7, v1
	s_and_b64 s[6:7], s[6:7], s[2:3]
	s_mul_i32 s7, s7, 24
	s_mul_hi_u32 s10, s6, 24
	s_mul_i32 s6, s6, 24
	s_add_i32 s7, s10, s7
	v_lshl_add_u64 v[4:5], v[6:7], 0, s[6:7]
	global_store_dwordx2 v[4:5], v[14:15], off
	buffer_wbl2 sc0 sc1
	s_waitcnt vmcnt(0)
	global_atomic_cmpswap_x2 v[2:3], v8, v[12:15], s[44:45] offset:32 sc0 sc1
	s_waitcnt vmcnt(0)
	v_cmp_ne_u64_e32 vcc, v[2:3], v[14:15]
	s_and_saveexec_b64 s[6:7], vcc
	s_cbranch_execz .LBB11_1732
; %bb.1730:
	s_mov_b64 s[10:11], 0
.LBB11_1731:                            ; =>This Inner Loop Header: Depth=1
	s_sleep 1
	global_store_dwordx2 v[4:5], v[2:3], off
	v_mov_b32_e32 v0, s2
	v_mov_b32_e32 v1, s3
	buffer_wbl2 sc0 sc1
	s_waitcnt vmcnt(0)
	global_atomic_cmpswap_x2 v[0:1], v8, v[0:3], s[44:45] offset:32 sc0 sc1
	s_waitcnt vmcnt(0)
	v_cmp_eq_u64_e32 vcc, v[0:1], v[2:3]
	s_or_b64 s[10:11], vcc, s[10:11]
	v_mov_b64_e32 v[2:3], v[0:1]
	s_andn2_b64 exec, exec, s[10:11]
	s_cbranch_execnz .LBB11_1731
.LBB11_1732:
	s_or_b64 exec, exec, s[6:7]
	v_mov_b32_e32 v3, 0
	global_load_dwordx2 v[0:1], v3, s[44:45] offset:16
	s_mov_b64 s[6:7], exec
	v_mbcnt_lo_u32_b32 v2, s6, 0
	v_mbcnt_hi_u32_b32 v2, s7, v2
	v_cmp_eq_u32_e32 vcc, 0, v2
	s_and_saveexec_b64 s[10:11], vcc
	s_cbranch_execz .LBB11_1734
; %bb.1733:
	s_bcnt1_i32_b64 s6, s[6:7]
	v_mov_b32_e32 v2, s6
	buffer_wbl2 sc0 sc1
	s_waitcnt vmcnt(0)
	global_atomic_add_x2 v[0:1], v[2:3], off offset:8 sc1
.LBB11_1734:
	s_or_b64 exec, exec, s[10:11]
	s_waitcnt vmcnt(0)
	global_load_dwordx2 v[2:3], v[0:1], off offset:16
	s_waitcnt vmcnt(0)
	v_cmp_eq_u64_e32 vcc, 0, v[2:3]
	s_cbranch_vccnz .LBB11_1736
; %bb.1735:
	global_load_dword v0, v[0:1], off offset:24
	v_mov_b32_e32 v1, 0
	buffer_wbl2 sc0 sc1
	s_waitcnt vmcnt(0)
	global_store_dwordx2 v[2:3], v[0:1], off sc0 sc1
	v_and_b32_e32 v0, 0xffffff, v0
	s_nop 0
	v_readfirstlane_b32 m0, v0
	s_sendmsg sendmsg(MSG_INTERRUPT)
.LBB11_1736:
	s_or_b64 exec, exec, s[4:5]
	s_branch .LBB11_1740
.LBB11_1737:                            ;   in Loop: Header=BB11_1740 Depth=1
	s_or_b64 exec, exec, s[4:5]
	v_readfirstlane_b32 s4, v0
	s_cmp_eq_u32 s4, 0
	s_cbranch_scc1 .LBB11_1739
; %bb.1738:                             ;   in Loop: Header=BB11_1740 Depth=1
	s_sleep 1
	s_cbranch_execnz .LBB11_1740
	s_branch .LBB11_1742
.LBB11_1739:
	s_branch .LBB11_1742
.LBB11_1740:                            ; =>This Inner Loop Header: Depth=1
	v_mov_b32_e32 v0, 1
	s_and_saveexec_b64 s[4:5], s[0:1]
	s_cbranch_execz .LBB11_1737
; %bb.1741:                             ;   in Loop: Header=BB11_1740 Depth=1
	global_load_dword v0, v[10:11], off offset:20 sc0 sc1
	s_waitcnt vmcnt(0)
	buffer_inv sc0 sc1
	v_and_b32_e32 v0, 1, v0
	s_branch .LBB11_1737
.LBB11_1742:
	s_and_saveexec_b64 s[4:5], s[0:1]
	s_cbranch_execz .LBB11_1745
; %bb.1743:
	v_mov_b32_e32 v6, 0
	global_load_dwordx2 v[4:5], v6, s[44:45] offset:40
	global_load_dwordx2 v[8:9], v6, s[44:45] offset:24 sc0 sc1
	global_load_dwordx2 v[10:11], v6, s[44:45]
	s_mov_b64 s[0:1], 0
	s_waitcnt vmcnt(2)
	v_lshl_add_u64 v[0:1], v[4:5], 0, 1
	v_lshl_add_u64 v[12:13], v[0:1], 0, s[2:3]
	v_cmp_eq_u64_e32 vcc, 0, v[12:13]
	s_waitcnt vmcnt(1)
	v_mov_b32_e32 v2, v8
	v_cndmask_b32_e32 v1, v13, v1, vcc
	v_cndmask_b32_e32 v0, v12, v0, vcc
	v_and_b32_e32 v3, v1, v5
	v_and_b32_e32 v4, v0, v4
	v_mul_lo_u32 v3, v3, 24
	v_mul_hi_u32 v5, v4, 24
	v_mul_lo_u32 v4, v4, 24
	v_add_u32_e32 v5, v5, v3
	s_waitcnt vmcnt(0)
	v_lshl_add_u64 v[4:5], v[10:11], 0, v[4:5]
	global_store_dwordx2 v[4:5], v[8:9], off
	v_mov_b32_e32 v3, v9
	buffer_wbl2 sc0 sc1
	s_waitcnt vmcnt(0)
	global_atomic_cmpswap_x2 v[2:3], v6, v[0:3], s[44:45] offset:24 sc0 sc1
	s_waitcnt vmcnt(0)
	v_cmp_ne_u64_e32 vcc, v[2:3], v[8:9]
	s_and_b64 exec, exec, vcc
	s_cbranch_execz .LBB11_1745
.LBB11_1744:                            ; =>This Inner Loop Header: Depth=1
	s_sleep 1
	global_store_dwordx2 v[4:5], v[2:3], off
	buffer_wbl2 sc0 sc1
	s_waitcnt vmcnt(0)
	global_atomic_cmpswap_x2 v[8:9], v6, v[0:3], s[44:45] offset:24 sc0 sc1
	s_waitcnt vmcnt(0)
	v_cmp_eq_u64_e32 vcc, v[8:9], v[2:3]
	s_or_b64 s[0:1], vcc, s[0:1]
	v_mov_b64_e32 v[2:3], v[8:9]
	s_andn2_b64 exec, exec, s[0:1]
	s_cbranch_execnz .LBB11_1744
.LBB11_1745:
	s_or_b64 exec, exec, s[4:5]
	flat_load_dwordx2 v[0:1], v[58:59]
	s_waitcnt vmcnt(0) lgkmcnt(0)
	flat_load_dword v2, v[0:1]
	s_waitcnt vmcnt(0) lgkmcnt(0)
	v_add_u32_e32 v2, 1, v2
	flat_store_dword v[0:1], v2
.LBB11_1746:
	s_or_b64 exec, exec, s[42:43]
	s_getpc_b64 s[0:1]
	s_add_u32 s0, s0, _ZN8migraphx4test4failEv@rel32@lo+4
	s_addc_u32 s1, s1, _ZN8migraphx4test4failEv@rel32@hi+12
	s_swappc_b64 s[30:31], s[0:1]
	; divergent unreachable
.LBB11_1747:
	s_andn2_saveexec_b64 s[0:1], s[40:41]
	s_or_b64 exec, exec, s[0:1]
	v_readlane_b32 s30, v62, 0
	v_readlane_b32 s31, v62, 1
	v_readlane_b32 s0, v62, 2
	s_or_saveexec_b64 s[2:3], -1
	scratch_load_dword v62, off, s33 offset:40 ; 4-byte Folded Reload
	s_mov_b64 exec, s[2:3]
	s_addk_i32 s32, 0xffd0
	s_mov_b32 s33, s0
	s_waitcnt vmcnt(0)
	s_setpc_b64 s[30:31]
.Lfunc_end11:
	.size	_ZL21merge_single_elementsRN8migraphx4test12test_managerE, .Lfunc_end11-_ZL21merge_single_elementsRN8migraphx4test12test_managerE
                                        ; -- End function
	.section	.AMDGPU.csdata,"",@progbits
; Function info:
; codeLenInByte = 59640
; NumSgprs: 60
; NumVgprs: 63
; NumAgprs: 0
; TotalNumVgprs: 63
; ScratchSize: 64
; MemoryBound: 0
	.text
	.protected	gpu_test_kernel         ; -- Begin function gpu_test_kernel
	.globl	gpu_test_kernel
	.p2align	8
	.type	gpu_test_kernel,@function
gpu_test_kernel:                        ; @gpu_test_kernel
; %bb.0:
	s_mov_b32 s57, s5
	s_mov_b32 s58, s4
	s_mov_b64 s[54:55], s[2:3]
	s_load_dwordx2 s[2:3], s[0:1], 0x4
	s_load_dwordx2 s[4:5], s[54:55], 0x8
	s_load_dword s59, s[54:55], 0x0
	v_mov_b32_e32 v64, v0
	v_and_b32_e32 v65, 0x3ff, v64
	s_waitcnt lgkmcnt(0)
	s_lshr_b32 s0, s2, 16
	s_mul_i32 s0, s0, s3
	v_mul_lo_u32 v0, s0, v65
	v_bfe_u32 v1, v64, 10, 10
	v_mad_u32_u24 v0, v1, s3, v0
	v_bfe_u32 v1, v64, 20, 10
	v_add_lshl_u32 v63, v0, v1, 3
	v_mov_b64_e32 v[0:1], s[4:5]
	s_mov_b32 s56, s6
	s_mov_b64 s[60:61], src_shared_base
	s_cmp_lt_i32 s59, 3
	s_mov_b64 s[0:1], -1
	s_movk_i32 s32, 0x60
	ds_write_b64 v63, v[0:1]
	s_cbranch_scc1 .LBB12_12
; %bb.1:
	s_cmp_lt_i32 s59, 4
	s_cbranch_scc1 .LBB12_9
; %bb.2:
	s_cmp_lt_i32 s59, 5
	s_cbranch_scc1 .LBB12_6
; %bb.3:
	s_cmp_eq_u32 s59, 5
	s_cbranch_scc0 .LBB12_5
; %bb.4:
	s_add_u32 s8, s54, 16
	s_addc_u32 s9, s55, 0
	v_mov_b32_e32 v1, s61
	s_mov_b32 s12, s58
	s_mov_b32 s13, s57
	;; [unrolled: 1-line block ×3, first 2 shown]
	v_mov_b32_e32 v31, v64
	v_mov_b32_e32 v0, v63
	s_getpc_b64 s[0:1]
	s_add_u32 s0, s0, _ZL21merge_single_elementsRN8migraphx4test12test_managerE@rel32@lo+4
	s_addc_u32 s1, s1, _ZL21merge_single_elementsRN8migraphx4test12test_managerE@rel32@hi+12
	s_swappc_b64 s[30:31], s[0:1]
.LBB12_5:
	s_mov_b64 s[0:1], 0
.LBB12_6:
	s_andn2_b64 vcc, exec, s[0:1]
	s_cbranch_vccnz .LBB12_8
; %bb.7:
	s_add_u32 s8, s54, 16
	s_addc_u32 s9, s55, 0
	v_mov_b32_e32 v1, s61
	s_mov_b32 s12, s58
	s_mov_b32 s13, s57
	;; [unrolled: 1-line block ×3, first 2 shown]
	v_mov_b32_e32 v31, v64
	v_mov_b32_e32 v0, v63
	s_getpc_b64 s[0:1]
	s_add_u32 s0, s0, _ZL24merge_all_equal_elementsRN8migraphx4test12test_managerE@rel32@lo+4
	s_addc_u32 s1, s1, _ZL24merge_all_equal_elementsRN8migraphx4test12test_managerE@rel32@hi+12
	s_swappc_b64 s[30:31], s[0:1]
.LBB12_8:
	s_mov_b64 s[0:1], 0
.LBB12_9:
	s_andn2_b64 vcc, exec, s[0:1]
	s_cbranch_vccnz .LBB12_11
; %bb.10:
	s_add_u32 s8, s54, 16
	s_addc_u32 s9, s55, 0
	v_mov_b32_e32 v1, s61
	s_mov_b32 s12, s58
	s_mov_b32 s13, s57
	s_mov_b32 s14, s56
	v_mov_b32_e32 v31, v64
	v_mov_b32_e32 v0, v63
	s_getpc_b64 s[0:1]
	s_add_u32 s0, s0, _ZL21merge_many_duplicatesRN8migraphx4test12test_managerE@rel32@lo+4
	s_addc_u32 s1, s1, _ZL21merge_many_duplicatesRN8migraphx4test12test_managerE@rel32@hi+12
	s_swappc_b64 s[30:31], s[0:1]
.LBB12_11:
	s_mov_b64 s[0:1], 0
.LBB12_12:
	s_andn2_b64 vcc, exec, s[0:1]
	s_cbranch_vccnz .LBB12_21
; %bb.13:
	s_cmp_lt_i32 s59, 1
	s_mov_b64 s[0:1], -1
	s_cbranch_scc1 .LBB12_19
; %bb.14:
	s_cmp_gt_i32 s59, 1
	s_cbranch_scc0 .LBB12_16
; %bb.15:
	s_add_u32 s8, s54, 16
	s_addc_u32 s9, s55, 0
	v_mov_b32_e32 v1, s61
	s_mov_b32 s12, s58
	s_mov_b32 s13, s57
	;; [unrolled: 1-line block ×3, first 2 shown]
	v_mov_b32_e32 v31, v64
	v_mov_b32_e32 v0, v63
	s_getpc_b64 s[0:1]
	s_add_u32 s0, s0, _ZL17merge_interleavedRN8migraphx4test12test_managerE@rel32@lo+4
	s_addc_u32 s1, s1, _ZL17merge_interleavedRN8migraphx4test12test_managerE@rel32@hi+12
	s_swappc_b64 s[30:31], s[0:1]
	s_mov_b64 s[0:1], 0
.LBB12_16:
	s_andn2_b64 vcc, exec, s[0:1]
	s_cbranch_vccnz .LBB12_18
; %bb.17:
	s_add_u32 s8, s54, 16
	s_addc_u32 s9, s55, 0
	v_mov_b32_e32 v1, s61
	s_mov_b32 s12, s58
	s_mov_b32 s13, s57
	;; [unrolled: 1-line block ×3, first 2 shown]
	v_mov_b32_e32 v31, v64
	v_mov_b32_e32 v0, v63
	s_getpc_b64 s[0:1]
	s_add_u32 s0, s0, _ZL22merge_first_all_largerRN8migraphx4test12test_managerE@rel32@lo+4
	s_addc_u32 s1, s1, _ZL22merge_first_all_largerRN8migraphx4test12test_managerE@rel32@hi+12
	s_swappc_b64 s[30:31], s[0:1]
.LBB12_18:
	s_mov_b64 s[0:1], 0
.LBB12_19:
	s_andn2_b64 vcc, exec, s[0:1]
	s_cbranch_vccnz .LBB12_21
; %bb.20:
	s_cmp_lg_u32 s59, 0
	s_cbranch_scc0 .LBB12_22
.LBB12_21:
	s_endpgm
.LBB12_22:
	v_mov_b32_e32 v0, 1
	v_mov_b32_e32 v1, 2
	;; [unrolled: 1-line block ×3, first 2 shown]
	scratch_store_dwordx3 off, v[0:2], off
	s_mov_b64 s[0:1], 0
                                        ; implicit-def: $sgpr2_sgpr3
                                        ; implicit-def: $sgpr6_sgpr7
                                        ; implicit-def: $sgpr4_sgpr5
	s_nop 0
	v_mov_b32_e32 v0, 4
	v_mov_b32_e32 v1, 5
	;; [unrolled: 1-line block ×3, first 2 shown]
	scratch_store_dwordx3 off, v[0:2], off offset:12
	s_nop 1
	v_mov_b32_e32 v0, 0
	v_mov_b32_e32 v1, v0
	;; [unrolled: 1-line block ×4, first 2 shown]
	scratch_store_dwordx4 off, v[0:3], off offset:24
	scratch_store_dwordx2 off, v[0:1], off offset:40
	v_mov_b32_e32 v6, v0
	v_mov_b32_e32 v3, 24
	s_branch .LBB12_24
.LBB12_23:                              ;   in Loop: Header=BB12_24 Depth=1
	s_or_b64 exec, exec, s[8:9]
	s_and_b64 s[8:9], exec, s[6:7]
	s_or_b64 s[0:1], s[8:9], s[0:1]
	s_andn2_b64 s[2:3], s[2:3], exec
	s_and_b64 s[8:9], s[4:5], exec
	s_or_b64 s[2:3], s[2:3], s[8:9]
	s_andn2_b64 exec, exec, s[0:1]
	s_cbranch_execz .LBB12_26
.LBB12_24:                              ; =>This Inner Loop Header: Depth=1
	v_mov_b32_e32 v2, v6
	v_mov_b32_e32 v1, v3
	v_cmp_ne_u32_e32 vcc, 12, v0
	s_or_b64 s[4:5], s[4:5], exec
	s_or_b64 s[6:7], s[6:7], exec
                                        ; implicit-def: $vgpr6
                                        ; implicit-def: $vgpr3
                                        ; implicit-def: $vgpr4
                                        ; implicit-def: $vgpr5
	s_and_saveexec_b64 s[8:9], vcc
	s_cbranch_execz .LBB12_23
; %bb.25:                               ;   in Loop: Header=BB12_24 Depth=1
	v_add_u32_e32 v4, 12, v0
	v_add_u32_e32 v3, 0, v2
	scratch_load_dword v5, v4, off
	scratch_load_dword v6, v3, off
	s_andn2_b64 s[6:7], s[6:7], exec
	v_add_u32_e32 v3, 4, v1
	s_andn2_b64 s[4:5], s[4:5], exec
	s_waitcnt vmcnt(0)
	v_cmp_ge_i32_e32 vcc, v5, v6
	s_nop 1
	v_cndmask_b32_e64 v8, 0, 1, vcc
	v_min_i32_e32 v7, v5, v6
	v_cmp_lt_i32_e32 vcc, v5, v6
	v_lshl_add_u32 v6, v8, 2, v2
	scratch_store_dword v1, v7, off
	v_cndmask_b32_e64 v5, 0, 1, vcc
	v_cmp_eq_u32_e32 vcc, 12, v6
	v_lshlrev_b32_e32 v5, 2, v5
	s_and_b64 s[10:11], vcc, exec
	v_add_u32_e32 v0, v5, v0
	s_or_b64 s[6:7], s[6:7], s[10:11]
	s_branch .LBB12_23
.LBB12_26:
	s_or_b64 exec, exec, s[0:1]
	s_xor_b64 s[0:1], s[2:3], -1
	s_and_saveexec_b64 s[2:3], s[0:1]
	s_xor_b64 s[0:1], exec, s[2:3]
	s_cbranch_execz .LBB12_36
; %bb.27:
	v_cmp_ne_u32_e32 vcc, 12, v0
	s_and_saveexec_b64 s[2:3], vcc
	s_cbranch_execz .LBB12_35
; %bb.28:
	v_cmp_ne_u32_e32 vcc, 8, v0
	s_mov_b64 s[6:7], -1
	v_mov_b32_e32 v6, 8
	s_and_saveexec_b64 s[4:5], vcc
	s_cbranch_execz .LBB12_32
; %bb.29:
	v_sub_u32_e32 v6, 8, v0
	v_lshrrev_b32_e32 v6, 2, v6
	v_add_u32_e32 v7, 1, v6
	v_and_b32_e32 v8, 0x7ffffffe, v7
	v_add_u32_e32 v4, v4, v5
	s_mov_b32 s8, 0
	s_mov_b64 s[6:7], 0
	v_mov_b32_e32 v5, v8
.LBB12_30:                              ; =>This Inner Loop Header: Depth=1
	v_add_u32_e32 v6, s8, v4
	scratch_load_dwordx2 v[10:11], v6, off
	v_add_u32_e32 v5, -2, v5
	v_add_u32_e32 v6, s8, v3
	s_add_i32 s8, s8, 8
	v_cmp_eq_u32_e32 vcc, 0, v5
	s_or_b64 s[6:7], vcc, s[6:7]
	s_waitcnt vmcnt(0)
	scratch_store_dwordx2 v6, v[10:11], off
	s_andn2_b64 exec, exec, s[6:7]
	s_cbranch_execnz .LBB12_30
; %bb.31:
	s_or_b64 exec, exec, s[6:7]
	v_lshlrev_b32_e32 v4, 2, v8
	v_cmp_ne_u32_e32 vcc, v7, v8
	v_add_u32_e32 v3, v3, v4
	v_add_u32_e32 v6, v0, v4
	s_orn2_b64 s[6:7], vcc, exec
.LBB12_32:
	s_or_b64 exec, exec, s[4:5]
	s_and_b64 exec, exec, s[6:7]
	s_cbranch_execz .LBB12_35
; %bb.33:
	s_mov_b64 s[4:5], 0
.LBB12_34:                              ; =>This Inner Loop Header: Depth=1
	v_add_u32_e32 v0, 12, v6
	scratch_load_dword v0, v0, off
	v_add_u32_e32 v6, 4, v6
	v_add_u32_e32 v4, 4, v3
	v_cmp_eq_u32_e32 vcc, 12, v6
	s_or_b64 s[4:5], vcc, s[4:5]
	s_waitcnt vmcnt(0)
	scratch_store_dword v3, v0, off
	v_mov_b32_e32 v3, v4
	s_andn2_b64 exec, exec, s[4:5]
	s_cbranch_execnz .LBB12_34
.LBB12_35:
	s_or_b64 exec, exec, s[2:3]
.LBB12_36:
	s_andn2_saveexec_b64 s[0:1], s[0:1]
	s_cbranch_execz .LBB12_45
; %bb.37:
	v_cmp_ne_u32_e32 vcc, 8, v2
	s_mov_b64 s[4:5], -1
	v_mov_b32_e32 v0, 8
	s_and_saveexec_b64 s[2:3], vcc
	s_cbranch_execz .LBB12_41
; %bb.38:
	v_sub_u32_e32 v0, 8, v2
	v_lshrrev_b32_e32 v0, 2, v0
	v_add_u32_e32 v3, 1, v0
	v_and_b32_e32 v4, 0x7ffffffe, v3
	v_add_u32_e32 v0, 0, v2
	s_mov_b32 s6, 0
	s_mov_b64 s[4:5], 0
	v_mov_b32_e32 v5, v4
.LBB12_39:                              ; =>This Inner Loop Header: Depth=1
	v_add_u32_e32 v6, s6, v0
	scratch_load_dwordx2 v[6:7], v6, off
	v_add_u32_e32 v5, -2, v5
	v_add_u32_e32 v8, s6, v1
	s_add_i32 s6, s6, 8
	v_cmp_eq_u32_e32 vcc, 0, v5
	s_or_b64 s[4:5], vcc, s[4:5]
	s_waitcnt vmcnt(0)
	scratch_store_dwordx2 v8, v[6:7], off
	s_andn2_b64 exec, exec, s[4:5]
	s_cbranch_execnz .LBB12_39
; %bb.40:
	s_or_b64 exec, exec, s[4:5]
	v_lshlrev_b32_e32 v0, 2, v4
	v_cmp_ne_u32_e32 vcc, v3, v4
	v_add_u32_e32 v1, v1, v0
	v_add_u32_e32 v0, v2, v0
	s_orn2_b64 s[4:5], vcc, exec
.LBB12_41:
	s_or_b64 exec, exec, s[2:3]
	s_and_saveexec_b64 s[2:3], s[4:5]
	s_cbranch_execz .LBB12_44
; %bb.42:
	s_mov_b64 s[4:5], 0
.LBB12_43:                              ; =>This Inner Loop Header: Depth=1
	v_add_u32_e32 v2, 0, v0
	scratch_load_dword v2, v2, off
	v_add_u32_e32 v0, 4, v0
	v_add_u32_e32 v3, 4, v1
	v_cmp_eq_u32_e32 vcc, 12, v0
	s_or_b64 s[4:5], vcc, s[4:5]
	s_waitcnt vmcnt(0)
	scratch_store_dword v1, v2, off
	v_mov_b32_e32 v1, v3
	s_andn2_b64 exec, exec, s[4:5]
	s_cbranch_execnz .LBB12_43
.LBB12_44:
	s_or_b64 exec, exec, s[2:3]
.LBB12_45:
	s_or_b64 exec, exec, s[0:1]
	scratch_load_dwordx2 v[12:13], off, off offset:40
	scratch_load_dwordx4 v[0:3], off, off offset:24
	s_mov_b64 s[0:1], src_private_base
	v_mov_b32_e32 v9, s1
	v_mov_b32_e32 v11, s1
	;; [unrolled: 1-line block ×10, first 2 shown]
	scratch_store_dwordx4 off, v[4:7], off offset:48
	scratch_store_dwordx2 off, v[14:15], off offset:64
	scratch_store_dwordx4 off, v[8:11], off offset:72
	s_waitcnt vmcnt(4)
	v_cmp_ne_u32_e32 vcc, 5, v12
	s_waitcnt vmcnt(3)
	v_cmp_ne_u32_e64 s[2:3], 2, v1
	v_cmp_ne_u32_e64 s[0:1], 6, v13
	s_nop 0
	v_cndmask_b32_e64 v1, 0, 1, s[2:3]
	v_cmp_ne_u32_e64 s[2:3], 1, v0
	v_lshlrev_b16_e32 v1, 1, v1
	s_nop 0
	v_cndmask_b32_e64 v0, 0, 1, s[2:3]
	v_cmp_ne_u32_e64 s[2:3], 3, v2
	v_bitop3_b16 v0, v0, 3, v1 bitop3:0xc8
	s_nop 0
	v_cndmask_b32_e64 v2, 0, 1, s[2:3]
	v_cmp_ne_u32_e64 s[2:3], 4, v3
	v_lshlrev_b16_e32 v2, 2, v2
	s_nop 0
	v_cndmask_b32_e64 v3, 0, 1, s[2:3]
	v_lshlrev_b16_e32 v3, 3, v3
	v_or_b32_e32 v1, v3, v2
	v_bitop3_b16 v0, v0, 15, v1 bitop3:0xc8
	v_cmp_ne_u16_e64 s[2:3], 0, v0
	s_or_b64 s[2:3], s[2:3], vcc
	s_or_b64 s[0:1], s[2:3], s[0:1]
	s_and_saveexec_b64 s[2:3], s[0:1]
	s_xor_b64 s[38:39], exec, s[2:3]
	s_cbranch_execz .LBB12_1617
; %bb.46:
	v_cmp_eq_u32_e32 vcc, 0, v65
	s_and_saveexec_b64 s[40:41], vcc
	s_cbranch_execz .LBB12_1616
; %bb.47:
	s_load_dwordx2 s[2:3], s[54:55], 0x60
	v_mbcnt_lo_u32_b32 v0, -1, 0
	v_mbcnt_hi_u32_b32 v36, -1, v0
	v_mov_b64_e32 v[4:5], 0
	v_readfirstlane_b32 s0, v36
	s_nop 1
	v_cmp_eq_u32_e64 s[0:1], s0, v36
	s_and_saveexec_b64 s[4:5], s[0:1]
	s_cbranch_execz .LBB12_53
; %bb.48:
	v_mov_b32_e32 v0, 0
	s_waitcnt lgkmcnt(0)
	global_load_dwordx2 v[6:7], v0, s[2:3] offset:24 sc0 sc1
	s_waitcnt vmcnt(0)
	buffer_inv sc0 sc1
	global_load_dwordx2 v[2:3], v0, s[2:3] offset:40
	global_load_dwordx2 v[4:5], v0, s[2:3]
	s_waitcnt vmcnt(1)
	v_and_b32_e32 v1, v2, v6
	v_and_b32_e32 v2, v3, v7
	v_mul_lo_u32 v2, v2, 24
	v_mul_hi_u32 v3, v1, 24
	v_add_u32_e32 v3, v3, v2
	v_mul_lo_u32 v2, v1, 24
	s_waitcnt vmcnt(0)
	v_lshl_add_u64 v[2:3], v[4:5], 0, v[2:3]
	global_load_dwordx2 v[4:5], v[2:3], off sc0 sc1
	s_waitcnt vmcnt(0)
	global_atomic_cmpswap_x2 v[4:5], v0, v[4:7], s[2:3] offset:24 sc0 sc1
	s_waitcnt vmcnt(0)
	buffer_inv sc0 sc1
	v_cmp_ne_u64_e32 vcc, v[4:5], v[6:7]
	s_and_saveexec_b64 s[6:7], vcc
	s_cbranch_execz .LBB12_52
; %bb.49:
	s_mov_b64 s[8:9], 0
.LBB12_50:                              ; =>This Inner Loop Header: Depth=1
	s_sleep 1
	global_load_dwordx2 v[2:3], v0, s[2:3] offset:40
	global_load_dwordx2 v[8:9], v0, s[2:3]
	v_mov_b64_e32 v[6:7], v[4:5]
	s_waitcnt vmcnt(1)
	v_and_b32_e32 v2, v2, v6
	v_and_b32_e32 v1, v3, v7
	s_waitcnt vmcnt(0)
	v_mad_u64_u32 v[2:3], s[10:11], v2, 24, v[8:9]
	v_mov_b32_e32 v4, v3
	v_mad_u64_u32 v[4:5], s[10:11], v1, 24, v[4:5]
	v_mov_b32_e32 v3, v4
	global_load_dwordx2 v[4:5], v[2:3], off sc0 sc1
	s_waitcnt vmcnt(0)
	global_atomic_cmpswap_x2 v[4:5], v0, v[4:7], s[2:3] offset:24 sc0 sc1
	s_waitcnt vmcnt(0)
	buffer_inv sc0 sc1
	v_cmp_eq_u64_e32 vcc, v[4:5], v[6:7]
	s_or_b64 s[8:9], vcc, s[8:9]
	s_andn2_b64 exec, exec, s[8:9]
	s_cbranch_execnz .LBB12_50
; %bb.51:
	s_or_b64 exec, exec, s[8:9]
.LBB12_52:
	s_or_b64 exec, exec, s[6:7]
.LBB12_53:
	s_or_b64 exec, exec, s[4:5]
	v_mov_b32_e32 v29, 0
	s_waitcnt lgkmcnt(0)
	global_load_dwordx2 v[6:7], v29, s[2:3] offset:40
	global_load_dwordx4 v[0:3], v29, s[2:3]
	v_readfirstlane_b32 s4, v4
	v_readfirstlane_b32 s5, v5
	s_mov_b64 s[6:7], exec
	s_waitcnt vmcnt(1)
	v_readfirstlane_b32 s8, v6
	v_readfirstlane_b32 s9, v7
	s_and_b64 s[8:9], s[4:5], s[8:9]
	s_mul_i32 s10, s9, 24
	s_mul_hi_u32 s11, s8, 24
	s_add_i32 s11, s11, s10
	s_mul_i32 s10, s8, 24
	s_waitcnt vmcnt(0)
	v_lshl_add_u64 v[4:5], v[0:1], 0, s[10:11]
	s_and_saveexec_b64 s[10:11], s[0:1]
	s_cbranch_execz .LBB12_55
; %bb.54:
	v_mov_b64_e32 v[6:7], s[6:7]
	v_mov_b32_e32 v8, 2
	v_mov_b32_e32 v9, 1
	global_store_dwordx4 v[4:5], v[6:9], off offset:8
.LBB12_55:
	s_or_b64 exec, exec, s[10:11]
	s_lshl_b64 s[6:7], s[8:9], 12
	v_lshl_add_u64 v[6:7], v[2:3], 0, s[6:7]
	s_mov_b32 s8, 0
	v_lshlrev_b32_e32 v28, 6, v36
	v_mov_b32_e32 v8, 33
	v_mov_b32_e32 v9, v29
	v_mov_b32_e32 v10, v29
	v_mov_b32_e32 v11, v29
	v_readfirstlane_b32 s6, v6
	v_readfirstlane_b32 s7, v7
	s_mov_b32 s9, s8
	s_mov_b32 s10, s8
	;; [unrolled: 1-line block ×3, first 2 shown]
	s_nop 1
	global_store_dwordx4 v28, v[8:11], s[6:7]
	s_nop 1
	v_mov_b64_e32 v[8:9], s[8:9]
	v_mov_b64_e32 v[10:11], s[10:11]
	global_store_dwordx4 v28, v[8:11], s[6:7] offset:16
	global_store_dwordx4 v28, v[8:11], s[6:7] offset:32
	;; [unrolled: 1-line block ×3, first 2 shown]
	s_and_saveexec_b64 s[6:7], s[0:1]
	s_cbranch_execz .LBB12_63
; %bb.56:
	v_mov_b32_e32 v10, 0
	global_load_dwordx2 v[14:15], v10, s[2:3] offset:32 sc0 sc1
	global_load_dwordx2 v[2:3], v10, s[2:3] offset:40
	v_mov_b32_e32 v12, s4
	v_mov_b32_e32 v13, s5
	s_waitcnt vmcnt(0)
	v_and_b32_e32 v2, s4, v2
	v_and_b32_e32 v3, s5, v3
	v_mul_lo_u32 v3, v3, 24
	v_mul_hi_u32 v8, v2, 24
	v_mul_lo_u32 v2, v2, 24
	v_add_u32_e32 v3, v8, v3
	v_lshl_add_u64 v[8:9], v[0:1], 0, v[2:3]
	global_store_dwordx2 v[8:9], v[14:15], off
	buffer_wbl2 sc0 sc1
	s_waitcnt vmcnt(0)
	global_atomic_cmpswap_x2 v[2:3], v10, v[12:15], s[2:3] offset:32 sc0 sc1
	s_waitcnt vmcnt(0)
	v_cmp_ne_u64_e32 vcc, v[2:3], v[14:15]
	s_and_saveexec_b64 s[8:9], vcc
	s_cbranch_execz .LBB12_59
; %bb.57:
	s_mov_b64 s[10:11], 0
.LBB12_58:                              ; =>This Inner Loop Header: Depth=1
	s_sleep 1
	global_store_dwordx2 v[8:9], v[2:3], off
	v_mov_b32_e32 v0, s4
	v_mov_b32_e32 v1, s5
	buffer_wbl2 sc0 sc1
	s_waitcnt vmcnt(0)
	global_atomic_cmpswap_x2 v[0:1], v10, v[0:3], s[2:3] offset:32 sc0 sc1
	s_waitcnt vmcnt(0)
	v_cmp_eq_u64_e32 vcc, v[0:1], v[2:3]
	s_or_b64 s[10:11], vcc, s[10:11]
	v_mov_b64_e32 v[2:3], v[0:1]
	s_andn2_b64 exec, exec, s[10:11]
	s_cbranch_execnz .LBB12_58
.LBB12_59:
	s_or_b64 exec, exec, s[8:9]
	v_mov_b32_e32 v3, 0
	global_load_dwordx2 v[0:1], v3, s[2:3] offset:16
	s_mov_b64 s[8:9], exec
	v_mbcnt_lo_u32_b32 v2, s8, 0
	v_mbcnt_hi_u32_b32 v2, s9, v2
	v_cmp_eq_u32_e32 vcc, 0, v2
	s_and_saveexec_b64 s[10:11], vcc
	s_cbranch_execz .LBB12_61
; %bb.60:
	s_bcnt1_i32_b64 s8, s[8:9]
	v_mov_b32_e32 v2, s8
	buffer_wbl2 sc0 sc1
	s_waitcnt vmcnt(0)
	global_atomic_add_x2 v[0:1], v[2:3], off offset:8 sc1
.LBB12_61:
	s_or_b64 exec, exec, s[10:11]
	s_waitcnt vmcnt(0)
	global_load_dwordx2 v[2:3], v[0:1], off offset:16
	s_waitcnt vmcnt(0)
	v_cmp_eq_u64_e32 vcc, 0, v[2:3]
	s_cbranch_vccnz .LBB12_63
; %bb.62:
	global_load_dword v0, v[0:1], off offset:24
	v_mov_b32_e32 v1, 0
	buffer_wbl2 sc0 sc1
	s_waitcnt vmcnt(0)
	global_store_dwordx2 v[2:3], v[0:1], off sc0 sc1
	v_and_b32_e32 v0, 0xffffff, v0
	s_nop 0
	v_readfirstlane_b32 m0, v0
	s_sendmsg sendmsg(MSG_INTERRUPT)
.LBB12_63:
	s_or_b64 exec, exec, s[6:7]
	v_lshl_add_u64 v[0:1], v[6:7], 0, v[28:29]
	s_branch .LBB12_67
.LBB12_64:                              ;   in Loop: Header=BB12_67 Depth=1
	s_or_b64 exec, exec, s[6:7]
	v_readfirstlane_b32 s6, v2
	s_cmp_eq_u32 s6, 0
	s_cbranch_scc1 .LBB12_66
; %bb.65:                               ;   in Loop: Header=BB12_67 Depth=1
	s_sleep 1
	s_cbranch_execnz .LBB12_67
	s_branch .LBB12_69
.LBB12_66:
	s_branch .LBB12_69
.LBB12_67:                              ; =>This Inner Loop Header: Depth=1
	v_mov_b32_e32 v2, 1
	s_and_saveexec_b64 s[6:7], s[0:1]
	s_cbranch_execz .LBB12_64
; %bb.68:                               ;   in Loop: Header=BB12_67 Depth=1
	global_load_dword v2, v[4:5], off offset:20 sc0 sc1
	s_waitcnt vmcnt(0)
	buffer_inv sc0 sc1
	v_and_b32_e32 v2, 1, v2
	s_branch .LBB12_64
.LBB12_69:
	global_load_dwordx2 v[4:5], v[0:1], off
	s_and_saveexec_b64 s[6:7], s[0:1]
	s_cbranch_execz .LBB12_72
; %bb.70:
	v_mov_b32_e32 v8, 0
	global_load_dwordx2 v[6:7], v8, s[2:3] offset:40
	global_load_dwordx2 v[10:11], v8, s[2:3] offset:24 sc0 sc1
	global_load_dwordx2 v[12:13], v8, s[2:3]
	s_mov_b64 s[0:1], 0
	s_waitcnt vmcnt(2)
	v_lshl_add_u64 v[0:1], v[6:7], 0, 1
	v_lshl_add_u64 v[14:15], v[0:1], 0, s[4:5]
	v_cmp_eq_u64_e32 vcc, 0, v[14:15]
	s_waitcnt vmcnt(1)
	v_mov_b32_e32 v2, v10
	v_cndmask_b32_e32 v1, v15, v1, vcc
	v_cndmask_b32_e32 v0, v14, v0, vcc
	v_and_b32_e32 v3, v1, v7
	v_and_b32_e32 v6, v0, v6
	v_mul_lo_u32 v3, v3, 24
	v_mul_hi_u32 v7, v6, 24
	v_mul_lo_u32 v6, v6, 24
	v_add_u32_e32 v7, v7, v3
	s_waitcnt vmcnt(0)
	v_lshl_add_u64 v[6:7], v[12:13], 0, v[6:7]
	global_store_dwordx2 v[6:7], v[10:11], off
	v_mov_b32_e32 v3, v11
	buffer_wbl2 sc0 sc1
	s_waitcnt vmcnt(0)
	global_atomic_cmpswap_x2 v[2:3], v8, v[0:3], s[2:3] offset:24 sc0 sc1
	s_waitcnt vmcnt(0)
	v_cmp_ne_u64_e32 vcc, v[2:3], v[10:11]
	s_and_b64 exec, exec, vcc
	s_cbranch_execz .LBB12_72
.LBB12_71:                              ; =>This Inner Loop Header: Depth=1
	s_sleep 1
	global_store_dwordx2 v[6:7], v[2:3], off
	buffer_wbl2 sc0 sc1
	s_waitcnt vmcnt(0)
	global_atomic_cmpswap_x2 v[10:11], v8, v[0:3], s[2:3] offset:24 sc0 sc1
	s_waitcnt vmcnt(0)
	v_cmp_eq_u64_e32 vcc, v[10:11], v[2:3]
	s_or_b64 s[0:1], vcc, s[0:1]
	v_mov_b64_e32 v[2:3], v[10:11]
	s_andn2_b64 exec, exec, s[0:1]
	s_cbranch_execnz .LBB12_71
.LBB12_72:
	s_or_b64 exec, exec, s[6:7]
	s_getpc_b64 s[6:7]
	s_add_u32 s6, s6, .str.5@rel32@lo+4
	s_addc_u32 s7, s7, .str.5@rel32@hi+12
	s_cmp_lg_u64 s[6:7], 0
	s_cselect_b64 s[4:5], -1, 0
	s_and_b64 vcc, exec, s[4:5]
	s_cbranch_vccz .LBB12_157
; %bb.73:
	s_waitcnt vmcnt(0)
	v_and_b32_e32 v26, 2, v4
	v_mov_b32_e32 v31, 0
	v_and_b32_e32 v0, -3, v4
	v_mov_b32_e32 v1, v5
	s_mov_b64 s[8:9], 3
	v_mov_b32_e32 v8, 2
	v_mov_b32_e32 v9, 1
	s_branch .LBB12_75
.LBB12_74:                              ;   in Loop: Header=BB12_75 Depth=1
	s_or_b64 exec, exec, s[14:15]
	s_sub_u32 s8, s8, s10
	s_subb_u32 s9, s9, s11
	s_add_u32 s6, s6, s10
	s_addc_u32 s7, s7, s11
	s_cmp_lg_u64 s[8:9], 0
	s_cbranch_scc0 .LBB12_156
.LBB12_75:                              ; =>This Loop Header: Depth=1
                                        ;     Child Loop BB12_78 Depth 2
                                        ;     Child Loop BB12_85 Depth 2
	;; [unrolled: 1-line block ×11, first 2 shown]
	v_cmp_lt_u64_e64 s[0:1], s[8:9], 56
	s_and_b64 s[0:1], s[0:1], exec
	v_cmp_gt_u64_e64 s[0:1], s[8:9], 7
	s_cselect_b32 s11, s9, 0
	s_cselect_b32 s10, s8, 56
	s_and_b64 vcc, exec, s[0:1]
	s_cbranch_vccnz .LBB12_80
; %bb.76:                               ;   in Loop: Header=BB12_75 Depth=1
	s_mov_b64 s[0:1], 0
	s_cmp_eq_u64 s[8:9], 0
	s_waitcnt vmcnt(0)
	v_mov_b64_e32 v[2:3], 0
	s_cbranch_scc1 .LBB12_79
; %bb.77:                               ;   in Loop: Header=BB12_75 Depth=1
	s_lshl_b64 s[12:13], s[10:11], 3
	s_mov_b64 s[14:15], 0
	v_mov_b64_e32 v[2:3], 0
	s_mov_b64 s[16:17], s[6:7]
.LBB12_78:                              ;   Parent Loop BB12_75 Depth=1
                                        ; =>  This Inner Loop Header: Depth=2
	global_load_ubyte v6, v31, s[16:17]
	s_waitcnt vmcnt(0)
	v_and_b32_e32 v30, 0xffff, v6
	v_lshlrev_b64 v[6:7], s14, v[30:31]
	s_add_u32 s14, s14, 8
	s_addc_u32 s15, s15, 0
	s_add_u32 s16, s16, 1
	s_addc_u32 s17, s17, 0
	v_or_b32_e32 v2, v6, v2
	s_cmp_lg_u32 s12, s14
	v_or_b32_e32 v3, v7, v3
	s_cbranch_scc1 .LBB12_78
.LBB12_79:                              ;   in Loop: Header=BB12_75 Depth=1
	s_mov_b32 s16, 0
	s_andn2_b64 vcc, exec, s[0:1]
	s_mov_b64 s[0:1], s[6:7]
	s_cbranch_vccz .LBB12_81
	s_branch .LBB12_82
.LBB12_80:                              ;   in Loop: Header=BB12_75 Depth=1
                                        ; implicit-def: $vgpr2_vgpr3
                                        ; implicit-def: $sgpr16
	s_mov_b64 s[0:1], s[6:7]
.LBB12_81:                              ;   in Loop: Header=BB12_75 Depth=1
	global_load_dwordx2 v[2:3], v31, s[6:7]
	s_add_i32 s16, s10, -8
	s_add_u32 s0, s6, 8
	s_addc_u32 s1, s7, 0
.LBB12_82:                              ;   in Loop: Header=BB12_75 Depth=1
	s_cmp_gt_u32 s16, 7
	s_cbranch_scc1 .LBB12_86
; %bb.83:                               ;   in Loop: Header=BB12_75 Depth=1
	s_cmp_eq_u32 s16, 0
	s_cbranch_scc1 .LBB12_87
; %bb.84:                               ;   in Loop: Header=BB12_75 Depth=1
	s_mov_b64 s[12:13], 0
	v_mov_b64_e32 v[10:11], 0
	s_mov_b64 s[14:15], 0
.LBB12_85:                              ;   Parent Loop BB12_75 Depth=1
                                        ; =>  This Inner Loop Header: Depth=2
	s_add_u32 s18, s0, s14
	s_addc_u32 s19, s1, s15
	global_load_ubyte v6, v31, s[18:19]
	s_add_u32 s14, s14, 1
	s_addc_u32 s15, s15, 0
	s_waitcnt vmcnt(0)
	v_and_b32_e32 v30, 0xffff, v6
	v_lshlrev_b64 v[6:7], s12, v[30:31]
	s_add_u32 s12, s12, 8
	s_addc_u32 s13, s13, 0
	v_or_b32_e32 v10, v6, v10
	s_cmp_lg_u32 s16, s14
	v_or_b32_e32 v11, v7, v11
	s_cbranch_scc1 .LBB12_85
	s_branch .LBB12_88
.LBB12_86:                              ;   in Loop: Header=BB12_75 Depth=1
                                        ; implicit-def: $vgpr10_vgpr11
                                        ; implicit-def: $sgpr17
	s_branch .LBB12_89
.LBB12_87:                              ;   in Loop: Header=BB12_75 Depth=1
	v_mov_b64_e32 v[10:11], 0
.LBB12_88:                              ;   in Loop: Header=BB12_75 Depth=1
	s_mov_b32 s17, 0
	s_cbranch_execnz .LBB12_90
.LBB12_89:                              ;   in Loop: Header=BB12_75 Depth=1
	global_load_dwordx2 v[10:11], v31, s[0:1]
	s_add_i32 s17, s16, -8
	s_add_u32 s0, s0, 8
	s_addc_u32 s1, s1, 0
.LBB12_90:                              ;   in Loop: Header=BB12_75 Depth=1
	s_cmp_gt_u32 s17, 7
	s_cbranch_scc1 .LBB12_94
; %bb.91:                               ;   in Loop: Header=BB12_75 Depth=1
	s_cmp_eq_u32 s17, 0
	s_cbranch_scc1 .LBB12_95
; %bb.92:                               ;   in Loop: Header=BB12_75 Depth=1
	s_mov_b64 s[12:13], 0
	v_mov_b64_e32 v[12:13], 0
	s_mov_b64 s[14:15], 0
.LBB12_93:                              ;   Parent Loop BB12_75 Depth=1
                                        ; =>  This Inner Loop Header: Depth=2
	s_add_u32 s18, s0, s14
	s_addc_u32 s19, s1, s15
	global_load_ubyte v6, v31, s[18:19]
	s_add_u32 s14, s14, 1
	s_addc_u32 s15, s15, 0
	s_waitcnt vmcnt(0)
	v_and_b32_e32 v30, 0xffff, v6
	v_lshlrev_b64 v[6:7], s12, v[30:31]
	s_add_u32 s12, s12, 8
	s_addc_u32 s13, s13, 0
	v_or_b32_e32 v12, v6, v12
	s_cmp_lg_u32 s17, s14
	v_or_b32_e32 v13, v7, v13
	s_cbranch_scc1 .LBB12_93
	s_branch .LBB12_96
.LBB12_94:                              ;   in Loop: Header=BB12_75 Depth=1
                                        ; implicit-def: $sgpr16
	s_branch .LBB12_97
.LBB12_95:                              ;   in Loop: Header=BB12_75 Depth=1
	v_mov_b64_e32 v[12:13], 0
.LBB12_96:                              ;   in Loop: Header=BB12_75 Depth=1
	s_mov_b32 s16, 0
	s_cbranch_execnz .LBB12_98
.LBB12_97:                              ;   in Loop: Header=BB12_75 Depth=1
	global_load_dwordx2 v[12:13], v31, s[0:1]
	s_add_i32 s16, s17, -8
	s_add_u32 s0, s0, 8
	s_addc_u32 s1, s1, 0
.LBB12_98:                              ;   in Loop: Header=BB12_75 Depth=1
	s_cmp_gt_u32 s16, 7
	s_cbranch_scc1 .LBB12_102
; %bb.99:                               ;   in Loop: Header=BB12_75 Depth=1
	s_cmp_eq_u32 s16, 0
	s_cbranch_scc1 .LBB12_103
; %bb.100:                              ;   in Loop: Header=BB12_75 Depth=1
	s_mov_b64 s[12:13], 0
	v_mov_b64_e32 v[14:15], 0
	s_mov_b64 s[14:15], 0
.LBB12_101:                             ;   Parent Loop BB12_75 Depth=1
                                        ; =>  This Inner Loop Header: Depth=2
	s_add_u32 s18, s0, s14
	s_addc_u32 s19, s1, s15
	global_load_ubyte v6, v31, s[18:19]
	s_add_u32 s14, s14, 1
	s_addc_u32 s15, s15, 0
	s_waitcnt vmcnt(0)
	v_and_b32_e32 v30, 0xffff, v6
	v_lshlrev_b64 v[6:7], s12, v[30:31]
	s_add_u32 s12, s12, 8
	s_addc_u32 s13, s13, 0
	v_or_b32_e32 v14, v6, v14
	s_cmp_lg_u32 s16, s14
	v_or_b32_e32 v15, v7, v15
	s_cbranch_scc1 .LBB12_101
	s_branch .LBB12_104
.LBB12_102:                             ;   in Loop: Header=BB12_75 Depth=1
                                        ; implicit-def: $vgpr14_vgpr15
                                        ; implicit-def: $sgpr17
	s_branch .LBB12_105
.LBB12_103:                             ;   in Loop: Header=BB12_75 Depth=1
	v_mov_b64_e32 v[14:15], 0
.LBB12_104:                             ;   in Loop: Header=BB12_75 Depth=1
	s_mov_b32 s17, 0
	s_cbranch_execnz .LBB12_106
.LBB12_105:                             ;   in Loop: Header=BB12_75 Depth=1
	global_load_dwordx2 v[14:15], v31, s[0:1]
	s_add_i32 s17, s16, -8
	s_add_u32 s0, s0, 8
	s_addc_u32 s1, s1, 0
.LBB12_106:                             ;   in Loop: Header=BB12_75 Depth=1
	s_cmp_gt_u32 s17, 7
	s_cbranch_scc1 .LBB12_110
; %bb.107:                              ;   in Loop: Header=BB12_75 Depth=1
	s_cmp_eq_u32 s17, 0
	s_cbranch_scc1 .LBB12_111
; %bb.108:                              ;   in Loop: Header=BB12_75 Depth=1
	s_mov_b64 s[12:13], 0
	v_mov_b64_e32 v[16:17], 0
	s_mov_b64 s[14:15], 0
.LBB12_109:                             ;   Parent Loop BB12_75 Depth=1
                                        ; =>  This Inner Loop Header: Depth=2
	s_add_u32 s18, s0, s14
	s_addc_u32 s19, s1, s15
	global_load_ubyte v6, v31, s[18:19]
	s_add_u32 s14, s14, 1
	s_addc_u32 s15, s15, 0
	s_waitcnt vmcnt(0)
	v_and_b32_e32 v30, 0xffff, v6
	v_lshlrev_b64 v[6:7], s12, v[30:31]
	s_add_u32 s12, s12, 8
	s_addc_u32 s13, s13, 0
	v_or_b32_e32 v16, v6, v16
	s_cmp_lg_u32 s17, s14
	v_or_b32_e32 v17, v7, v17
	s_cbranch_scc1 .LBB12_109
	s_branch .LBB12_112
.LBB12_110:                             ;   in Loop: Header=BB12_75 Depth=1
                                        ; implicit-def: $sgpr16
	s_branch .LBB12_113
.LBB12_111:                             ;   in Loop: Header=BB12_75 Depth=1
	v_mov_b64_e32 v[16:17], 0
.LBB12_112:                             ;   in Loop: Header=BB12_75 Depth=1
	s_mov_b32 s16, 0
	s_cbranch_execnz .LBB12_114
.LBB12_113:                             ;   in Loop: Header=BB12_75 Depth=1
	global_load_dwordx2 v[16:17], v31, s[0:1]
	s_add_i32 s16, s17, -8
	s_add_u32 s0, s0, 8
	s_addc_u32 s1, s1, 0
.LBB12_114:                             ;   in Loop: Header=BB12_75 Depth=1
	s_cmp_gt_u32 s16, 7
	s_cbranch_scc1 .LBB12_118
; %bb.115:                              ;   in Loop: Header=BB12_75 Depth=1
	s_cmp_eq_u32 s16, 0
	s_cbranch_scc1 .LBB12_119
; %bb.116:                              ;   in Loop: Header=BB12_75 Depth=1
	s_mov_b64 s[12:13], 0
	v_mov_b64_e32 v[18:19], 0
	s_mov_b64 s[14:15], 0
.LBB12_117:                             ;   Parent Loop BB12_75 Depth=1
                                        ; =>  This Inner Loop Header: Depth=2
	s_add_u32 s18, s0, s14
	s_addc_u32 s19, s1, s15
	global_load_ubyte v6, v31, s[18:19]
	s_add_u32 s14, s14, 1
	s_addc_u32 s15, s15, 0
	s_waitcnt vmcnt(0)
	v_and_b32_e32 v30, 0xffff, v6
	v_lshlrev_b64 v[6:7], s12, v[30:31]
	s_add_u32 s12, s12, 8
	s_addc_u32 s13, s13, 0
	v_or_b32_e32 v18, v6, v18
	s_cmp_lg_u32 s16, s14
	v_or_b32_e32 v19, v7, v19
	s_cbranch_scc1 .LBB12_117
	s_branch .LBB12_120
.LBB12_118:                             ;   in Loop: Header=BB12_75 Depth=1
                                        ; implicit-def: $vgpr18_vgpr19
                                        ; implicit-def: $sgpr17
	s_branch .LBB12_121
.LBB12_119:                             ;   in Loop: Header=BB12_75 Depth=1
	v_mov_b64_e32 v[18:19], 0
.LBB12_120:                             ;   in Loop: Header=BB12_75 Depth=1
	s_mov_b32 s17, 0
	s_cbranch_execnz .LBB12_122
.LBB12_121:                             ;   in Loop: Header=BB12_75 Depth=1
	global_load_dwordx2 v[18:19], v31, s[0:1]
	s_add_i32 s17, s16, -8
	s_add_u32 s0, s0, 8
	s_addc_u32 s1, s1, 0
.LBB12_122:                             ;   in Loop: Header=BB12_75 Depth=1
	s_cmp_gt_u32 s17, 7
	s_cbranch_scc1 .LBB12_126
; %bb.123:                              ;   in Loop: Header=BB12_75 Depth=1
	s_cmp_eq_u32 s17, 0
	s_cbranch_scc1 .LBB12_127
; %bb.124:                              ;   in Loop: Header=BB12_75 Depth=1
	s_mov_b64 s[12:13], 0
	v_mov_b64_e32 v[20:21], 0
	s_mov_b64 s[14:15], s[0:1]
.LBB12_125:                             ;   Parent Loop BB12_75 Depth=1
                                        ; =>  This Inner Loop Header: Depth=2
	global_load_ubyte v6, v31, s[14:15]
	s_add_i32 s17, s17, -1
	s_waitcnt vmcnt(0)
	v_and_b32_e32 v30, 0xffff, v6
	v_lshlrev_b64 v[6:7], s12, v[30:31]
	s_add_u32 s12, s12, 8
	s_addc_u32 s13, s13, 0
	s_add_u32 s14, s14, 1
	s_addc_u32 s15, s15, 0
	v_or_b32_e32 v20, v6, v20
	s_cmp_lg_u32 s17, 0
	v_or_b32_e32 v21, v7, v21
	s_cbranch_scc1 .LBB12_125
	s_branch .LBB12_128
.LBB12_126:                             ;   in Loop: Header=BB12_75 Depth=1
	s_branch .LBB12_129
.LBB12_127:                             ;   in Loop: Header=BB12_75 Depth=1
	v_mov_b64_e32 v[20:21], 0
.LBB12_128:                             ;   in Loop: Header=BB12_75 Depth=1
	s_cbranch_execnz .LBB12_130
.LBB12_129:                             ;   in Loop: Header=BB12_75 Depth=1
	global_load_dwordx2 v[20:21], v31, s[0:1]
.LBB12_130:                             ;   in Loop: Header=BB12_75 Depth=1
	v_readfirstlane_b32 s0, v36
	v_mov_b64_e32 v[6:7], 0
	s_nop 0
	v_cmp_eq_u32_e64 s[0:1], s0, v36
	s_and_saveexec_b64 s[12:13], s[0:1]
	s_cbranch_execz .LBB12_136
; %bb.131:                              ;   in Loop: Header=BB12_75 Depth=1
	global_load_dwordx2 v[24:25], v31, s[2:3] offset:24 sc0 sc1
	s_waitcnt vmcnt(0)
	buffer_inv sc0 sc1
	global_load_dwordx2 v[6:7], v31, s[2:3] offset:40
	global_load_dwordx2 v[22:23], v31, s[2:3]
	s_waitcnt vmcnt(1)
	v_and_b32_e32 v6, v6, v24
	v_and_b32_e32 v7, v7, v25
	v_mul_lo_u32 v7, v7, 24
	v_mul_hi_u32 v27, v6, 24
	v_add_u32_e32 v7, v27, v7
	v_mul_lo_u32 v6, v6, 24
	s_waitcnt vmcnt(0)
	v_lshl_add_u64 v[6:7], v[22:23], 0, v[6:7]
	global_load_dwordx2 v[22:23], v[6:7], off sc0 sc1
	s_waitcnt vmcnt(0)
	global_atomic_cmpswap_x2 v[6:7], v31, v[22:25], s[2:3] offset:24 sc0 sc1
	s_waitcnt vmcnt(0)
	buffer_inv sc0 sc1
	v_cmp_ne_u64_e32 vcc, v[6:7], v[24:25]
	s_and_saveexec_b64 s[14:15], vcc
	s_cbranch_execz .LBB12_135
; %bb.132:                              ;   in Loop: Header=BB12_75 Depth=1
	s_mov_b64 s[16:17], 0
.LBB12_133:                             ;   Parent Loop BB12_75 Depth=1
                                        ; =>  This Inner Loop Header: Depth=2
	s_sleep 1
	global_load_dwordx2 v[22:23], v31, s[2:3] offset:40
	global_load_dwordx2 v[32:33], v31, s[2:3]
	v_mov_b64_e32 v[24:25], v[6:7]
	s_waitcnt vmcnt(1)
	v_and_b32_e32 v6, v22, v24
	s_waitcnt vmcnt(0)
	v_mad_u64_u32 v[6:7], s[18:19], v6, 24, v[32:33]
	v_and_b32_e32 v23, v23, v25
	v_mov_b32_e32 v22, v7
	v_mad_u64_u32 v[22:23], s[18:19], v23, 24, v[22:23]
	v_mov_b32_e32 v7, v22
	global_load_dwordx2 v[22:23], v[6:7], off sc0 sc1
	s_waitcnt vmcnt(0)
	global_atomic_cmpswap_x2 v[6:7], v31, v[22:25], s[2:3] offset:24 sc0 sc1
	s_waitcnt vmcnt(0)
	buffer_inv sc0 sc1
	v_cmp_eq_u64_e32 vcc, v[6:7], v[24:25]
	s_or_b64 s[16:17], vcc, s[16:17]
	s_andn2_b64 exec, exec, s[16:17]
	s_cbranch_execnz .LBB12_133
; %bb.134:                              ;   in Loop: Header=BB12_75 Depth=1
	s_or_b64 exec, exec, s[16:17]
.LBB12_135:                             ;   in Loop: Header=BB12_75 Depth=1
	s_or_b64 exec, exec, s[14:15]
.LBB12_136:                             ;   in Loop: Header=BB12_75 Depth=1
	s_or_b64 exec, exec, s[12:13]
	global_load_dwordx2 v[32:33], v31, s[2:3] offset:40
	global_load_dwordx4 v[22:25], v31, s[2:3]
	v_readfirstlane_b32 s12, v6
	v_readfirstlane_b32 s13, v7
	s_mov_b64 s[14:15], exec
	s_waitcnt vmcnt(1)
	v_readfirstlane_b32 s16, v32
	v_readfirstlane_b32 s17, v33
	s_and_b64 s[16:17], s[12:13], s[16:17]
	s_mul_i32 s18, s17, 24
	s_mul_hi_u32 s19, s16, 24
	s_add_i32 s19, s19, s18
	s_mul_i32 s18, s16, 24
	s_waitcnt vmcnt(0)
	v_lshl_add_u64 v[32:33], v[22:23], 0, s[18:19]
	s_and_saveexec_b64 s[18:19], s[0:1]
	s_cbranch_execz .LBB12_138
; %bb.137:                              ;   in Loop: Header=BB12_75 Depth=1
	v_mov_b64_e32 v[6:7], s[14:15]
	global_store_dwordx4 v[32:33], v[6:9], off offset:8
.LBB12_138:                             ;   in Loop: Header=BB12_75 Depth=1
	s_or_b64 exec, exec, s[18:19]
	s_lshl_b64 s[14:15], s[16:17], 12
	v_lshl_add_u64 v[6:7], v[24:25], 0, s[14:15]
	v_or_b32_e32 v25, v0, v26
	v_cmp_gt_u64_e64 vcc, s[8:9], 56
	s_lshl_b32 s14, s10, 2
	s_add_i32 s14, s14, 28
	v_cndmask_b32_e32 v0, v25, v0, vcc
	v_or_b32_e32 v24, 0, v1
	s_and_b32 s14, s14, 0x1e0
	v_and_b32_e32 v0, 0xffffff1f, v0
	v_cndmask_b32_e32 v1, v24, v1, vcc
	v_or_b32_e32 v0, s14, v0
	v_readfirstlane_b32 s14, v6
	v_readfirstlane_b32 s15, v7
	s_nop 4
	global_store_dwordx4 v28, v[0:3], s[14:15]
	global_store_dwordx4 v28, v[10:13], s[14:15] offset:16
	global_store_dwordx4 v28, v[14:17], s[14:15] offset:32
	;; [unrolled: 1-line block ×3, first 2 shown]
	s_and_saveexec_b64 s[14:15], s[0:1]
	s_cbranch_execz .LBB12_146
; %bb.139:                              ;   in Loop: Header=BB12_75 Depth=1
	global_load_dwordx2 v[14:15], v31, s[2:3] offset:32 sc0 sc1
	global_load_dwordx2 v[0:1], v31, s[2:3] offset:40
	v_mov_b32_e32 v12, s12
	v_mov_b32_e32 v13, s13
	s_waitcnt vmcnt(0)
	v_readfirstlane_b32 s16, v0
	v_readfirstlane_b32 s17, v1
	s_and_b64 s[16:17], s[16:17], s[12:13]
	s_mul_i32 s17, s17, 24
	s_mul_hi_u32 s18, s16, 24
	s_mul_i32 s16, s16, 24
	s_add_i32 s17, s18, s17
	v_lshl_add_u64 v[10:11], v[22:23], 0, s[16:17]
	global_store_dwordx2 v[10:11], v[14:15], off
	buffer_wbl2 sc0 sc1
	s_waitcnt vmcnt(0)
	global_atomic_cmpswap_x2 v[2:3], v31, v[12:15], s[2:3] offset:32 sc0 sc1
	s_waitcnt vmcnt(0)
	v_cmp_ne_u64_e32 vcc, v[2:3], v[14:15]
	s_and_saveexec_b64 s[16:17], vcc
	s_cbranch_execz .LBB12_142
; %bb.140:                              ;   in Loop: Header=BB12_75 Depth=1
	s_mov_b64 s[18:19], 0
.LBB12_141:                             ;   Parent Loop BB12_75 Depth=1
                                        ; =>  This Inner Loop Header: Depth=2
	s_sleep 1
	global_store_dwordx2 v[10:11], v[2:3], off
	v_mov_b32_e32 v0, s12
	v_mov_b32_e32 v1, s13
	buffer_wbl2 sc0 sc1
	s_waitcnt vmcnt(0)
	global_atomic_cmpswap_x2 v[0:1], v31, v[0:3], s[2:3] offset:32 sc0 sc1
	s_waitcnt vmcnt(0)
	v_cmp_eq_u64_e32 vcc, v[0:1], v[2:3]
	s_or_b64 s[18:19], vcc, s[18:19]
	v_mov_b64_e32 v[2:3], v[0:1]
	s_andn2_b64 exec, exec, s[18:19]
	s_cbranch_execnz .LBB12_141
.LBB12_142:                             ;   in Loop: Header=BB12_75 Depth=1
	s_or_b64 exec, exec, s[16:17]
	global_load_dwordx2 v[0:1], v31, s[2:3] offset:16
	s_mov_b64 s[18:19], exec
	v_mbcnt_lo_u32_b32 v2, s18, 0
	v_mbcnt_hi_u32_b32 v2, s19, v2
	v_cmp_eq_u32_e32 vcc, 0, v2
	s_and_saveexec_b64 s[16:17], vcc
	s_cbranch_execz .LBB12_144
; %bb.143:                              ;   in Loop: Header=BB12_75 Depth=1
	s_bcnt1_i32_b64 s18, s[18:19]
	v_mov_b32_e32 v30, s18
	buffer_wbl2 sc0 sc1
	s_waitcnt vmcnt(0)
	global_atomic_add_x2 v[0:1], v[30:31], off offset:8 sc1
.LBB12_144:                             ;   in Loop: Header=BB12_75 Depth=1
	s_or_b64 exec, exec, s[16:17]
	s_waitcnt vmcnt(0)
	global_load_dwordx2 v[2:3], v[0:1], off offset:16
	s_waitcnt vmcnt(0)
	v_cmp_eq_u64_e32 vcc, 0, v[2:3]
	s_cbranch_vccnz .LBB12_146
; %bb.145:                              ;   in Loop: Header=BB12_75 Depth=1
	global_load_dword v30, v[0:1], off offset:24
	s_waitcnt vmcnt(0)
	v_and_b32_e32 v0, 0xffffff, v30
	s_nop 0
	v_readfirstlane_b32 m0, v0
	buffer_wbl2 sc0 sc1
	global_store_dwordx2 v[2:3], v[30:31], off sc0 sc1
	s_sendmsg sendmsg(MSG_INTERRUPT)
.LBB12_146:                             ;   in Loop: Header=BB12_75 Depth=1
	s_or_b64 exec, exec, s[14:15]
	v_mov_b32_e32 v29, v31
	v_lshl_add_u64 v[0:1], v[6:7], 0, v[28:29]
	s_branch .LBB12_150
.LBB12_147:                             ;   in Loop: Header=BB12_150 Depth=2
	s_or_b64 exec, exec, s[14:15]
	v_readfirstlane_b32 s14, v2
	s_cmp_eq_u32 s14, 0
	s_cbranch_scc1 .LBB12_149
; %bb.148:                              ;   in Loop: Header=BB12_150 Depth=2
	s_sleep 1
	s_cbranch_execnz .LBB12_150
	s_branch .LBB12_152
.LBB12_149:                             ;   in Loop: Header=BB12_75 Depth=1
	s_branch .LBB12_152
.LBB12_150:                             ;   Parent Loop BB12_75 Depth=1
                                        ; =>  This Inner Loop Header: Depth=2
	v_mov_b32_e32 v2, 1
	s_and_saveexec_b64 s[14:15], s[0:1]
	s_cbranch_execz .LBB12_147
; %bb.151:                              ;   in Loop: Header=BB12_150 Depth=2
	global_load_dword v2, v[32:33], off offset:20 sc0 sc1
	s_waitcnt vmcnt(0)
	buffer_inv sc0 sc1
	v_and_b32_e32 v2, 1, v2
	s_branch .LBB12_147
.LBB12_152:                             ;   in Loop: Header=BB12_75 Depth=1
	global_load_dwordx4 v[0:3], v[0:1], off
	s_and_saveexec_b64 s[14:15], s[0:1]
	s_cbranch_execz .LBB12_74
; %bb.153:                              ;   in Loop: Header=BB12_75 Depth=1
	global_load_dwordx2 v[2:3], v31, s[2:3] offset:40
	global_load_dwordx2 v[6:7], v31, s[2:3] offset:24 sc0 sc1
	global_load_dwordx2 v[14:15], v31, s[2:3]
	s_waitcnt vmcnt(2)
	v_lshl_add_u64 v[10:11], v[2:3], 0, 1
	v_lshl_add_u64 v[16:17], v[10:11], 0, s[12:13]
	v_cmp_eq_u64_e32 vcc, 0, v[16:17]
	s_waitcnt vmcnt(1)
	v_mov_b32_e32 v12, v6
	v_cndmask_b32_e32 v11, v17, v11, vcc
	v_cndmask_b32_e32 v10, v16, v10, vcc
	v_and_b32_e32 v3, v11, v3
	v_and_b32_e32 v2, v10, v2
	v_mul_lo_u32 v3, v3, 24
	v_mul_hi_u32 v13, v2, 24
	v_mul_lo_u32 v2, v2, 24
	v_add_u32_e32 v3, v13, v3
	s_waitcnt vmcnt(0)
	v_lshl_add_u64 v[2:3], v[14:15], 0, v[2:3]
	global_store_dwordx2 v[2:3], v[6:7], off
	v_mov_b32_e32 v13, v7
	buffer_wbl2 sc0 sc1
	s_waitcnt vmcnt(0)
	global_atomic_cmpswap_x2 v[12:13], v31, v[10:13], s[2:3] offset:24 sc0 sc1
	s_waitcnt vmcnt(0)
	v_cmp_ne_u64_e32 vcc, v[12:13], v[6:7]
	s_and_b64 exec, exec, vcc
	s_cbranch_execz .LBB12_74
; %bb.154:                              ;   in Loop: Header=BB12_75 Depth=1
	s_mov_b64 s[0:1], 0
.LBB12_155:                             ;   Parent Loop BB12_75 Depth=1
                                        ; =>  This Inner Loop Header: Depth=2
	s_sleep 1
	global_store_dwordx2 v[2:3], v[12:13], off
	buffer_wbl2 sc0 sc1
	s_waitcnt vmcnt(0)
	global_atomic_cmpswap_x2 v[6:7], v31, v[10:13], s[2:3] offset:24 sc0 sc1
	s_waitcnt vmcnt(0)
	v_cmp_eq_u64_e32 vcc, v[6:7], v[12:13]
	s_or_b64 s[0:1], vcc, s[0:1]
	v_mov_b64_e32 v[12:13], v[6:7]
	s_andn2_b64 exec, exec, s[0:1]
	s_cbranch_execnz .LBB12_155
	s_branch .LBB12_74
.LBB12_156:
	s_mov_b64 s[0:1], 0
	s_branch .LBB12_158
.LBB12_157:
	s_mov_b64 s[0:1], -1
                                        ; implicit-def: $vgpr0_vgpr1
.LBB12_158:
	s_and_b64 vcc, exec, s[0:1]
	s_cbranch_vccz .LBB12_185
; %bb.159:
	v_readfirstlane_b32 s0, v36
	v_mov_b64_e32 v[6:7], 0
	s_nop 0
	v_cmp_eq_u32_e64 s[0:1], s0, v36
	s_and_saveexec_b64 s[6:7], s[0:1]
	s_cbranch_execz .LBB12_165
; %bb.160:
	s_waitcnt vmcnt(0)
	v_mov_b32_e32 v0, 0
	global_load_dwordx2 v[8:9], v0, s[2:3] offset:24 sc0 sc1
	s_waitcnt vmcnt(0)
	buffer_inv sc0 sc1
	global_load_dwordx2 v[2:3], v0, s[2:3] offset:40
	global_load_dwordx2 v[6:7], v0, s[2:3]
	s_waitcnt vmcnt(1)
	v_and_b32_e32 v1, v2, v8
	v_and_b32_e32 v2, v3, v9
	v_mul_lo_u32 v2, v2, 24
	v_mul_hi_u32 v3, v1, 24
	v_add_u32_e32 v3, v3, v2
	v_mul_lo_u32 v2, v1, 24
	s_waitcnt vmcnt(0)
	v_lshl_add_u64 v[2:3], v[6:7], 0, v[2:3]
	global_load_dwordx2 v[6:7], v[2:3], off sc0 sc1
	s_waitcnt vmcnt(0)
	global_atomic_cmpswap_x2 v[6:7], v0, v[6:9], s[2:3] offset:24 sc0 sc1
	s_waitcnt vmcnt(0)
	buffer_inv sc0 sc1
	v_cmp_ne_u64_e32 vcc, v[6:7], v[8:9]
	s_and_saveexec_b64 s[8:9], vcc
	s_cbranch_execz .LBB12_164
; %bb.161:
	s_mov_b64 s[10:11], 0
.LBB12_162:                             ; =>This Inner Loop Header: Depth=1
	s_sleep 1
	global_load_dwordx2 v[2:3], v0, s[2:3] offset:40
	global_load_dwordx2 v[10:11], v0, s[2:3]
	v_mov_b64_e32 v[8:9], v[6:7]
	s_waitcnt vmcnt(1)
	v_and_b32_e32 v2, v2, v8
	v_and_b32_e32 v1, v3, v9
	s_waitcnt vmcnt(0)
	v_mad_u64_u32 v[2:3], s[12:13], v2, 24, v[10:11]
	v_mov_b32_e32 v6, v3
	v_mad_u64_u32 v[6:7], s[12:13], v1, 24, v[6:7]
	v_mov_b32_e32 v3, v6
	global_load_dwordx2 v[6:7], v[2:3], off sc0 sc1
	s_waitcnt vmcnt(0)
	global_atomic_cmpswap_x2 v[6:7], v0, v[6:9], s[2:3] offset:24 sc0 sc1
	s_waitcnt vmcnt(0)
	buffer_inv sc0 sc1
	v_cmp_eq_u64_e32 vcc, v[6:7], v[8:9]
	s_or_b64 s[10:11], vcc, s[10:11]
	s_andn2_b64 exec, exec, s[10:11]
	s_cbranch_execnz .LBB12_162
; %bb.163:
	s_or_b64 exec, exec, s[10:11]
.LBB12_164:
	s_or_b64 exec, exec, s[8:9]
.LBB12_165:
	s_or_b64 exec, exec, s[6:7]
	v_mov_b32_e32 v29, 0
	global_load_dwordx2 v[8:9], v29, s[2:3] offset:40
	global_load_dwordx4 v[0:3], v29, s[2:3]
	v_readfirstlane_b32 s6, v6
	v_readfirstlane_b32 s7, v7
	s_mov_b64 s[8:9], exec
	s_waitcnt vmcnt(1)
	v_readfirstlane_b32 s10, v8
	v_readfirstlane_b32 s11, v9
	s_and_b64 s[10:11], s[6:7], s[10:11]
	s_mul_i32 s12, s11, 24
	s_mul_hi_u32 s13, s10, 24
	s_add_i32 s13, s13, s12
	s_mul_i32 s12, s10, 24
	s_waitcnt vmcnt(0)
	v_lshl_add_u64 v[8:9], v[0:1], 0, s[12:13]
	s_and_saveexec_b64 s[12:13], s[0:1]
	s_cbranch_execz .LBB12_167
; %bb.166:
	v_mov_b64_e32 v[10:11], s[8:9]
	v_mov_b32_e32 v12, 2
	v_mov_b32_e32 v13, 1
	global_store_dwordx4 v[8:9], v[10:13], off offset:8
.LBB12_167:
	s_or_b64 exec, exec, s[12:13]
	s_lshl_b64 s[8:9], s[10:11], 12
	v_lshl_add_u64 v[10:11], v[2:3], 0, s[8:9]
	s_movk_i32 s8, 0xff1f
	v_and_or_b32 v4, v4, s8, 32
	s_mov_b32 s8, 0
	v_mov_b32_e32 v6, v29
	v_mov_b32_e32 v7, v29
	v_readfirstlane_b32 s12, v10
	v_readfirstlane_b32 s13, v11
	s_mov_b32 s9, s8
	s_mov_b32 s10, s8
	;; [unrolled: 1-line block ×3, first 2 shown]
	s_nop 1
	global_store_dwordx4 v28, v[4:7], s[12:13]
	v_mov_b64_e32 v[2:3], s[8:9]
	s_nop 0
	v_mov_b64_e32 v[4:5], s[10:11]
	global_store_dwordx4 v28, v[2:5], s[12:13] offset:16
	global_store_dwordx4 v28, v[2:5], s[12:13] offset:32
	;; [unrolled: 1-line block ×3, first 2 shown]
	s_and_saveexec_b64 s[8:9], s[0:1]
	s_cbranch_execz .LBB12_175
; %bb.168:
	v_mov_b32_e32 v6, 0
	global_load_dwordx2 v[14:15], v6, s[2:3] offset:32 sc0 sc1
	global_load_dwordx2 v[2:3], v6, s[2:3] offset:40
	v_mov_b32_e32 v12, s6
	v_mov_b32_e32 v13, s7
	s_waitcnt vmcnt(0)
	v_readfirstlane_b32 s10, v2
	v_readfirstlane_b32 s11, v3
	s_and_b64 s[10:11], s[10:11], s[6:7]
	s_mul_i32 s11, s11, 24
	s_mul_hi_u32 s12, s10, 24
	s_mul_i32 s10, s10, 24
	s_add_i32 s11, s12, s11
	v_lshl_add_u64 v[4:5], v[0:1], 0, s[10:11]
	global_store_dwordx2 v[4:5], v[14:15], off
	buffer_wbl2 sc0 sc1
	s_waitcnt vmcnt(0)
	global_atomic_cmpswap_x2 v[2:3], v6, v[12:15], s[2:3] offset:32 sc0 sc1
	s_waitcnt vmcnt(0)
	v_cmp_ne_u64_e32 vcc, v[2:3], v[14:15]
	s_and_saveexec_b64 s[10:11], vcc
	s_cbranch_execz .LBB12_171
; %bb.169:
	s_mov_b64 s[12:13], 0
.LBB12_170:                             ; =>This Inner Loop Header: Depth=1
	s_sleep 1
	global_store_dwordx2 v[4:5], v[2:3], off
	v_mov_b32_e32 v0, s6
	v_mov_b32_e32 v1, s7
	buffer_wbl2 sc0 sc1
	s_waitcnt vmcnt(0)
	global_atomic_cmpswap_x2 v[0:1], v6, v[0:3], s[2:3] offset:32 sc0 sc1
	s_waitcnt vmcnt(0)
	v_cmp_eq_u64_e32 vcc, v[0:1], v[2:3]
	s_or_b64 s[12:13], vcc, s[12:13]
	v_mov_b64_e32 v[2:3], v[0:1]
	s_andn2_b64 exec, exec, s[12:13]
	s_cbranch_execnz .LBB12_170
.LBB12_171:
	s_or_b64 exec, exec, s[10:11]
	v_mov_b32_e32 v3, 0
	global_load_dwordx2 v[0:1], v3, s[2:3] offset:16
	s_mov_b64 s[10:11], exec
	v_mbcnt_lo_u32_b32 v2, s10, 0
	v_mbcnt_hi_u32_b32 v2, s11, v2
	v_cmp_eq_u32_e32 vcc, 0, v2
	s_and_saveexec_b64 s[12:13], vcc
	s_cbranch_execz .LBB12_173
; %bb.172:
	s_bcnt1_i32_b64 s10, s[10:11]
	v_mov_b32_e32 v2, s10
	buffer_wbl2 sc0 sc1
	s_waitcnt vmcnt(0)
	global_atomic_add_x2 v[0:1], v[2:3], off offset:8 sc1
.LBB12_173:
	s_or_b64 exec, exec, s[12:13]
	s_waitcnt vmcnt(0)
	global_load_dwordx2 v[2:3], v[0:1], off offset:16
	s_waitcnt vmcnt(0)
	v_cmp_eq_u64_e32 vcc, 0, v[2:3]
	s_cbranch_vccnz .LBB12_175
; %bb.174:
	global_load_dword v0, v[0:1], off offset:24
	v_mov_b32_e32 v1, 0
	buffer_wbl2 sc0 sc1
	s_waitcnt vmcnt(0)
	global_store_dwordx2 v[2:3], v[0:1], off sc0 sc1
	v_and_b32_e32 v0, 0xffffff, v0
	s_nop 0
	v_readfirstlane_b32 m0, v0
	s_sendmsg sendmsg(MSG_INTERRUPT)
.LBB12_175:
	s_or_b64 exec, exec, s[8:9]
	v_lshl_add_u64 v[0:1], v[10:11], 0, v[28:29]
	s_branch .LBB12_179
.LBB12_176:                             ;   in Loop: Header=BB12_179 Depth=1
	s_or_b64 exec, exec, s[8:9]
	v_readfirstlane_b32 s8, v2
	s_cmp_eq_u32 s8, 0
	s_cbranch_scc1 .LBB12_178
; %bb.177:                              ;   in Loop: Header=BB12_179 Depth=1
	s_sleep 1
	s_cbranch_execnz .LBB12_179
	s_branch .LBB12_181
.LBB12_178:
	s_branch .LBB12_181
.LBB12_179:                             ; =>This Inner Loop Header: Depth=1
	v_mov_b32_e32 v2, 1
	s_and_saveexec_b64 s[8:9], s[0:1]
	s_cbranch_execz .LBB12_176
; %bb.180:                              ;   in Loop: Header=BB12_179 Depth=1
	global_load_dword v2, v[8:9], off offset:20 sc0 sc1
	s_waitcnt vmcnt(0)
	buffer_inv sc0 sc1
	v_and_b32_e32 v2, 1, v2
	s_branch .LBB12_176
.LBB12_181:
	global_load_dwordx2 v[0:1], v[0:1], off
	s_and_saveexec_b64 s[8:9], s[0:1]
	s_cbranch_execz .LBB12_184
; %bb.182:
	v_mov_b32_e32 v8, 0
	global_load_dwordx2 v[6:7], v8, s[2:3] offset:40
	global_load_dwordx2 v[10:11], v8, s[2:3] offset:24 sc0 sc1
	global_load_dwordx2 v[12:13], v8, s[2:3]
	s_mov_b64 s[0:1], 0
	s_waitcnt vmcnt(2)
	v_lshl_add_u64 v[2:3], v[6:7], 0, 1
	v_lshl_add_u64 v[14:15], v[2:3], 0, s[6:7]
	v_cmp_eq_u64_e32 vcc, 0, v[14:15]
	s_waitcnt vmcnt(1)
	v_mov_b32_e32 v4, v10
	v_cndmask_b32_e32 v3, v15, v3, vcc
	v_cndmask_b32_e32 v2, v14, v2, vcc
	v_and_b32_e32 v5, v3, v7
	v_and_b32_e32 v6, v2, v6
	v_mul_lo_u32 v5, v5, 24
	v_mul_hi_u32 v7, v6, 24
	v_mul_lo_u32 v6, v6, 24
	v_add_u32_e32 v7, v7, v5
	s_waitcnt vmcnt(0)
	v_lshl_add_u64 v[6:7], v[12:13], 0, v[6:7]
	global_store_dwordx2 v[6:7], v[10:11], off
	v_mov_b32_e32 v5, v11
	buffer_wbl2 sc0 sc1
	s_waitcnt vmcnt(0)
	global_atomic_cmpswap_x2 v[4:5], v8, v[2:5], s[2:3] offset:24 sc0 sc1
	s_waitcnt vmcnt(0)
	v_cmp_ne_u64_e32 vcc, v[4:5], v[10:11]
	s_and_b64 exec, exec, vcc
	s_cbranch_execz .LBB12_184
.LBB12_183:                             ; =>This Inner Loop Header: Depth=1
	s_sleep 1
	global_store_dwordx2 v[6:7], v[4:5], off
	buffer_wbl2 sc0 sc1
	s_waitcnt vmcnt(0)
	global_atomic_cmpswap_x2 v[10:11], v8, v[2:5], s[2:3] offset:24 sc0 sc1
	s_waitcnt vmcnt(0)
	v_cmp_eq_u64_e32 vcc, v[10:11], v[4:5]
	s_or_b64 s[0:1], vcc, s[0:1]
	v_mov_b64_e32 v[4:5], v[10:11]
	s_andn2_b64 exec, exec, s[0:1]
	s_cbranch_execnz .LBB12_183
.LBB12_184:
	s_or_b64 exec, exec, s[8:9]
.LBB12_185:
	s_getpc_b64 s[6:7]
	s_add_u32 s6, s6, __PRETTY_FUNCTION__._ZL23merge_first_all_smallerRN8migraphx4test12test_managerE@rel32@lo+4
	s_addc_u32 s7, s7, __PRETTY_FUNCTION__._ZL23merge_first_all_smallerRN8migraphx4test12test_managerE@rel32@hi+12
	s_cmp_lg_u64 s[6:7], 0
	s_cbranch_scc0 .LBB12_270
; %bb.186:
	s_waitcnt vmcnt(0)
	v_and_b32_e32 v6, -3, v0
	v_mov_b32_e32 v7, v1
	s_mov_b64 s[8:9], 61
	v_mov_b32_e32 v27, 0
	v_mov_b32_e32 v4, 2
	;; [unrolled: 1-line block ×3, first 2 shown]
	s_branch .LBB12_188
.LBB12_187:                             ;   in Loop: Header=BB12_188 Depth=1
	s_or_b64 exec, exec, s[14:15]
	s_sub_u32 s8, s8, s10
	s_subb_u32 s9, s9, s11
	s_add_u32 s6, s6, s10
	s_addc_u32 s7, s7, s11
	s_cmp_lg_u64 s[8:9], 0
	s_cbranch_scc0 .LBB12_269
.LBB12_188:                             ; =>This Loop Header: Depth=1
                                        ;     Child Loop BB12_191 Depth 2
                                        ;     Child Loop BB12_198 Depth 2
	;; [unrolled: 1-line block ×11, first 2 shown]
	v_cmp_lt_u64_e64 s[0:1], s[8:9], 56
	s_and_b64 s[0:1], s[0:1], exec
	v_cmp_gt_u64_e64 s[0:1], s[8:9], 7
	s_cselect_b32 s11, s9, 0
	s_cselect_b32 s10, s8, 56
	s_and_b64 vcc, exec, s[0:1]
	s_cbranch_vccnz .LBB12_193
; %bb.189:                              ;   in Loop: Header=BB12_188 Depth=1
	s_mov_b64 s[0:1], 0
	s_cmp_eq_u64 s[8:9], 0
	s_waitcnt vmcnt(0)
	v_mov_b64_e32 v[8:9], 0
	s_cbranch_scc1 .LBB12_192
; %bb.190:                              ;   in Loop: Header=BB12_188 Depth=1
	s_lshl_b64 s[12:13], s[10:11], 3
	s_mov_b64 s[14:15], 0
	v_mov_b64_e32 v[8:9], 0
	s_mov_b64 s[16:17], s[6:7]
.LBB12_191:                             ;   Parent Loop BB12_188 Depth=1
                                        ; =>  This Inner Loop Header: Depth=2
	global_load_ubyte v2, v27, s[16:17]
	s_waitcnt vmcnt(0)
	v_and_b32_e32 v26, 0xffff, v2
	v_lshlrev_b64 v[2:3], s14, v[26:27]
	s_add_u32 s14, s14, 8
	s_addc_u32 s15, s15, 0
	s_add_u32 s16, s16, 1
	s_addc_u32 s17, s17, 0
	v_or_b32_e32 v8, v2, v8
	s_cmp_lg_u32 s12, s14
	v_or_b32_e32 v9, v3, v9
	s_cbranch_scc1 .LBB12_191
.LBB12_192:                             ;   in Loop: Header=BB12_188 Depth=1
	s_mov_b32 s16, 0
	s_andn2_b64 vcc, exec, s[0:1]
	s_mov_b64 s[0:1], s[6:7]
	s_cbranch_vccz .LBB12_194
	s_branch .LBB12_195
.LBB12_193:                             ;   in Loop: Header=BB12_188 Depth=1
                                        ; implicit-def: $sgpr16
	s_mov_b64 s[0:1], s[6:7]
.LBB12_194:                             ;   in Loop: Header=BB12_188 Depth=1
	global_load_dwordx2 v[8:9], v27, s[6:7]
	s_add_i32 s16, s10, -8
	s_add_u32 s0, s6, 8
	s_addc_u32 s1, s7, 0
.LBB12_195:                             ;   in Loop: Header=BB12_188 Depth=1
	s_cmp_gt_u32 s16, 7
	s_cbranch_scc1 .LBB12_199
; %bb.196:                              ;   in Loop: Header=BB12_188 Depth=1
	s_cmp_eq_u32 s16, 0
	s_cbranch_scc1 .LBB12_200
; %bb.197:                              ;   in Loop: Header=BB12_188 Depth=1
	s_mov_b64 s[12:13], 0
	v_mov_b64_e32 v[10:11], 0
	s_mov_b64 s[14:15], 0
.LBB12_198:                             ;   Parent Loop BB12_188 Depth=1
                                        ; =>  This Inner Loop Header: Depth=2
	s_add_u32 s18, s0, s14
	s_addc_u32 s19, s1, s15
	global_load_ubyte v2, v27, s[18:19]
	s_add_u32 s14, s14, 1
	s_addc_u32 s15, s15, 0
	s_waitcnt vmcnt(0)
	v_and_b32_e32 v26, 0xffff, v2
	v_lshlrev_b64 v[2:3], s12, v[26:27]
	s_add_u32 s12, s12, 8
	s_addc_u32 s13, s13, 0
	v_or_b32_e32 v10, v2, v10
	s_cmp_lg_u32 s16, s14
	v_or_b32_e32 v11, v3, v11
	s_cbranch_scc1 .LBB12_198
	s_branch .LBB12_201
.LBB12_199:                             ;   in Loop: Header=BB12_188 Depth=1
                                        ; implicit-def: $vgpr10_vgpr11
                                        ; implicit-def: $sgpr17
	s_branch .LBB12_202
.LBB12_200:                             ;   in Loop: Header=BB12_188 Depth=1
	v_mov_b64_e32 v[10:11], 0
.LBB12_201:                             ;   in Loop: Header=BB12_188 Depth=1
	s_mov_b32 s17, 0
	s_cbranch_execnz .LBB12_203
.LBB12_202:                             ;   in Loop: Header=BB12_188 Depth=1
	global_load_dwordx2 v[10:11], v27, s[0:1]
	s_add_i32 s17, s16, -8
	s_add_u32 s0, s0, 8
	s_addc_u32 s1, s1, 0
.LBB12_203:                             ;   in Loop: Header=BB12_188 Depth=1
	s_cmp_gt_u32 s17, 7
	s_cbranch_scc1 .LBB12_207
; %bb.204:                              ;   in Loop: Header=BB12_188 Depth=1
	s_cmp_eq_u32 s17, 0
	s_cbranch_scc1 .LBB12_208
; %bb.205:                              ;   in Loop: Header=BB12_188 Depth=1
	s_mov_b64 s[12:13], 0
	v_mov_b64_e32 v[12:13], 0
	s_mov_b64 s[14:15], 0
.LBB12_206:                             ;   Parent Loop BB12_188 Depth=1
                                        ; =>  This Inner Loop Header: Depth=2
	s_add_u32 s18, s0, s14
	s_addc_u32 s19, s1, s15
	global_load_ubyte v2, v27, s[18:19]
	s_add_u32 s14, s14, 1
	s_addc_u32 s15, s15, 0
	s_waitcnt vmcnt(0)
	v_and_b32_e32 v26, 0xffff, v2
	v_lshlrev_b64 v[2:3], s12, v[26:27]
	s_add_u32 s12, s12, 8
	s_addc_u32 s13, s13, 0
	v_or_b32_e32 v12, v2, v12
	s_cmp_lg_u32 s17, s14
	v_or_b32_e32 v13, v3, v13
	s_cbranch_scc1 .LBB12_206
	s_branch .LBB12_209
.LBB12_207:                             ;   in Loop: Header=BB12_188 Depth=1
                                        ; implicit-def: $sgpr16
	s_branch .LBB12_210
.LBB12_208:                             ;   in Loop: Header=BB12_188 Depth=1
	v_mov_b64_e32 v[12:13], 0
.LBB12_209:                             ;   in Loop: Header=BB12_188 Depth=1
	s_mov_b32 s16, 0
	s_cbranch_execnz .LBB12_211
.LBB12_210:                             ;   in Loop: Header=BB12_188 Depth=1
	global_load_dwordx2 v[12:13], v27, s[0:1]
	s_add_i32 s16, s17, -8
	s_add_u32 s0, s0, 8
	s_addc_u32 s1, s1, 0
.LBB12_211:                             ;   in Loop: Header=BB12_188 Depth=1
	s_cmp_gt_u32 s16, 7
	s_cbranch_scc1 .LBB12_215
; %bb.212:                              ;   in Loop: Header=BB12_188 Depth=1
	s_cmp_eq_u32 s16, 0
	s_cbranch_scc1 .LBB12_216
; %bb.213:                              ;   in Loop: Header=BB12_188 Depth=1
	s_mov_b64 s[12:13], 0
	v_mov_b64_e32 v[14:15], 0
	s_mov_b64 s[14:15], 0
.LBB12_214:                             ;   Parent Loop BB12_188 Depth=1
                                        ; =>  This Inner Loop Header: Depth=2
	s_add_u32 s18, s0, s14
	s_addc_u32 s19, s1, s15
	global_load_ubyte v2, v27, s[18:19]
	s_add_u32 s14, s14, 1
	s_addc_u32 s15, s15, 0
	s_waitcnt vmcnt(0)
	v_and_b32_e32 v26, 0xffff, v2
	v_lshlrev_b64 v[2:3], s12, v[26:27]
	s_add_u32 s12, s12, 8
	s_addc_u32 s13, s13, 0
	v_or_b32_e32 v14, v2, v14
	s_cmp_lg_u32 s16, s14
	v_or_b32_e32 v15, v3, v15
	s_cbranch_scc1 .LBB12_214
	s_branch .LBB12_217
.LBB12_215:                             ;   in Loop: Header=BB12_188 Depth=1
                                        ; implicit-def: $vgpr14_vgpr15
                                        ; implicit-def: $sgpr17
	s_branch .LBB12_218
.LBB12_216:                             ;   in Loop: Header=BB12_188 Depth=1
	v_mov_b64_e32 v[14:15], 0
.LBB12_217:                             ;   in Loop: Header=BB12_188 Depth=1
	s_mov_b32 s17, 0
	s_cbranch_execnz .LBB12_219
.LBB12_218:                             ;   in Loop: Header=BB12_188 Depth=1
	global_load_dwordx2 v[14:15], v27, s[0:1]
	s_add_i32 s17, s16, -8
	s_add_u32 s0, s0, 8
	s_addc_u32 s1, s1, 0
.LBB12_219:                             ;   in Loop: Header=BB12_188 Depth=1
	s_cmp_gt_u32 s17, 7
	s_cbranch_scc1 .LBB12_223
; %bb.220:                              ;   in Loop: Header=BB12_188 Depth=1
	s_cmp_eq_u32 s17, 0
	s_cbranch_scc1 .LBB12_224
; %bb.221:                              ;   in Loop: Header=BB12_188 Depth=1
	s_mov_b64 s[12:13], 0
	v_mov_b64_e32 v[16:17], 0
	s_mov_b64 s[14:15], 0
.LBB12_222:                             ;   Parent Loop BB12_188 Depth=1
                                        ; =>  This Inner Loop Header: Depth=2
	s_add_u32 s18, s0, s14
	s_addc_u32 s19, s1, s15
	global_load_ubyte v2, v27, s[18:19]
	s_add_u32 s14, s14, 1
	s_addc_u32 s15, s15, 0
	s_waitcnt vmcnt(0)
	v_and_b32_e32 v26, 0xffff, v2
	v_lshlrev_b64 v[2:3], s12, v[26:27]
	s_add_u32 s12, s12, 8
	s_addc_u32 s13, s13, 0
	v_or_b32_e32 v16, v2, v16
	s_cmp_lg_u32 s17, s14
	v_or_b32_e32 v17, v3, v17
	s_cbranch_scc1 .LBB12_222
	s_branch .LBB12_225
.LBB12_223:                             ;   in Loop: Header=BB12_188 Depth=1
                                        ; implicit-def: $sgpr16
	s_branch .LBB12_226
.LBB12_224:                             ;   in Loop: Header=BB12_188 Depth=1
	v_mov_b64_e32 v[16:17], 0
.LBB12_225:                             ;   in Loop: Header=BB12_188 Depth=1
	s_mov_b32 s16, 0
	s_cbranch_execnz .LBB12_227
.LBB12_226:                             ;   in Loop: Header=BB12_188 Depth=1
	global_load_dwordx2 v[16:17], v27, s[0:1]
	s_add_i32 s16, s17, -8
	s_add_u32 s0, s0, 8
	s_addc_u32 s1, s1, 0
.LBB12_227:                             ;   in Loop: Header=BB12_188 Depth=1
	s_cmp_gt_u32 s16, 7
	s_cbranch_scc1 .LBB12_231
; %bb.228:                              ;   in Loop: Header=BB12_188 Depth=1
	s_cmp_eq_u32 s16, 0
	s_cbranch_scc1 .LBB12_232
; %bb.229:                              ;   in Loop: Header=BB12_188 Depth=1
	s_mov_b64 s[12:13], 0
	v_mov_b64_e32 v[18:19], 0
	s_mov_b64 s[14:15], 0
.LBB12_230:                             ;   Parent Loop BB12_188 Depth=1
                                        ; =>  This Inner Loop Header: Depth=2
	s_add_u32 s18, s0, s14
	s_addc_u32 s19, s1, s15
	global_load_ubyte v2, v27, s[18:19]
	s_add_u32 s14, s14, 1
	s_addc_u32 s15, s15, 0
	s_waitcnt vmcnt(0)
	v_and_b32_e32 v26, 0xffff, v2
	v_lshlrev_b64 v[2:3], s12, v[26:27]
	s_add_u32 s12, s12, 8
	s_addc_u32 s13, s13, 0
	v_or_b32_e32 v18, v2, v18
	s_cmp_lg_u32 s16, s14
	v_or_b32_e32 v19, v3, v19
	s_cbranch_scc1 .LBB12_230
	s_branch .LBB12_233
.LBB12_231:                             ;   in Loop: Header=BB12_188 Depth=1
                                        ; implicit-def: $vgpr18_vgpr19
                                        ; implicit-def: $sgpr17
	s_branch .LBB12_234
.LBB12_232:                             ;   in Loop: Header=BB12_188 Depth=1
	v_mov_b64_e32 v[18:19], 0
.LBB12_233:                             ;   in Loop: Header=BB12_188 Depth=1
	s_mov_b32 s17, 0
	s_cbranch_execnz .LBB12_235
.LBB12_234:                             ;   in Loop: Header=BB12_188 Depth=1
	global_load_dwordx2 v[18:19], v27, s[0:1]
	s_add_i32 s17, s16, -8
	s_add_u32 s0, s0, 8
	s_addc_u32 s1, s1, 0
.LBB12_235:                             ;   in Loop: Header=BB12_188 Depth=1
	s_cmp_gt_u32 s17, 7
	s_cbranch_scc1 .LBB12_239
; %bb.236:                              ;   in Loop: Header=BB12_188 Depth=1
	s_cmp_eq_u32 s17, 0
	s_cbranch_scc1 .LBB12_240
; %bb.237:                              ;   in Loop: Header=BB12_188 Depth=1
	s_mov_b64 s[12:13], 0
	v_mov_b64_e32 v[20:21], 0
	s_mov_b64 s[14:15], s[0:1]
.LBB12_238:                             ;   Parent Loop BB12_188 Depth=1
                                        ; =>  This Inner Loop Header: Depth=2
	global_load_ubyte v2, v27, s[14:15]
	s_add_i32 s17, s17, -1
	s_waitcnt vmcnt(0)
	v_and_b32_e32 v26, 0xffff, v2
	v_lshlrev_b64 v[2:3], s12, v[26:27]
	s_add_u32 s12, s12, 8
	s_addc_u32 s13, s13, 0
	s_add_u32 s14, s14, 1
	s_addc_u32 s15, s15, 0
	v_or_b32_e32 v20, v2, v20
	s_cmp_lg_u32 s17, 0
	v_or_b32_e32 v21, v3, v21
	s_cbranch_scc1 .LBB12_238
	s_branch .LBB12_241
.LBB12_239:                             ;   in Loop: Header=BB12_188 Depth=1
	s_branch .LBB12_242
.LBB12_240:                             ;   in Loop: Header=BB12_188 Depth=1
	v_mov_b64_e32 v[20:21], 0
.LBB12_241:                             ;   in Loop: Header=BB12_188 Depth=1
	s_cbranch_execnz .LBB12_243
.LBB12_242:                             ;   in Loop: Header=BB12_188 Depth=1
	global_load_dwordx2 v[20:21], v27, s[0:1]
.LBB12_243:                             ;   in Loop: Header=BB12_188 Depth=1
	v_readfirstlane_b32 s0, v36
	v_mov_b64_e32 v[2:3], 0
	s_nop 0
	v_cmp_eq_u32_e64 s[0:1], s0, v36
	s_and_saveexec_b64 s[12:13], s[0:1]
	s_cbranch_execz .LBB12_249
; %bb.244:                              ;   in Loop: Header=BB12_188 Depth=1
	global_load_dwordx2 v[24:25], v27, s[2:3] offset:24 sc0 sc1
	s_waitcnt vmcnt(0)
	buffer_inv sc0 sc1
	global_load_dwordx2 v[2:3], v27, s[2:3] offset:40
	global_load_dwordx2 v[22:23], v27, s[2:3]
	s_waitcnt vmcnt(1)
	v_and_b32_e32 v2, v2, v24
	v_and_b32_e32 v3, v3, v25
	v_mul_lo_u32 v3, v3, 24
	v_mul_hi_u32 v26, v2, 24
	v_add_u32_e32 v3, v26, v3
	v_mul_lo_u32 v2, v2, 24
	s_waitcnt vmcnt(0)
	v_lshl_add_u64 v[2:3], v[22:23], 0, v[2:3]
	global_load_dwordx2 v[22:23], v[2:3], off sc0 sc1
	s_waitcnt vmcnt(0)
	global_atomic_cmpswap_x2 v[2:3], v27, v[22:25], s[2:3] offset:24 sc0 sc1
	s_waitcnt vmcnt(0)
	buffer_inv sc0 sc1
	v_cmp_ne_u64_e32 vcc, v[2:3], v[24:25]
	s_and_saveexec_b64 s[14:15], vcc
	s_cbranch_execz .LBB12_248
; %bb.245:                              ;   in Loop: Header=BB12_188 Depth=1
	s_mov_b64 s[16:17], 0
.LBB12_246:                             ;   Parent Loop BB12_188 Depth=1
                                        ; =>  This Inner Loop Header: Depth=2
	s_sleep 1
	global_load_dwordx2 v[22:23], v27, s[2:3] offset:40
	global_load_dwordx2 v[30:31], v27, s[2:3]
	v_mov_b64_e32 v[24:25], v[2:3]
	s_waitcnt vmcnt(1)
	v_and_b32_e32 v2, v22, v24
	s_waitcnt vmcnt(0)
	v_mad_u64_u32 v[2:3], s[18:19], v2, 24, v[30:31]
	v_and_b32_e32 v23, v23, v25
	v_mov_b32_e32 v22, v3
	v_mad_u64_u32 v[22:23], s[18:19], v23, 24, v[22:23]
	v_mov_b32_e32 v3, v22
	global_load_dwordx2 v[22:23], v[2:3], off sc0 sc1
	s_waitcnt vmcnt(0)
	global_atomic_cmpswap_x2 v[2:3], v27, v[22:25], s[2:3] offset:24 sc0 sc1
	s_waitcnt vmcnt(0)
	buffer_inv sc0 sc1
	v_cmp_eq_u64_e32 vcc, v[2:3], v[24:25]
	s_or_b64 s[16:17], vcc, s[16:17]
	s_andn2_b64 exec, exec, s[16:17]
	s_cbranch_execnz .LBB12_246
; %bb.247:                              ;   in Loop: Header=BB12_188 Depth=1
	s_or_b64 exec, exec, s[16:17]
.LBB12_248:                             ;   in Loop: Header=BB12_188 Depth=1
	s_or_b64 exec, exec, s[14:15]
.LBB12_249:                             ;   in Loop: Header=BB12_188 Depth=1
	s_or_b64 exec, exec, s[12:13]
	global_load_dwordx2 v[30:31], v27, s[2:3] offset:40
	global_load_dwordx4 v[22:25], v27, s[2:3]
	v_readfirstlane_b32 s12, v2
	v_readfirstlane_b32 s13, v3
	s_mov_b64 s[14:15], exec
	s_waitcnt vmcnt(1)
	v_readfirstlane_b32 s16, v30
	v_readfirstlane_b32 s17, v31
	s_and_b64 s[16:17], s[12:13], s[16:17]
	s_mul_i32 s18, s17, 24
	s_mul_hi_u32 s19, s16, 24
	s_add_i32 s19, s19, s18
	s_mul_i32 s18, s16, 24
	s_waitcnt vmcnt(0)
	v_lshl_add_u64 v[30:31], v[22:23], 0, s[18:19]
	s_and_saveexec_b64 s[18:19], s[0:1]
	s_cbranch_execz .LBB12_251
; %bb.250:                              ;   in Loop: Header=BB12_188 Depth=1
	v_mov_b64_e32 v[2:3], s[14:15]
	global_store_dwordx4 v[30:31], v[2:5], off offset:8
.LBB12_251:                             ;   in Loop: Header=BB12_188 Depth=1
	s_or_b64 exec, exec, s[18:19]
	s_lshl_b64 s[14:15], s[16:17], 12
	v_lshl_add_u64 v[2:3], v[24:25], 0, s[14:15]
	v_or_b32_e32 v24, 2, v6
	v_cmp_gt_u64_e64 vcc, s[8:9], 56
	s_lshl_b32 s14, s10, 2
	s_add_i32 s14, s14, 28
	v_cndmask_b32_e32 v6, v24, v6, vcc
	s_and_b32 s14, s14, 0x1e0
	v_and_b32_e32 v6, 0xffffff1f, v6
	v_or_b32_e32 v6, s14, v6
	v_readfirstlane_b32 s14, v2
	v_readfirstlane_b32 s15, v3
	s_nop 4
	global_store_dwordx4 v28, v[6:9], s[14:15]
	global_store_dwordx4 v28, v[10:13], s[14:15] offset:16
	global_store_dwordx4 v28, v[14:17], s[14:15] offset:32
	;; [unrolled: 1-line block ×3, first 2 shown]
	s_and_saveexec_b64 s[14:15], s[0:1]
	s_cbranch_execz .LBB12_259
; %bb.252:                              ;   in Loop: Header=BB12_188 Depth=1
	global_load_dwordx2 v[14:15], v27, s[2:3] offset:32 sc0 sc1
	global_load_dwordx2 v[6:7], v27, s[2:3] offset:40
	v_mov_b32_e32 v12, s12
	v_mov_b32_e32 v13, s13
	s_waitcnt vmcnt(0)
	v_readfirstlane_b32 s16, v6
	v_readfirstlane_b32 s17, v7
	s_and_b64 s[16:17], s[16:17], s[12:13]
	s_mul_i32 s17, s17, 24
	s_mul_hi_u32 s18, s16, 24
	s_mul_i32 s16, s16, 24
	s_add_i32 s17, s18, s17
	v_lshl_add_u64 v[10:11], v[22:23], 0, s[16:17]
	global_store_dwordx2 v[10:11], v[14:15], off
	buffer_wbl2 sc0 sc1
	s_waitcnt vmcnt(0)
	global_atomic_cmpswap_x2 v[8:9], v27, v[12:15], s[2:3] offset:32 sc0 sc1
	s_waitcnt vmcnt(0)
	v_cmp_ne_u64_e32 vcc, v[8:9], v[14:15]
	s_and_saveexec_b64 s[16:17], vcc
	s_cbranch_execz .LBB12_255
; %bb.253:                              ;   in Loop: Header=BB12_188 Depth=1
	s_mov_b64 s[18:19], 0
.LBB12_254:                             ;   Parent Loop BB12_188 Depth=1
                                        ; =>  This Inner Loop Header: Depth=2
	s_sleep 1
	global_store_dwordx2 v[10:11], v[8:9], off
	v_mov_b32_e32 v6, s12
	v_mov_b32_e32 v7, s13
	buffer_wbl2 sc0 sc1
	s_waitcnt vmcnt(0)
	global_atomic_cmpswap_x2 v[6:7], v27, v[6:9], s[2:3] offset:32 sc0 sc1
	s_waitcnt vmcnt(0)
	v_cmp_eq_u64_e32 vcc, v[6:7], v[8:9]
	s_or_b64 s[18:19], vcc, s[18:19]
	v_mov_b64_e32 v[8:9], v[6:7]
	s_andn2_b64 exec, exec, s[18:19]
	s_cbranch_execnz .LBB12_254
.LBB12_255:                             ;   in Loop: Header=BB12_188 Depth=1
	s_or_b64 exec, exec, s[16:17]
	global_load_dwordx2 v[6:7], v27, s[2:3] offset:16
	s_mov_b64 s[18:19], exec
	v_mbcnt_lo_u32_b32 v8, s18, 0
	v_mbcnt_hi_u32_b32 v8, s19, v8
	v_cmp_eq_u32_e32 vcc, 0, v8
	s_and_saveexec_b64 s[16:17], vcc
	s_cbranch_execz .LBB12_257
; %bb.256:                              ;   in Loop: Header=BB12_188 Depth=1
	s_bcnt1_i32_b64 s18, s[18:19]
	v_mov_b32_e32 v26, s18
	buffer_wbl2 sc0 sc1
	s_waitcnt vmcnt(0)
	global_atomic_add_x2 v[6:7], v[26:27], off offset:8 sc1
.LBB12_257:                             ;   in Loop: Header=BB12_188 Depth=1
	s_or_b64 exec, exec, s[16:17]
	s_waitcnt vmcnt(0)
	global_load_dwordx2 v[8:9], v[6:7], off offset:16
	s_waitcnt vmcnt(0)
	v_cmp_eq_u64_e32 vcc, 0, v[8:9]
	s_cbranch_vccnz .LBB12_259
; %bb.258:                              ;   in Loop: Header=BB12_188 Depth=1
	global_load_dword v26, v[6:7], off offset:24
	s_waitcnt vmcnt(0)
	v_and_b32_e32 v6, 0xffffff, v26
	s_nop 0
	v_readfirstlane_b32 m0, v6
	buffer_wbl2 sc0 sc1
	global_store_dwordx2 v[8:9], v[26:27], off sc0 sc1
	s_sendmsg sendmsg(MSG_INTERRUPT)
.LBB12_259:                             ;   in Loop: Header=BB12_188 Depth=1
	s_or_b64 exec, exec, s[14:15]
	v_mov_b32_e32 v29, v27
	v_lshl_add_u64 v[2:3], v[2:3], 0, v[28:29]
	s_branch .LBB12_263
.LBB12_260:                             ;   in Loop: Header=BB12_263 Depth=2
	s_or_b64 exec, exec, s[14:15]
	v_readfirstlane_b32 s14, v6
	s_cmp_eq_u32 s14, 0
	s_cbranch_scc1 .LBB12_262
; %bb.261:                              ;   in Loop: Header=BB12_263 Depth=2
	s_sleep 1
	s_cbranch_execnz .LBB12_263
	s_branch .LBB12_265
.LBB12_262:                             ;   in Loop: Header=BB12_188 Depth=1
	s_branch .LBB12_265
.LBB12_263:                             ;   Parent Loop BB12_188 Depth=1
                                        ; =>  This Inner Loop Header: Depth=2
	v_mov_b32_e32 v6, 1
	s_and_saveexec_b64 s[14:15], s[0:1]
	s_cbranch_execz .LBB12_260
; %bb.264:                              ;   in Loop: Header=BB12_263 Depth=2
	global_load_dword v6, v[30:31], off offset:20 sc0 sc1
	s_waitcnt vmcnt(0)
	buffer_inv sc0 sc1
	v_and_b32_e32 v6, 1, v6
	s_branch .LBB12_260
.LBB12_265:                             ;   in Loop: Header=BB12_188 Depth=1
	global_load_dwordx4 v[6:9], v[2:3], off
	s_and_saveexec_b64 s[14:15], s[0:1]
	s_cbranch_execz .LBB12_187
; %bb.266:                              ;   in Loop: Header=BB12_188 Depth=1
	global_load_dwordx2 v[2:3], v27, s[2:3] offset:40
	global_load_dwordx2 v[12:13], v27, s[2:3] offset:24 sc0 sc1
	global_load_dwordx2 v[14:15], v27, s[2:3]
	s_waitcnt vmcnt(2)
	v_lshl_add_u64 v[8:9], v[2:3], 0, 1
	v_lshl_add_u64 v[16:17], v[8:9], 0, s[12:13]
	v_cmp_eq_u64_e32 vcc, 0, v[16:17]
	s_waitcnt vmcnt(1)
	v_mov_b32_e32 v10, v12
	v_cndmask_b32_e32 v9, v17, v9, vcc
	v_cndmask_b32_e32 v8, v16, v8, vcc
	v_and_b32_e32 v3, v9, v3
	v_and_b32_e32 v2, v8, v2
	v_mul_lo_u32 v3, v3, 24
	v_mul_hi_u32 v11, v2, 24
	v_mul_lo_u32 v2, v2, 24
	v_add_u32_e32 v3, v11, v3
	s_waitcnt vmcnt(0)
	v_lshl_add_u64 v[2:3], v[14:15], 0, v[2:3]
	global_store_dwordx2 v[2:3], v[12:13], off
	v_mov_b32_e32 v11, v13
	buffer_wbl2 sc0 sc1
	s_waitcnt vmcnt(0)
	global_atomic_cmpswap_x2 v[10:11], v27, v[8:11], s[2:3] offset:24 sc0 sc1
	s_waitcnt vmcnt(0)
	v_cmp_ne_u64_e32 vcc, v[10:11], v[12:13]
	s_and_b64 exec, exec, vcc
	s_cbranch_execz .LBB12_187
; %bb.267:                              ;   in Loop: Header=BB12_188 Depth=1
	s_mov_b64 s[0:1], 0
.LBB12_268:                             ;   Parent Loop BB12_188 Depth=1
                                        ; =>  This Inner Loop Header: Depth=2
	s_sleep 1
	global_store_dwordx2 v[2:3], v[10:11], off
	buffer_wbl2 sc0 sc1
	s_waitcnt vmcnt(0)
	global_atomic_cmpswap_x2 v[12:13], v27, v[8:11], s[2:3] offset:24 sc0 sc1
	s_waitcnt vmcnt(0)
	v_cmp_eq_u64_e32 vcc, v[12:13], v[10:11]
	s_or_b64 s[0:1], vcc, s[0:1]
	v_mov_b64_e32 v[10:11], v[12:13]
	s_andn2_b64 exec, exec, s[0:1]
	s_cbranch_execnz .LBB12_268
	s_branch .LBB12_187
.LBB12_269:
	s_mov_b64 s[0:1], 0
	s_branch .LBB12_271
.LBB12_270:
	s_mov_b64 s[0:1], -1
.LBB12_271:
	s_and_b64 vcc, exec, s[0:1]
	s_cbranch_vccz .LBB12_298
; %bb.272:
	v_readfirstlane_b32 s0, v36
	s_waitcnt vmcnt(0)
	v_mov_b64_e32 v[8:9], 0
	v_cmp_eq_u32_e64 s[0:1], s0, v36
	s_and_saveexec_b64 s[6:7], s[0:1]
	s_cbranch_execz .LBB12_278
; %bb.273:
	v_mov_b32_e32 v2, 0
	global_load_dwordx2 v[6:7], v2, s[2:3] offset:24 sc0 sc1
	s_waitcnt vmcnt(0)
	buffer_inv sc0 sc1
	global_load_dwordx2 v[4:5], v2, s[2:3] offset:40
	global_load_dwordx2 v[8:9], v2, s[2:3]
	s_waitcnt vmcnt(1)
	v_and_b32_e32 v3, v4, v6
	v_and_b32_e32 v4, v5, v7
	v_mul_lo_u32 v4, v4, 24
	v_mul_hi_u32 v5, v3, 24
	v_add_u32_e32 v5, v5, v4
	v_mul_lo_u32 v4, v3, 24
	s_waitcnt vmcnt(0)
	v_lshl_add_u64 v[4:5], v[8:9], 0, v[4:5]
	global_load_dwordx2 v[4:5], v[4:5], off sc0 sc1
	s_waitcnt vmcnt(0)
	global_atomic_cmpswap_x2 v[8:9], v2, v[4:7], s[2:3] offset:24 sc0 sc1
	s_waitcnt vmcnt(0)
	buffer_inv sc0 sc1
	v_cmp_ne_u64_e32 vcc, v[8:9], v[6:7]
	s_and_saveexec_b64 s[8:9], vcc
	s_cbranch_execz .LBB12_277
; %bb.274:
	s_mov_b64 s[10:11], 0
.LBB12_275:                             ; =>This Inner Loop Header: Depth=1
	s_sleep 1
	global_load_dwordx2 v[4:5], v2, s[2:3] offset:40
	global_load_dwordx2 v[10:11], v2, s[2:3]
	v_mov_b64_e32 v[6:7], v[8:9]
	s_waitcnt vmcnt(1)
	v_and_b32_e32 v4, v4, v6
	v_and_b32_e32 v3, v5, v7
	s_waitcnt vmcnt(0)
	v_mad_u64_u32 v[4:5], s[12:13], v4, 24, v[10:11]
	v_mov_b32_e32 v8, v5
	v_mad_u64_u32 v[8:9], s[12:13], v3, 24, v[8:9]
	v_mov_b32_e32 v5, v8
	global_load_dwordx2 v[4:5], v[4:5], off sc0 sc1
	s_waitcnt vmcnt(0)
	global_atomic_cmpswap_x2 v[8:9], v2, v[4:7], s[2:3] offset:24 sc0 sc1
	s_waitcnt vmcnt(0)
	buffer_inv sc0 sc1
	v_cmp_eq_u64_e32 vcc, v[8:9], v[6:7]
	s_or_b64 s[10:11], vcc, s[10:11]
	s_andn2_b64 exec, exec, s[10:11]
	s_cbranch_execnz .LBB12_275
; %bb.276:
	s_or_b64 exec, exec, s[10:11]
.LBB12_277:
	s_or_b64 exec, exec, s[8:9]
.LBB12_278:
	s_or_b64 exec, exec, s[6:7]
	v_mov_b32_e32 v2, 0
	global_load_dwordx2 v[10:11], v2, s[2:3] offset:40
	global_load_dwordx4 v[4:7], v2, s[2:3]
	v_readfirstlane_b32 s6, v8
	v_readfirstlane_b32 s7, v9
	s_mov_b64 s[8:9], exec
	s_waitcnt vmcnt(1)
	v_readfirstlane_b32 s10, v10
	v_readfirstlane_b32 s11, v11
	s_and_b64 s[10:11], s[6:7], s[10:11]
	s_mul_i32 s12, s11, 24
	s_mul_hi_u32 s13, s10, 24
	s_add_i32 s13, s13, s12
	s_mul_i32 s12, s10, 24
	s_waitcnt vmcnt(0)
	v_lshl_add_u64 v[8:9], v[4:5], 0, s[12:13]
	s_and_saveexec_b64 s[12:13], s[0:1]
	s_cbranch_execz .LBB12_280
; %bb.279:
	v_mov_b64_e32 v[10:11], s[8:9]
	v_mov_b32_e32 v12, 2
	v_mov_b32_e32 v13, 1
	global_store_dwordx4 v[8:9], v[10:13], off offset:8
.LBB12_280:
	s_or_b64 exec, exec, s[12:13]
	s_lshl_b64 s[8:9], s[10:11], 12
	v_lshl_add_u64 v[6:7], v[6:7], 0, s[8:9]
	s_movk_i32 s8, 0xff1d
	v_and_or_b32 v0, v0, s8, 34
	s_mov_b32 s8, 0
	v_mov_b32_e32 v3, v2
	v_readfirstlane_b32 s12, v6
	v_readfirstlane_b32 s13, v7
	s_mov_b32 s9, s8
	s_mov_b32 s10, s8
	;; [unrolled: 1-line block ×3, first 2 shown]
	s_nop 1
	global_store_dwordx4 v28, v[0:3], s[12:13]
	s_nop 1
	v_mov_b64_e32 v[0:1], s[8:9]
	v_mov_b64_e32 v[2:3], s[10:11]
	global_store_dwordx4 v28, v[0:3], s[12:13] offset:16
	global_store_dwordx4 v28, v[0:3], s[12:13] offset:32
	;; [unrolled: 1-line block ×3, first 2 shown]
	s_and_saveexec_b64 s[8:9], s[0:1]
	s_cbranch_execz .LBB12_288
; %bb.281:
	v_mov_b32_e32 v6, 0
	global_load_dwordx2 v[12:13], v6, s[2:3] offset:32 sc0 sc1
	global_load_dwordx2 v[0:1], v6, s[2:3] offset:40
	v_mov_b32_e32 v10, s6
	v_mov_b32_e32 v11, s7
	s_waitcnt vmcnt(0)
	v_readfirstlane_b32 s10, v0
	v_readfirstlane_b32 s11, v1
	s_and_b64 s[10:11], s[10:11], s[6:7]
	s_mul_i32 s11, s11, 24
	s_mul_hi_u32 s12, s10, 24
	s_mul_i32 s10, s10, 24
	s_add_i32 s11, s12, s11
	v_lshl_add_u64 v[4:5], v[4:5], 0, s[10:11]
	global_store_dwordx2 v[4:5], v[12:13], off
	buffer_wbl2 sc0 sc1
	s_waitcnt vmcnt(0)
	global_atomic_cmpswap_x2 v[2:3], v6, v[10:13], s[2:3] offset:32 sc0 sc1
	s_waitcnt vmcnt(0)
	v_cmp_ne_u64_e32 vcc, v[2:3], v[12:13]
	s_and_saveexec_b64 s[10:11], vcc
	s_cbranch_execz .LBB12_284
; %bb.282:
	s_mov_b64 s[12:13], 0
.LBB12_283:                             ; =>This Inner Loop Header: Depth=1
	s_sleep 1
	global_store_dwordx2 v[4:5], v[2:3], off
	v_mov_b32_e32 v0, s6
	v_mov_b32_e32 v1, s7
	buffer_wbl2 sc0 sc1
	s_waitcnt vmcnt(0)
	global_atomic_cmpswap_x2 v[0:1], v6, v[0:3], s[2:3] offset:32 sc0 sc1
	s_waitcnt vmcnt(0)
	v_cmp_eq_u64_e32 vcc, v[0:1], v[2:3]
	s_or_b64 s[12:13], vcc, s[12:13]
	v_mov_b64_e32 v[2:3], v[0:1]
	s_andn2_b64 exec, exec, s[12:13]
	s_cbranch_execnz .LBB12_283
.LBB12_284:
	s_or_b64 exec, exec, s[10:11]
	v_mov_b32_e32 v3, 0
	global_load_dwordx2 v[0:1], v3, s[2:3] offset:16
	s_mov_b64 s[10:11], exec
	v_mbcnt_lo_u32_b32 v2, s10, 0
	v_mbcnt_hi_u32_b32 v2, s11, v2
	v_cmp_eq_u32_e32 vcc, 0, v2
	s_and_saveexec_b64 s[12:13], vcc
	s_cbranch_execz .LBB12_286
; %bb.285:
	s_bcnt1_i32_b64 s10, s[10:11]
	v_mov_b32_e32 v2, s10
	buffer_wbl2 sc0 sc1
	s_waitcnt vmcnt(0)
	global_atomic_add_x2 v[0:1], v[2:3], off offset:8 sc1
.LBB12_286:
	s_or_b64 exec, exec, s[12:13]
	s_waitcnt vmcnt(0)
	global_load_dwordx2 v[2:3], v[0:1], off offset:16
	s_waitcnt vmcnt(0)
	v_cmp_eq_u64_e32 vcc, 0, v[2:3]
	s_cbranch_vccnz .LBB12_288
; %bb.287:
	global_load_dword v0, v[0:1], off offset:24
	v_mov_b32_e32 v1, 0
	buffer_wbl2 sc0 sc1
	s_waitcnt vmcnt(0)
	global_store_dwordx2 v[2:3], v[0:1], off sc0 sc1
	v_and_b32_e32 v0, 0xffffff, v0
	s_nop 0
	v_readfirstlane_b32 m0, v0
	s_sendmsg sendmsg(MSG_INTERRUPT)
.LBB12_288:
	s_or_b64 exec, exec, s[8:9]
	s_branch .LBB12_292
.LBB12_289:                             ;   in Loop: Header=BB12_292 Depth=1
	s_or_b64 exec, exec, s[8:9]
	v_readfirstlane_b32 s8, v0
	s_cmp_eq_u32 s8, 0
	s_cbranch_scc1 .LBB12_291
; %bb.290:                              ;   in Loop: Header=BB12_292 Depth=1
	s_sleep 1
	s_cbranch_execnz .LBB12_292
	s_branch .LBB12_294
.LBB12_291:
	s_branch .LBB12_294
.LBB12_292:                             ; =>This Inner Loop Header: Depth=1
	v_mov_b32_e32 v0, 1
	s_and_saveexec_b64 s[8:9], s[0:1]
	s_cbranch_execz .LBB12_289
; %bb.293:                              ;   in Loop: Header=BB12_292 Depth=1
	global_load_dword v0, v[8:9], off offset:20 sc0 sc1
	s_waitcnt vmcnt(0)
	buffer_inv sc0 sc1
	v_and_b32_e32 v0, 1, v0
	s_branch .LBB12_289
.LBB12_294:
	s_and_saveexec_b64 s[8:9], s[0:1]
	s_cbranch_execz .LBB12_297
; %bb.295:
	v_mov_b32_e32 v6, 0
	global_load_dwordx2 v[4:5], v6, s[2:3] offset:40
	global_load_dwordx2 v[8:9], v6, s[2:3] offset:24 sc0 sc1
	global_load_dwordx2 v[10:11], v6, s[2:3]
	s_mov_b64 s[0:1], 0
	s_waitcnt vmcnt(2)
	v_lshl_add_u64 v[0:1], v[4:5], 0, 1
	v_lshl_add_u64 v[12:13], v[0:1], 0, s[6:7]
	v_cmp_eq_u64_e32 vcc, 0, v[12:13]
	s_waitcnt vmcnt(1)
	v_mov_b32_e32 v2, v8
	v_cndmask_b32_e32 v1, v13, v1, vcc
	v_cndmask_b32_e32 v0, v12, v0, vcc
	v_and_b32_e32 v3, v1, v5
	v_and_b32_e32 v4, v0, v4
	v_mul_lo_u32 v3, v3, 24
	v_mul_hi_u32 v5, v4, 24
	v_mul_lo_u32 v4, v4, 24
	v_add_u32_e32 v5, v5, v3
	s_waitcnt vmcnt(0)
	v_lshl_add_u64 v[4:5], v[10:11], 0, v[4:5]
	global_store_dwordx2 v[4:5], v[8:9], off
	v_mov_b32_e32 v3, v9
	buffer_wbl2 sc0 sc1
	s_waitcnt vmcnt(0)
	global_atomic_cmpswap_x2 v[2:3], v6, v[0:3], s[2:3] offset:24 sc0 sc1
	s_waitcnt vmcnt(0)
	v_cmp_ne_u64_e32 vcc, v[2:3], v[8:9]
	s_and_b64 exec, exec, vcc
	s_cbranch_execz .LBB12_297
.LBB12_296:                             ; =>This Inner Loop Header: Depth=1
	s_sleep 1
	global_store_dwordx2 v[4:5], v[2:3], off
	buffer_wbl2 sc0 sc1
	s_waitcnt vmcnt(0)
	global_atomic_cmpswap_x2 v[8:9], v6, v[0:3], s[2:3] offset:24 sc0 sc1
	s_waitcnt vmcnt(0)
	v_cmp_eq_u64_e32 vcc, v[8:9], v[2:3]
	s_or_b64 s[0:1], vcc, s[0:1]
	v_mov_b64_e32 v[2:3], v[8:9]
	s_andn2_b64 exec, exec, s[0:1]
	s_cbranch_execnz .LBB12_296
.LBB12_297:
	s_or_b64 exec, exec, s[8:9]
.LBB12_298:
	v_readfirstlane_b32 s0, v36
	s_waitcnt vmcnt(0)
	v_mov_b64_e32 v[4:5], 0
	v_cmp_eq_u32_e64 s[0:1], s0, v36
	s_and_saveexec_b64 s[6:7], s[0:1]
	s_cbranch_execz .LBB12_304
; %bb.299:
	v_mov_b32_e32 v0, 0
	global_load_dwordx2 v[6:7], v0, s[2:3] offset:24 sc0 sc1
	s_waitcnt vmcnt(0)
	buffer_inv sc0 sc1
	global_load_dwordx2 v[2:3], v0, s[2:3] offset:40
	global_load_dwordx2 v[4:5], v0, s[2:3]
	s_waitcnt vmcnt(1)
	v_and_b32_e32 v1, v2, v6
	v_and_b32_e32 v2, v3, v7
	v_mul_lo_u32 v2, v2, 24
	v_mul_hi_u32 v3, v1, 24
	v_add_u32_e32 v3, v3, v2
	v_mul_lo_u32 v2, v1, 24
	s_waitcnt vmcnt(0)
	v_lshl_add_u64 v[2:3], v[4:5], 0, v[2:3]
	global_load_dwordx2 v[4:5], v[2:3], off sc0 sc1
	s_waitcnt vmcnt(0)
	global_atomic_cmpswap_x2 v[4:5], v0, v[4:7], s[2:3] offset:24 sc0 sc1
	s_waitcnt vmcnt(0)
	buffer_inv sc0 sc1
	v_cmp_ne_u64_e32 vcc, v[4:5], v[6:7]
	s_and_saveexec_b64 s[8:9], vcc
	s_cbranch_execz .LBB12_303
; %bb.300:
	s_mov_b64 s[10:11], 0
.LBB12_301:                             ; =>This Inner Loop Header: Depth=1
	s_sleep 1
	global_load_dwordx2 v[2:3], v0, s[2:3] offset:40
	global_load_dwordx2 v[8:9], v0, s[2:3]
	v_mov_b64_e32 v[6:7], v[4:5]
	s_waitcnt vmcnt(1)
	v_and_b32_e32 v2, v2, v6
	v_and_b32_e32 v1, v3, v7
	s_waitcnt vmcnt(0)
	v_mad_u64_u32 v[2:3], s[12:13], v2, 24, v[8:9]
	v_mov_b32_e32 v4, v3
	v_mad_u64_u32 v[4:5], s[12:13], v1, 24, v[4:5]
	v_mov_b32_e32 v3, v4
	global_load_dwordx2 v[4:5], v[2:3], off sc0 sc1
	s_waitcnt vmcnt(0)
	global_atomic_cmpswap_x2 v[4:5], v0, v[4:7], s[2:3] offset:24 sc0 sc1
	s_waitcnt vmcnt(0)
	buffer_inv sc0 sc1
	v_cmp_eq_u64_e32 vcc, v[4:5], v[6:7]
	s_or_b64 s[10:11], vcc, s[10:11]
	s_andn2_b64 exec, exec, s[10:11]
	s_cbranch_execnz .LBB12_301
; %bb.302:
	s_or_b64 exec, exec, s[10:11]
.LBB12_303:
	s_or_b64 exec, exec, s[8:9]
.LBB12_304:
	s_or_b64 exec, exec, s[6:7]
	v_mov_b32_e32 v29, 0
	global_load_dwordx2 v[6:7], v29, s[2:3] offset:40
	global_load_dwordx4 v[0:3], v29, s[2:3]
	v_readfirstlane_b32 s6, v4
	v_readfirstlane_b32 s7, v5
	s_mov_b64 s[8:9], exec
	s_waitcnt vmcnt(1)
	v_readfirstlane_b32 s10, v6
	v_readfirstlane_b32 s11, v7
	s_and_b64 s[10:11], s[6:7], s[10:11]
	s_mul_i32 s12, s11, 24
	s_mul_hi_u32 s13, s10, 24
	s_add_i32 s13, s13, s12
	s_mul_i32 s12, s10, 24
	s_waitcnt vmcnt(0)
	v_lshl_add_u64 v[4:5], v[0:1], 0, s[12:13]
	s_and_saveexec_b64 s[12:13], s[0:1]
	s_cbranch_execz .LBB12_306
; %bb.305:
	v_mov_b64_e32 v[6:7], s[8:9]
	v_mov_b32_e32 v8, 2
	v_mov_b32_e32 v9, 1
	global_store_dwordx4 v[4:5], v[6:9], off offset:8
.LBB12_306:
	s_or_b64 exec, exec, s[12:13]
	s_lshl_b64 s[8:9], s[10:11], 12
	v_lshl_add_u64 v[6:7], v[2:3], 0, s[8:9]
	s_mov_b32 s8, 0
	v_mov_b32_e32 v8, 33
	v_mov_b32_e32 v9, v29
	v_mov_b32_e32 v10, v29
	v_mov_b32_e32 v11, v29
	v_readfirstlane_b32 s12, v6
	v_readfirstlane_b32 s13, v7
	s_mov_b32 s9, s8
	s_mov_b32 s10, s8
	;; [unrolled: 1-line block ×3, first 2 shown]
	s_nop 1
	global_store_dwordx4 v28, v[8:11], s[12:13]
	s_nop 1
	v_mov_b64_e32 v[8:9], s[8:9]
	v_mov_b64_e32 v[10:11], s[10:11]
	global_store_dwordx4 v28, v[8:11], s[12:13] offset:16
	global_store_dwordx4 v28, v[8:11], s[12:13] offset:32
	;; [unrolled: 1-line block ×3, first 2 shown]
	s_and_saveexec_b64 s[8:9], s[0:1]
	s_cbranch_execz .LBB12_314
; %bb.307:
	v_mov_b32_e32 v10, 0
	global_load_dwordx2 v[14:15], v10, s[2:3] offset:32 sc0 sc1
	global_load_dwordx2 v[2:3], v10, s[2:3] offset:40
	v_mov_b32_e32 v12, s6
	v_mov_b32_e32 v13, s7
	s_waitcnt vmcnt(0)
	v_readfirstlane_b32 s10, v2
	v_readfirstlane_b32 s11, v3
	s_and_b64 s[10:11], s[10:11], s[6:7]
	s_mul_i32 s11, s11, 24
	s_mul_hi_u32 s12, s10, 24
	s_mul_i32 s10, s10, 24
	s_add_i32 s11, s12, s11
	v_lshl_add_u64 v[8:9], v[0:1], 0, s[10:11]
	global_store_dwordx2 v[8:9], v[14:15], off
	buffer_wbl2 sc0 sc1
	s_waitcnt vmcnt(0)
	global_atomic_cmpswap_x2 v[2:3], v10, v[12:15], s[2:3] offset:32 sc0 sc1
	s_waitcnt vmcnt(0)
	v_cmp_ne_u64_e32 vcc, v[2:3], v[14:15]
	s_and_saveexec_b64 s[10:11], vcc
	s_cbranch_execz .LBB12_310
; %bb.308:
	s_mov_b64 s[12:13], 0
.LBB12_309:                             ; =>This Inner Loop Header: Depth=1
	s_sleep 1
	global_store_dwordx2 v[8:9], v[2:3], off
	v_mov_b32_e32 v0, s6
	v_mov_b32_e32 v1, s7
	buffer_wbl2 sc0 sc1
	s_waitcnt vmcnt(0)
	global_atomic_cmpswap_x2 v[0:1], v10, v[0:3], s[2:3] offset:32 sc0 sc1
	s_waitcnt vmcnt(0)
	v_cmp_eq_u64_e32 vcc, v[0:1], v[2:3]
	s_or_b64 s[12:13], vcc, s[12:13]
	v_mov_b64_e32 v[2:3], v[0:1]
	s_andn2_b64 exec, exec, s[12:13]
	s_cbranch_execnz .LBB12_309
.LBB12_310:
	s_or_b64 exec, exec, s[10:11]
	v_mov_b32_e32 v3, 0
	global_load_dwordx2 v[0:1], v3, s[2:3] offset:16
	s_mov_b64 s[10:11], exec
	v_mbcnt_lo_u32_b32 v2, s10, 0
	v_mbcnt_hi_u32_b32 v2, s11, v2
	v_cmp_eq_u32_e32 vcc, 0, v2
	s_and_saveexec_b64 s[12:13], vcc
	s_cbranch_execz .LBB12_312
; %bb.311:
	s_bcnt1_i32_b64 s10, s[10:11]
	v_mov_b32_e32 v2, s10
	buffer_wbl2 sc0 sc1
	s_waitcnt vmcnt(0)
	global_atomic_add_x2 v[0:1], v[2:3], off offset:8 sc1
.LBB12_312:
	s_or_b64 exec, exec, s[12:13]
	s_waitcnt vmcnt(0)
	global_load_dwordx2 v[2:3], v[0:1], off offset:16
	s_waitcnt vmcnt(0)
	v_cmp_eq_u64_e32 vcc, 0, v[2:3]
	s_cbranch_vccnz .LBB12_314
; %bb.313:
	global_load_dword v0, v[0:1], off offset:24
	v_mov_b32_e32 v1, 0
	buffer_wbl2 sc0 sc1
	s_waitcnt vmcnt(0)
	global_store_dwordx2 v[2:3], v[0:1], off sc0 sc1
	v_and_b32_e32 v0, 0xffffff, v0
	s_nop 0
	v_readfirstlane_b32 m0, v0
	s_sendmsg sendmsg(MSG_INTERRUPT)
.LBB12_314:
	s_or_b64 exec, exec, s[8:9]
	v_lshl_add_u64 v[0:1], v[6:7], 0, v[28:29]
	s_branch .LBB12_318
.LBB12_315:                             ;   in Loop: Header=BB12_318 Depth=1
	s_or_b64 exec, exec, s[8:9]
	v_readfirstlane_b32 s8, v2
	s_cmp_eq_u32 s8, 0
	s_cbranch_scc1 .LBB12_317
; %bb.316:                              ;   in Loop: Header=BB12_318 Depth=1
	s_sleep 1
	s_cbranch_execnz .LBB12_318
	s_branch .LBB12_320
.LBB12_317:
	s_branch .LBB12_320
.LBB12_318:                             ; =>This Inner Loop Header: Depth=1
	v_mov_b32_e32 v2, 1
	s_and_saveexec_b64 s[8:9], s[0:1]
	s_cbranch_execz .LBB12_315
; %bb.319:                              ;   in Loop: Header=BB12_318 Depth=1
	global_load_dword v2, v[4:5], off offset:20 sc0 sc1
	s_waitcnt vmcnt(0)
	buffer_inv sc0 sc1
	v_and_b32_e32 v2, 1, v2
	s_branch .LBB12_315
.LBB12_320:
	global_load_dwordx2 v[0:1], v[0:1], off
	s_and_saveexec_b64 s[8:9], s[0:1]
	s_cbranch_execz .LBB12_323
; %bb.321:
	v_mov_b32_e32 v8, 0
	global_load_dwordx2 v[6:7], v8, s[2:3] offset:40
	global_load_dwordx2 v[10:11], v8, s[2:3] offset:24 sc0 sc1
	global_load_dwordx2 v[12:13], v8, s[2:3]
	s_mov_b64 s[0:1], 0
	s_waitcnt vmcnt(2)
	v_lshl_add_u64 v[2:3], v[6:7], 0, 1
	v_lshl_add_u64 v[14:15], v[2:3], 0, s[6:7]
	v_cmp_eq_u64_e32 vcc, 0, v[14:15]
	s_waitcnt vmcnt(1)
	v_mov_b32_e32 v4, v10
	v_cndmask_b32_e32 v3, v15, v3, vcc
	v_cndmask_b32_e32 v2, v14, v2, vcc
	v_and_b32_e32 v5, v3, v7
	v_and_b32_e32 v6, v2, v6
	v_mul_lo_u32 v5, v5, 24
	v_mul_hi_u32 v7, v6, 24
	v_mul_lo_u32 v6, v6, 24
	v_add_u32_e32 v7, v7, v5
	s_waitcnt vmcnt(0)
	v_lshl_add_u64 v[6:7], v[12:13], 0, v[6:7]
	global_store_dwordx2 v[6:7], v[10:11], off
	v_mov_b32_e32 v5, v11
	buffer_wbl2 sc0 sc1
	s_waitcnt vmcnt(0)
	global_atomic_cmpswap_x2 v[4:5], v8, v[2:5], s[2:3] offset:24 sc0 sc1
	s_waitcnt vmcnt(0)
	v_cmp_ne_u64_e32 vcc, v[4:5], v[10:11]
	s_and_b64 exec, exec, vcc
	s_cbranch_execz .LBB12_323
.LBB12_322:                             ; =>This Inner Loop Header: Depth=1
	s_sleep 1
	global_store_dwordx2 v[6:7], v[4:5], off
	buffer_wbl2 sc0 sc1
	s_waitcnt vmcnt(0)
	global_atomic_cmpswap_x2 v[10:11], v8, v[2:5], s[2:3] offset:24 sc0 sc1
	s_waitcnt vmcnt(0)
	v_cmp_eq_u64_e32 vcc, v[10:11], v[4:5]
	s_or_b64 s[0:1], vcc, s[0:1]
	v_mov_b64_e32 v[4:5], v[10:11]
	s_andn2_b64 exec, exec, s[0:1]
	s_cbranch_execnz .LBB12_322
.LBB12_323:
	s_or_b64 exec, exec, s[8:9]
	s_getpc_b64 s[8:9]
	s_add_u32 s8, s8, .str.6@rel32@lo+4
	s_addc_u32 s9, s9, .str.6@rel32@hi+12
	s_cmp_lg_u64 s[8:9], 0
	s_cselect_b64 s[6:7], -1, 0
	s_and_b64 vcc, exec, s[6:7]
	s_cbranch_vccz .LBB12_408
; %bb.324:
	s_waitcnt vmcnt(0)
	v_and_b32_e32 v30, 2, v0
	v_mov_b32_e32 v33, 0
	v_and_b32_e32 v2, -3, v0
	v_mov_b32_e32 v3, v1
	s_mov_b64 s[10:11], 3
	v_mov_b32_e32 v6, 2
	v_mov_b32_e32 v7, 1
	s_branch .LBB12_326
.LBB12_325:                             ;   in Loop: Header=BB12_326 Depth=1
	s_or_b64 exec, exec, s[16:17]
	s_sub_u32 s10, s10, s12
	s_subb_u32 s11, s11, s13
	s_add_u32 s8, s8, s12
	s_addc_u32 s9, s9, s13
	s_cmp_lg_u64 s[10:11], 0
	s_cbranch_scc0 .LBB12_407
.LBB12_326:                             ; =>This Loop Header: Depth=1
                                        ;     Child Loop BB12_329 Depth 2
                                        ;     Child Loop BB12_336 Depth 2
                                        ;     Child Loop BB12_344 Depth 2
                                        ;     Child Loop BB12_352 Depth 2
                                        ;     Child Loop BB12_360 Depth 2
                                        ;     Child Loop BB12_368 Depth 2
                                        ;     Child Loop BB12_376 Depth 2
                                        ;     Child Loop BB12_384 Depth 2
                                        ;     Child Loop BB12_392 Depth 2
                                        ;     Child Loop BB12_401 Depth 2
                                        ;     Child Loop BB12_406 Depth 2
	v_cmp_lt_u64_e64 s[0:1], s[10:11], 56
	s_and_b64 s[0:1], s[0:1], exec
	v_cmp_gt_u64_e64 s[0:1], s[10:11], 7
	s_cselect_b32 s13, s11, 0
	s_cselect_b32 s12, s10, 56
	s_and_b64 vcc, exec, s[0:1]
	s_cbranch_vccnz .LBB12_331
; %bb.327:                              ;   in Loop: Header=BB12_326 Depth=1
	s_mov_b64 s[0:1], 0
	s_cmp_eq_u64 s[10:11], 0
	v_mov_b64_e32 v[10:11], 0
	s_cbranch_scc1 .LBB12_330
; %bb.328:                              ;   in Loop: Header=BB12_326 Depth=1
	s_lshl_b64 s[14:15], s[12:13], 3
	s_mov_b64 s[16:17], 0
	v_mov_b64_e32 v[10:11], 0
	s_mov_b64 s[18:19], s[8:9]
.LBB12_329:                             ;   Parent Loop BB12_326 Depth=1
                                        ; =>  This Inner Loop Header: Depth=2
	global_load_ubyte v4, v33, s[18:19]
	s_waitcnt vmcnt(0)
	v_and_b32_e32 v32, 0xffff, v4
	v_lshlrev_b64 v[4:5], s16, v[32:33]
	s_add_u32 s16, s16, 8
	s_addc_u32 s17, s17, 0
	s_add_u32 s18, s18, 1
	s_addc_u32 s19, s19, 0
	v_or_b32_e32 v10, v4, v10
	s_cmp_lg_u32 s14, s16
	v_or_b32_e32 v11, v5, v11
	s_cbranch_scc1 .LBB12_329
.LBB12_330:                             ;   in Loop: Header=BB12_326 Depth=1
	s_mov_b32 s18, 0
	s_andn2_b64 vcc, exec, s[0:1]
	s_mov_b64 s[0:1], s[8:9]
	s_cbranch_vccz .LBB12_332
	s_branch .LBB12_333
.LBB12_331:                             ;   in Loop: Header=BB12_326 Depth=1
                                        ; implicit-def: $vgpr10_vgpr11
                                        ; implicit-def: $sgpr18
	s_mov_b64 s[0:1], s[8:9]
.LBB12_332:                             ;   in Loop: Header=BB12_326 Depth=1
	global_load_dwordx2 v[10:11], v33, s[8:9]
	s_add_i32 s18, s12, -8
	s_add_u32 s0, s8, 8
	s_addc_u32 s1, s9, 0
.LBB12_333:                             ;   in Loop: Header=BB12_326 Depth=1
	s_cmp_gt_u32 s18, 7
	s_cbranch_scc1 .LBB12_337
; %bb.334:                              ;   in Loop: Header=BB12_326 Depth=1
	s_cmp_eq_u32 s18, 0
	s_cbranch_scc1 .LBB12_338
; %bb.335:                              ;   in Loop: Header=BB12_326 Depth=1
	s_mov_b64 s[14:15], 0
	v_mov_b64_e32 v[12:13], 0
	s_mov_b64 s[16:17], 0
.LBB12_336:                             ;   Parent Loop BB12_326 Depth=1
                                        ; =>  This Inner Loop Header: Depth=2
	s_add_u32 s20, s0, s16
	s_addc_u32 s21, s1, s17
	global_load_ubyte v4, v33, s[20:21]
	s_add_u32 s16, s16, 1
	s_addc_u32 s17, s17, 0
	s_waitcnt vmcnt(0)
	v_and_b32_e32 v32, 0xffff, v4
	v_lshlrev_b64 v[4:5], s14, v[32:33]
	s_add_u32 s14, s14, 8
	s_addc_u32 s15, s15, 0
	v_or_b32_e32 v12, v4, v12
	s_cmp_lg_u32 s18, s16
	v_or_b32_e32 v13, v5, v13
	s_cbranch_scc1 .LBB12_336
	s_branch .LBB12_339
.LBB12_337:                             ;   in Loop: Header=BB12_326 Depth=1
                                        ; implicit-def: $vgpr12_vgpr13
                                        ; implicit-def: $sgpr19
	s_branch .LBB12_340
.LBB12_338:                             ;   in Loop: Header=BB12_326 Depth=1
	v_mov_b64_e32 v[12:13], 0
.LBB12_339:                             ;   in Loop: Header=BB12_326 Depth=1
	s_mov_b32 s19, 0
	s_cbranch_execnz .LBB12_341
.LBB12_340:                             ;   in Loop: Header=BB12_326 Depth=1
	global_load_dwordx2 v[12:13], v33, s[0:1]
	s_add_i32 s19, s18, -8
	s_add_u32 s0, s0, 8
	s_addc_u32 s1, s1, 0
.LBB12_341:                             ;   in Loop: Header=BB12_326 Depth=1
	s_cmp_gt_u32 s19, 7
	s_cbranch_scc1 .LBB12_345
; %bb.342:                              ;   in Loop: Header=BB12_326 Depth=1
	s_cmp_eq_u32 s19, 0
	s_cbranch_scc1 .LBB12_346
; %bb.343:                              ;   in Loop: Header=BB12_326 Depth=1
	s_mov_b64 s[14:15], 0
	v_mov_b64_e32 v[14:15], 0
	s_mov_b64 s[16:17], 0
.LBB12_344:                             ;   Parent Loop BB12_326 Depth=1
                                        ; =>  This Inner Loop Header: Depth=2
	s_add_u32 s20, s0, s16
	s_addc_u32 s21, s1, s17
	global_load_ubyte v4, v33, s[20:21]
	s_add_u32 s16, s16, 1
	s_addc_u32 s17, s17, 0
	s_waitcnt vmcnt(0)
	v_and_b32_e32 v32, 0xffff, v4
	v_lshlrev_b64 v[4:5], s14, v[32:33]
	s_add_u32 s14, s14, 8
	s_addc_u32 s15, s15, 0
	v_or_b32_e32 v14, v4, v14
	s_cmp_lg_u32 s19, s16
	v_or_b32_e32 v15, v5, v15
	s_cbranch_scc1 .LBB12_344
	s_branch .LBB12_347
.LBB12_345:                             ;   in Loop: Header=BB12_326 Depth=1
                                        ; implicit-def: $sgpr18
	s_branch .LBB12_348
.LBB12_346:                             ;   in Loop: Header=BB12_326 Depth=1
	v_mov_b64_e32 v[14:15], 0
.LBB12_347:                             ;   in Loop: Header=BB12_326 Depth=1
	s_mov_b32 s18, 0
	s_cbranch_execnz .LBB12_349
.LBB12_348:                             ;   in Loop: Header=BB12_326 Depth=1
	global_load_dwordx2 v[14:15], v33, s[0:1]
	s_add_i32 s18, s19, -8
	s_add_u32 s0, s0, 8
	s_addc_u32 s1, s1, 0
.LBB12_349:                             ;   in Loop: Header=BB12_326 Depth=1
	s_cmp_gt_u32 s18, 7
	s_cbranch_scc1 .LBB12_353
; %bb.350:                              ;   in Loop: Header=BB12_326 Depth=1
	s_cmp_eq_u32 s18, 0
	s_cbranch_scc1 .LBB12_354
; %bb.351:                              ;   in Loop: Header=BB12_326 Depth=1
	s_mov_b64 s[14:15], 0
	v_mov_b64_e32 v[16:17], 0
	s_mov_b64 s[16:17], 0
.LBB12_352:                             ;   Parent Loop BB12_326 Depth=1
                                        ; =>  This Inner Loop Header: Depth=2
	s_add_u32 s20, s0, s16
	s_addc_u32 s21, s1, s17
	global_load_ubyte v4, v33, s[20:21]
	s_add_u32 s16, s16, 1
	s_addc_u32 s17, s17, 0
	s_waitcnt vmcnt(0)
	v_and_b32_e32 v32, 0xffff, v4
	v_lshlrev_b64 v[4:5], s14, v[32:33]
	s_add_u32 s14, s14, 8
	s_addc_u32 s15, s15, 0
	v_or_b32_e32 v16, v4, v16
	s_cmp_lg_u32 s18, s16
	v_or_b32_e32 v17, v5, v17
	s_cbranch_scc1 .LBB12_352
	s_branch .LBB12_355
.LBB12_353:                             ;   in Loop: Header=BB12_326 Depth=1
                                        ; implicit-def: $vgpr16_vgpr17
                                        ; implicit-def: $sgpr19
	s_branch .LBB12_356
.LBB12_354:                             ;   in Loop: Header=BB12_326 Depth=1
	v_mov_b64_e32 v[16:17], 0
.LBB12_355:                             ;   in Loop: Header=BB12_326 Depth=1
	s_mov_b32 s19, 0
	s_cbranch_execnz .LBB12_357
.LBB12_356:                             ;   in Loop: Header=BB12_326 Depth=1
	global_load_dwordx2 v[16:17], v33, s[0:1]
	s_add_i32 s19, s18, -8
	s_add_u32 s0, s0, 8
	s_addc_u32 s1, s1, 0
.LBB12_357:                             ;   in Loop: Header=BB12_326 Depth=1
	s_cmp_gt_u32 s19, 7
	s_cbranch_scc1 .LBB12_361
; %bb.358:                              ;   in Loop: Header=BB12_326 Depth=1
	s_cmp_eq_u32 s19, 0
	s_cbranch_scc1 .LBB12_362
; %bb.359:                              ;   in Loop: Header=BB12_326 Depth=1
	s_mov_b64 s[14:15], 0
	v_mov_b64_e32 v[18:19], 0
	s_mov_b64 s[16:17], 0
.LBB12_360:                             ;   Parent Loop BB12_326 Depth=1
                                        ; =>  This Inner Loop Header: Depth=2
	s_add_u32 s20, s0, s16
	s_addc_u32 s21, s1, s17
	global_load_ubyte v4, v33, s[20:21]
	s_add_u32 s16, s16, 1
	s_addc_u32 s17, s17, 0
	s_waitcnt vmcnt(0)
	v_and_b32_e32 v32, 0xffff, v4
	v_lshlrev_b64 v[4:5], s14, v[32:33]
	s_add_u32 s14, s14, 8
	s_addc_u32 s15, s15, 0
	v_or_b32_e32 v18, v4, v18
	s_cmp_lg_u32 s19, s16
	v_or_b32_e32 v19, v5, v19
	s_cbranch_scc1 .LBB12_360
	s_branch .LBB12_363
.LBB12_361:                             ;   in Loop: Header=BB12_326 Depth=1
                                        ; implicit-def: $sgpr18
	s_branch .LBB12_364
.LBB12_362:                             ;   in Loop: Header=BB12_326 Depth=1
	v_mov_b64_e32 v[18:19], 0
.LBB12_363:                             ;   in Loop: Header=BB12_326 Depth=1
	s_mov_b32 s18, 0
	s_cbranch_execnz .LBB12_365
.LBB12_364:                             ;   in Loop: Header=BB12_326 Depth=1
	global_load_dwordx2 v[18:19], v33, s[0:1]
	s_add_i32 s18, s19, -8
	s_add_u32 s0, s0, 8
	s_addc_u32 s1, s1, 0
.LBB12_365:                             ;   in Loop: Header=BB12_326 Depth=1
	s_cmp_gt_u32 s18, 7
	s_cbranch_scc1 .LBB12_369
; %bb.366:                              ;   in Loop: Header=BB12_326 Depth=1
	s_cmp_eq_u32 s18, 0
	s_cbranch_scc1 .LBB12_370
; %bb.367:                              ;   in Loop: Header=BB12_326 Depth=1
	s_mov_b64 s[14:15], 0
	v_mov_b64_e32 v[20:21], 0
	s_mov_b64 s[16:17], 0
.LBB12_368:                             ;   Parent Loop BB12_326 Depth=1
                                        ; =>  This Inner Loop Header: Depth=2
	s_add_u32 s20, s0, s16
	s_addc_u32 s21, s1, s17
	global_load_ubyte v4, v33, s[20:21]
	s_add_u32 s16, s16, 1
	s_addc_u32 s17, s17, 0
	s_waitcnt vmcnt(0)
	v_and_b32_e32 v32, 0xffff, v4
	v_lshlrev_b64 v[4:5], s14, v[32:33]
	s_add_u32 s14, s14, 8
	s_addc_u32 s15, s15, 0
	v_or_b32_e32 v20, v4, v20
	s_cmp_lg_u32 s18, s16
	v_or_b32_e32 v21, v5, v21
	s_cbranch_scc1 .LBB12_368
	s_branch .LBB12_371
.LBB12_369:                             ;   in Loop: Header=BB12_326 Depth=1
                                        ; implicit-def: $vgpr20_vgpr21
                                        ; implicit-def: $sgpr19
	s_branch .LBB12_372
.LBB12_370:                             ;   in Loop: Header=BB12_326 Depth=1
	v_mov_b64_e32 v[20:21], 0
.LBB12_371:                             ;   in Loop: Header=BB12_326 Depth=1
	s_mov_b32 s19, 0
	s_cbranch_execnz .LBB12_373
.LBB12_372:                             ;   in Loop: Header=BB12_326 Depth=1
	global_load_dwordx2 v[20:21], v33, s[0:1]
	s_add_i32 s19, s18, -8
	s_add_u32 s0, s0, 8
	s_addc_u32 s1, s1, 0
.LBB12_373:                             ;   in Loop: Header=BB12_326 Depth=1
	s_cmp_gt_u32 s19, 7
	s_cbranch_scc1 .LBB12_377
; %bb.374:                              ;   in Loop: Header=BB12_326 Depth=1
	s_cmp_eq_u32 s19, 0
	s_cbranch_scc1 .LBB12_378
; %bb.375:                              ;   in Loop: Header=BB12_326 Depth=1
	s_mov_b64 s[14:15], 0
	v_mov_b64_e32 v[22:23], 0
	s_mov_b64 s[16:17], s[0:1]
.LBB12_376:                             ;   Parent Loop BB12_326 Depth=1
                                        ; =>  This Inner Loop Header: Depth=2
	global_load_ubyte v4, v33, s[16:17]
	s_add_i32 s19, s19, -1
	s_waitcnt vmcnt(0)
	v_and_b32_e32 v32, 0xffff, v4
	v_lshlrev_b64 v[4:5], s14, v[32:33]
	s_add_u32 s14, s14, 8
	s_addc_u32 s15, s15, 0
	s_add_u32 s16, s16, 1
	s_addc_u32 s17, s17, 0
	v_or_b32_e32 v22, v4, v22
	s_cmp_lg_u32 s19, 0
	v_or_b32_e32 v23, v5, v23
	s_cbranch_scc1 .LBB12_376
	s_branch .LBB12_379
.LBB12_377:                             ;   in Loop: Header=BB12_326 Depth=1
	s_branch .LBB12_380
.LBB12_378:                             ;   in Loop: Header=BB12_326 Depth=1
	v_mov_b64_e32 v[22:23], 0
.LBB12_379:                             ;   in Loop: Header=BB12_326 Depth=1
	s_cbranch_execnz .LBB12_381
.LBB12_380:                             ;   in Loop: Header=BB12_326 Depth=1
	global_load_dwordx2 v[22:23], v33, s[0:1]
.LBB12_381:                             ;   in Loop: Header=BB12_326 Depth=1
	v_readfirstlane_b32 s0, v36
	s_waitcnt vmcnt(0)
	v_mov_b64_e32 v[4:5], 0
	v_cmp_eq_u32_e64 s[0:1], s0, v36
	s_and_saveexec_b64 s[14:15], s[0:1]
	s_cbranch_execz .LBB12_387
; %bb.382:                              ;   in Loop: Header=BB12_326 Depth=1
	global_load_dwordx2 v[26:27], v33, s[2:3] offset:24 sc0 sc1
	s_waitcnt vmcnt(0)
	buffer_inv sc0 sc1
	global_load_dwordx2 v[4:5], v33, s[2:3] offset:40
	global_load_dwordx2 v[8:9], v33, s[2:3]
	s_waitcnt vmcnt(1)
	v_and_b32_e32 v4, v4, v26
	v_and_b32_e32 v5, v5, v27
	v_mul_lo_u32 v5, v5, 24
	v_mul_hi_u32 v24, v4, 24
	v_add_u32_e32 v5, v24, v5
	v_mul_lo_u32 v4, v4, 24
	s_waitcnt vmcnt(0)
	v_lshl_add_u64 v[4:5], v[8:9], 0, v[4:5]
	global_load_dwordx2 v[24:25], v[4:5], off sc0 sc1
	s_waitcnt vmcnt(0)
	global_atomic_cmpswap_x2 v[4:5], v33, v[24:27], s[2:3] offset:24 sc0 sc1
	s_waitcnt vmcnt(0)
	buffer_inv sc0 sc1
	v_cmp_ne_u64_e32 vcc, v[4:5], v[26:27]
	s_and_saveexec_b64 s[16:17], vcc
	s_cbranch_execz .LBB12_386
; %bb.383:                              ;   in Loop: Header=BB12_326 Depth=1
	s_mov_b64 s[18:19], 0
.LBB12_384:                             ;   Parent Loop BB12_326 Depth=1
                                        ; =>  This Inner Loop Header: Depth=2
	s_sleep 1
	global_load_dwordx2 v[8:9], v33, s[2:3] offset:40
	global_load_dwordx2 v[24:25], v33, s[2:3]
	v_mov_b64_e32 v[26:27], v[4:5]
	s_waitcnt vmcnt(1)
	v_and_b32_e32 v4, v8, v26
	s_waitcnt vmcnt(0)
	v_mad_u64_u32 v[4:5], s[20:21], v4, 24, v[24:25]
	v_and_b32_e32 v9, v9, v27
	v_mov_b32_e32 v8, v5
	v_mad_u64_u32 v[8:9], s[20:21], v9, 24, v[8:9]
	v_mov_b32_e32 v5, v8
	global_load_dwordx2 v[24:25], v[4:5], off sc0 sc1
	s_waitcnt vmcnt(0)
	global_atomic_cmpswap_x2 v[4:5], v33, v[24:27], s[2:3] offset:24 sc0 sc1
	s_waitcnt vmcnt(0)
	buffer_inv sc0 sc1
	v_cmp_eq_u64_e32 vcc, v[4:5], v[26:27]
	s_or_b64 s[18:19], vcc, s[18:19]
	s_andn2_b64 exec, exec, s[18:19]
	s_cbranch_execnz .LBB12_384
; %bb.385:                              ;   in Loop: Header=BB12_326 Depth=1
	s_or_b64 exec, exec, s[18:19]
.LBB12_386:                             ;   in Loop: Header=BB12_326 Depth=1
	s_or_b64 exec, exec, s[16:17]
.LBB12_387:                             ;   in Loop: Header=BB12_326 Depth=1
	s_or_b64 exec, exec, s[14:15]
	global_load_dwordx2 v[8:9], v33, s[2:3] offset:40
	global_load_dwordx4 v[24:27], v33, s[2:3]
	v_readfirstlane_b32 s14, v4
	v_readfirstlane_b32 s15, v5
	s_mov_b64 s[16:17], exec
	s_waitcnt vmcnt(1)
	v_readfirstlane_b32 s18, v8
	v_readfirstlane_b32 s19, v9
	s_and_b64 s[18:19], s[14:15], s[18:19]
	s_mul_i32 s20, s19, 24
	s_mul_hi_u32 s21, s18, 24
	s_add_i32 s21, s21, s20
	s_mul_i32 s20, s18, 24
	s_waitcnt vmcnt(0)
	v_lshl_add_u64 v[34:35], v[24:25], 0, s[20:21]
	s_and_saveexec_b64 s[20:21], s[0:1]
	s_cbranch_execz .LBB12_389
; %bb.388:                              ;   in Loop: Header=BB12_326 Depth=1
	v_mov_b64_e32 v[4:5], s[16:17]
	global_store_dwordx4 v[34:35], v[4:7], off offset:8
.LBB12_389:                             ;   in Loop: Header=BB12_326 Depth=1
	s_or_b64 exec, exec, s[20:21]
	s_lshl_b64 s[16:17], s[18:19], 12
	v_lshl_add_u64 v[26:27], v[26:27], 0, s[16:17]
	v_or_b32_e32 v5, v2, v30
	v_cmp_gt_u64_e64 vcc, s[10:11], 56
	s_lshl_b32 s16, s12, 2
	s_add_i32 s16, s16, 28
	v_cndmask_b32_e32 v2, v5, v2, vcc
	v_or_b32_e32 v4, 0, v3
	s_and_b32 s16, s16, 0x1e0
	v_and_b32_e32 v2, 0xffffff1f, v2
	v_cndmask_b32_e32 v9, v4, v3, vcc
	v_or_b32_e32 v8, s16, v2
	v_readfirstlane_b32 s16, v26
	v_readfirstlane_b32 s17, v27
	s_nop 4
	global_store_dwordx4 v28, v[8:11], s[16:17]
	global_store_dwordx4 v28, v[12:15], s[16:17] offset:16
	global_store_dwordx4 v28, v[16:19], s[16:17] offset:32
	;; [unrolled: 1-line block ×3, first 2 shown]
	s_and_saveexec_b64 s[16:17], s[0:1]
	s_cbranch_execz .LBB12_397
; %bb.390:                              ;   in Loop: Header=BB12_326 Depth=1
	global_load_dwordx2 v[12:13], v33, s[2:3] offset:32 sc0 sc1
	global_load_dwordx2 v[2:3], v33, s[2:3] offset:40
	v_mov_b32_e32 v10, s14
	v_mov_b32_e32 v11, s15
	s_waitcnt vmcnt(0)
	v_readfirstlane_b32 s18, v2
	v_readfirstlane_b32 s19, v3
	s_and_b64 s[18:19], s[18:19], s[14:15]
	s_mul_i32 s19, s19, 24
	s_mul_hi_u32 s20, s18, 24
	s_mul_i32 s18, s18, 24
	s_add_i32 s19, s20, s19
	v_lshl_add_u64 v[8:9], v[24:25], 0, s[18:19]
	global_store_dwordx2 v[8:9], v[12:13], off
	buffer_wbl2 sc0 sc1
	s_waitcnt vmcnt(0)
	global_atomic_cmpswap_x2 v[4:5], v33, v[10:13], s[2:3] offset:32 sc0 sc1
	s_waitcnt vmcnt(0)
	v_cmp_ne_u64_e32 vcc, v[4:5], v[12:13]
	s_and_saveexec_b64 s[18:19], vcc
	s_cbranch_execz .LBB12_393
; %bb.391:                              ;   in Loop: Header=BB12_326 Depth=1
	s_mov_b64 s[20:21], 0
.LBB12_392:                             ;   Parent Loop BB12_326 Depth=1
                                        ; =>  This Inner Loop Header: Depth=2
	s_sleep 1
	global_store_dwordx2 v[8:9], v[4:5], off
	v_mov_b32_e32 v2, s14
	v_mov_b32_e32 v3, s15
	buffer_wbl2 sc0 sc1
	s_waitcnt vmcnt(0)
	global_atomic_cmpswap_x2 v[2:3], v33, v[2:5], s[2:3] offset:32 sc0 sc1
	s_waitcnt vmcnt(0)
	v_cmp_eq_u64_e32 vcc, v[2:3], v[4:5]
	s_or_b64 s[20:21], vcc, s[20:21]
	v_mov_b64_e32 v[4:5], v[2:3]
	s_andn2_b64 exec, exec, s[20:21]
	s_cbranch_execnz .LBB12_392
.LBB12_393:                             ;   in Loop: Header=BB12_326 Depth=1
	s_or_b64 exec, exec, s[18:19]
	global_load_dwordx2 v[2:3], v33, s[2:3] offset:16
	s_mov_b64 s[20:21], exec
	v_mbcnt_lo_u32_b32 v4, s20, 0
	v_mbcnt_hi_u32_b32 v4, s21, v4
	v_cmp_eq_u32_e32 vcc, 0, v4
	s_and_saveexec_b64 s[18:19], vcc
	s_cbranch_execz .LBB12_395
; %bb.394:                              ;   in Loop: Header=BB12_326 Depth=1
	s_bcnt1_i32_b64 s20, s[20:21]
	v_mov_b32_e32 v32, s20
	buffer_wbl2 sc0 sc1
	s_waitcnt vmcnt(0)
	global_atomic_add_x2 v[2:3], v[32:33], off offset:8 sc1
.LBB12_395:                             ;   in Loop: Header=BB12_326 Depth=1
	s_or_b64 exec, exec, s[18:19]
	s_waitcnt vmcnt(0)
	global_load_dwordx2 v[4:5], v[2:3], off offset:16
	s_waitcnt vmcnt(0)
	v_cmp_eq_u64_e32 vcc, 0, v[4:5]
	s_cbranch_vccnz .LBB12_397
; %bb.396:                              ;   in Loop: Header=BB12_326 Depth=1
	global_load_dword v32, v[2:3], off offset:24
	s_waitcnt vmcnt(0)
	v_and_b32_e32 v2, 0xffffff, v32
	s_nop 0
	v_readfirstlane_b32 m0, v2
	buffer_wbl2 sc0 sc1
	global_store_dwordx2 v[4:5], v[32:33], off sc0 sc1
	s_sendmsg sendmsg(MSG_INTERRUPT)
.LBB12_397:                             ;   in Loop: Header=BB12_326 Depth=1
	s_or_b64 exec, exec, s[16:17]
	v_mov_b32_e32 v29, v33
	v_lshl_add_u64 v[2:3], v[26:27], 0, v[28:29]
	s_branch .LBB12_401
.LBB12_398:                             ;   in Loop: Header=BB12_401 Depth=2
	s_or_b64 exec, exec, s[16:17]
	v_readfirstlane_b32 s16, v4
	s_cmp_eq_u32 s16, 0
	s_cbranch_scc1 .LBB12_400
; %bb.399:                              ;   in Loop: Header=BB12_401 Depth=2
	s_sleep 1
	s_cbranch_execnz .LBB12_401
	s_branch .LBB12_403
.LBB12_400:                             ;   in Loop: Header=BB12_326 Depth=1
	s_branch .LBB12_403
.LBB12_401:                             ;   Parent Loop BB12_326 Depth=1
                                        ; =>  This Inner Loop Header: Depth=2
	v_mov_b32_e32 v4, 1
	s_and_saveexec_b64 s[16:17], s[0:1]
	s_cbranch_execz .LBB12_398
; %bb.402:                              ;   in Loop: Header=BB12_401 Depth=2
	global_load_dword v4, v[34:35], off offset:20 sc0 sc1
	s_waitcnt vmcnt(0)
	buffer_inv sc0 sc1
	v_and_b32_e32 v4, 1, v4
	s_branch .LBB12_398
.LBB12_403:                             ;   in Loop: Header=BB12_326 Depth=1
	global_load_dwordx4 v[2:5], v[2:3], off
	s_and_saveexec_b64 s[16:17], s[0:1]
	s_cbranch_execz .LBB12_325
; %bb.404:                              ;   in Loop: Header=BB12_326 Depth=1
	global_load_dwordx2 v[4:5], v33, s[2:3] offset:40
	global_load_dwordx2 v[12:13], v33, s[2:3] offset:24 sc0 sc1
	global_load_dwordx2 v[14:15], v33, s[2:3]
	s_waitcnt vmcnt(2)
	v_lshl_add_u64 v[8:9], v[4:5], 0, 1
	v_lshl_add_u64 v[16:17], v[8:9], 0, s[14:15]
	v_cmp_eq_u64_e32 vcc, 0, v[16:17]
	s_waitcnt vmcnt(1)
	v_mov_b32_e32 v10, v12
	v_cndmask_b32_e32 v9, v17, v9, vcc
	v_cndmask_b32_e32 v8, v16, v8, vcc
	v_and_b32_e32 v5, v9, v5
	v_and_b32_e32 v4, v8, v4
	v_mul_lo_u32 v5, v5, 24
	v_mul_hi_u32 v11, v4, 24
	v_mul_lo_u32 v4, v4, 24
	v_add_u32_e32 v5, v11, v5
	s_waitcnt vmcnt(0)
	v_lshl_add_u64 v[4:5], v[14:15], 0, v[4:5]
	global_store_dwordx2 v[4:5], v[12:13], off
	v_mov_b32_e32 v11, v13
	buffer_wbl2 sc0 sc1
	s_waitcnt vmcnt(0)
	global_atomic_cmpswap_x2 v[10:11], v33, v[8:11], s[2:3] offset:24 sc0 sc1
	s_waitcnt vmcnt(0)
	v_cmp_ne_u64_e32 vcc, v[10:11], v[12:13]
	s_and_b64 exec, exec, vcc
	s_cbranch_execz .LBB12_325
; %bb.405:                              ;   in Loop: Header=BB12_326 Depth=1
	s_mov_b64 s[0:1], 0
.LBB12_406:                             ;   Parent Loop BB12_326 Depth=1
                                        ; =>  This Inner Loop Header: Depth=2
	s_sleep 1
	global_store_dwordx2 v[4:5], v[10:11], off
	buffer_wbl2 sc0 sc1
	s_waitcnt vmcnt(0)
	global_atomic_cmpswap_x2 v[12:13], v33, v[8:11], s[2:3] offset:24 sc0 sc1
	s_waitcnt vmcnt(0)
	v_cmp_eq_u64_e32 vcc, v[12:13], v[10:11]
	s_or_b64 s[0:1], vcc, s[0:1]
	v_mov_b64_e32 v[10:11], v[12:13]
	s_andn2_b64 exec, exec, s[0:1]
	s_cbranch_execnz .LBB12_406
	s_branch .LBB12_325
.LBB12_407:
	s_mov_b64 s[0:1], 0
	s_branch .LBB12_409
.LBB12_408:
	s_mov_b64 s[0:1], -1
                                        ; implicit-def: $vgpr2_vgpr3
.LBB12_409:
	s_and_b64 vcc, exec, s[0:1]
	s_cbranch_vccz .LBB12_436
; %bb.410:
	v_readfirstlane_b32 s0, v36
	s_waitcnt vmcnt(0)
	v_mov_b64_e32 v[2:3], 0
	v_cmp_eq_u32_e64 s[0:1], s0, v36
	s_and_saveexec_b64 s[8:9], s[0:1]
	s_cbranch_execz .LBB12_416
; %bb.411:
	v_mov_b32_e32 v4, 0
	global_load_dwordx2 v[8:9], v4, s[2:3] offset:24 sc0 sc1
	s_waitcnt vmcnt(0)
	buffer_inv sc0 sc1
	global_load_dwordx2 v[2:3], v4, s[2:3] offset:40
	global_load_dwordx2 v[6:7], v4, s[2:3]
	s_waitcnt vmcnt(1)
	v_and_b32_e32 v2, v2, v8
	v_and_b32_e32 v3, v3, v9
	v_mul_lo_u32 v3, v3, 24
	v_mul_hi_u32 v5, v2, 24
	v_add_u32_e32 v3, v5, v3
	v_mul_lo_u32 v2, v2, 24
	s_waitcnt vmcnt(0)
	v_lshl_add_u64 v[2:3], v[6:7], 0, v[2:3]
	global_load_dwordx2 v[6:7], v[2:3], off sc0 sc1
	s_waitcnt vmcnt(0)
	global_atomic_cmpswap_x2 v[2:3], v4, v[6:9], s[2:3] offset:24 sc0 sc1
	s_waitcnt vmcnt(0)
	buffer_inv sc0 sc1
	v_cmp_ne_u64_e32 vcc, v[2:3], v[8:9]
	s_and_saveexec_b64 s[10:11], vcc
	s_cbranch_execz .LBB12_415
; %bb.412:
	s_mov_b64 s[12:13], 0
.LBB12_413:                             ; =>This Inner Loop Header: Depth=1
	s_sleep 1
	global_load_dwordx2 v[6:7], v4, s[2:3] offset:40
	global_load_dwordx2 v[10:11], v4, s[2:3]
	v_mov_b64_e32 v[8:9], v[2:3]
	s_waitcnt vmcnt(1)
	v_and_b32_e32 v2, v6, v8
	s_waitcnt vmcnt(0)
	v_mad_u64_u32 v[2:3], s[14:15], v2, 24, v[10:11]
	v_and_b32_e32 v5, v7, v9
	v_mov_b32_e32 v6, v3
	v_mad_u64_u32 v[6:7], s[14:15], v5, 24, v[6:7]
	v_mov_b32_e32 v3, v6
	global_load_dwordx2 v[6:7], v[2:3], off sc0 sc1
	s_waitcnt vmcnt(0)
	global_atomic_cmpswap_x2 v[2:3], v4, v[6:9], s[2:3] offset:24 sc0 sc1
	s_waitcnt vmcnt(0)
	buffer_inv sc0 sc1
	v_cmp_eq_u64_e32 vcc, v[2:3], v[8:9]
	s_or_b64 s[12:13], vcc, s[12:13]
	s_andn2_b64 exec, exec, s[12:13]
	s_cbranch_execnz .LBB12_413
; %bb.414:
	s_or_b64 exec, exec, s[12:13]
.LBB12_415:
	s_or_b64 exec, exec, s[10:11]
.LBB12_416:
	s_or_b64 exec, exec, s[8:9]
	v_mov_b32_e32 v29, 0
	global_load_dwordx2 v[8:9], v29, s[2:3] offset:40
	global_load_dwordx4 v[4:7], v29, s[2:3]
	v_readfirstlane_b32 s8, v2
	v_readfirstlane_b32 s9, v3
	s_mov_b64 s[10:11], exec
	s_waitcnt vmcnt(1)
	v_readfirstlane_b32 s12, v8
	v_readfirstlane_b32 s13, v9
	s_and_b64 s[12:13], s[8:9], s[12:13]
	s_mul_i32 s14, s13, 24
	s_mul_hi_u32 s15, s12, 24
	s_add_i32 s15, s15, s14
	s_mul_i32 s14, s12, 24
	s_waitcnt vmcnt(0)
	v_lshl_add_u64 v[8:9], v[4:5], 0, s[14:15]
	s_and_saveexec_b64 s[14:15], s[0:1]
	s_cbranch_execz .LBB12_418
; %bb.417:
	v_mov_b64_e32 v[10:11], s[10:11]
	v_mov_b32_e32 v12, 2
	v_mov_b32_e32 v13, 1
	global_store_dwordx4 v[8:9], v[10:13], off offset:8
.LBB12_418:
	s_or_b64 exec, exec, s[14:15]
	s_lshl_b64 s[10:11], s[12:13], 12
	v_lshl_add_u64 v[6:7], v[6:7], 0, s[10:11]
	s_movk_i32 s10, 0xff1f
	s_mov_b32 s12, 0
	v_and_or_b32 v0, v0, s10, 32
	v_mov_b32_e32 v2, v29
	v_mov_b32_e32 v3, v29
	v_readfirstlane_b32 s10, v6
	v_readfirstlane_b32 s11, v7
	s_mov_b32 s13, s12
	s_mov_b32 s14, s12
	;; [unrolled: 1-line block ×3, first 2 shown]
	s_nop 1
	global_store_dwordx4 v28, v[0:3], s[10:11]
	s_nop 1
	v_mov_b64_e32 v[0:1], s[12:13]
	v_mov_b64_e32 v[2:3], s[14:15]
	global_store_dwordx4 v28, v[0:3], s[10:11] offset:16
	global_store_dwordx4 v28, v[0:3], s[10:11] offset:32
	;; [unrolled: 1-line block ×3, first 2 shown]
	s_and_saveexec_b64 s[10:11], s[0:1]
	s_cbranch_execz .LBB12_426
; %bb.419:
	v_mov_b32_e32 v10, 0
	global_load_dwordx2 v[14:15], v10, s[2:3] offset:32 sc0 sc1
	global_load_dwordx2 v[0:1], v10, s[2:3] offset:40
	v_mov_b32_e32 v12, s8
	v_mov_b32_e32 v13, s9
	s_waitcnt vmcnt(0)
	v_readfirstlane_b32 s12, v0
	v_readfirstlane_b32 s13, v1
	s_and_b64 s[12:13], s[12:13], s[8:9]
	s_mul_i32 s13, s13, 24
	s_mul_hi_u32 s14, s12, 24
	s_mul_i32 s12, s12, 24
	s_add_i32 s13, s14, s13
	v_lshl_add_u64 v[4:5], v[4:5], 0, s[12:13]
	global_store_dwordx2 v[4:5], v[14:15], off
	buffer_wbl2 sc0 sc1
	s_waitcnt vmcnt(0)
	global_atomic_cmpswap_x2 v[2:3], v10, v[12:15], s[2:3] offset:32 sc0 sc1
	s_waitcnt vmcnt(0)
	v_cmp_ne_u64_e32 vcc, v[2:3], v[14:15]
	s_and_saveexec_b64 s[12:13], vcc
	s_cbranch_execz .LBB12_422
; %bb.420:
	s_mov_b64 s[14:15], 0
.LBB12_421:                             ; =>This Inner Loop Header: Depth=1
	s_sleep 1
	global_store_dwordx2 v[4:5], v[2:3], off
	v_mov_b32_e32 v0, s8
	v_mov_b32_e32 v1, s9
	buffer_wbl2 sc0 sc1
	s_waitcnt vmcnt(0)
	global_atomic_cmpswap_x2 v[0:1], v10, v[0:3], s[2:3] offset:32 sc0 sc1
	s_waitcnt vmcnt(0)
	v_cmp_eq_u64_e32 vcc, v[0:1], v[2:3]
	s_or_b64 s[14:15], vcc, s[14:15]
	v_mov_b64_e32 v[2:3], v[0:1]
	s_andn2_b64 exec, exec, s[14:15]
	s_cbranch_execnz .LBB12_421
.LBB12_422:
	s_or_b64 exec, exec, s[12:13]
	v_mov_b32_e32 v3, 0
	global_load_dwordx2 v[0:1], v3, s[2:3] offset:16
	s_mov_b64 s[12:13], exec
	v_mbcnt_lo_u32_b32 v2, s12, 0
	v_mbcnt_hi_u32_b32 v2, s13, v2
	v_cmp_eq_u32_e32 vcc, 0, v2
	s_and_saveexec_b64 s[14:15], vcc
	s_cbranch_execz .LBB12_424
; %bb.423:
	s_bcnt1_i32_b64 s12, s[12:13]
	v_mov_b32_e32 v2, s12
	buffer_wbl2 sc0 sc1
	s_waitcnt vmcnt(0)
	global_atomic_add_x2 v[0:1], v[2:3], off offset:8 sc1
.LBB12_424:
	s_or_b64 exec, exec, s[14:15]
	s_waitcnt vmcnt(0)
	global_load_dwordx2 v[2:3], v[0:1], off offset:16
	s_waitcnt vmcnt(0)
	v_cmp_eq_u64_e32 vcc, 0, v[2:3]
	s_cbranch_vccnz .LBB12_426
; %bb.425:
	global_load_dword v0, v[0:1], off offset:24
	v_mov_b32_e32 v1, 0
	buffer_wbl2 sc0 sc1
	s_waitcnt vmcnt(0)
	global_store_dwordx2 v[2:3], v[0:1], off sc0 sc1
	v_and_b32_e32 v0, 0xffffff, v0
	s_nop 0
	v_readfirstlane_b32 m0, v0
	s_sendmsg sendmsg(MSG_INTERRUPT)
.LBB12_426:
	s_or_b64 exec, exec, s[10:11]
	v_lshl_add_u64 v[0:1], v[6:7], 0, v[28:29]
	s_branch .LBB12_430
.LBB12_427:                             ;   in Loop: Header=BB12_430 Depth=1
	s_or_b64 exec, exec, s[10:11]
	v_readfirstlane_b32 s10, v2
	s_cmp_eq_u32 s10, 0
	s_cbranch_scc1 .LBB12_429
; %bb.428:                              ;   in Loop: Header=BB12_430 Depth=1
	s_sleep 1
	s_cbranch_execnz .LBB12_430
	s_branch .LBB12_432
.LBB12_429:
	s_branch .LBB12_432
.LBB12_430:                             ; =>This Inner Loop Header: Depth=1
	v_mov_b32_e32 v2, 1
	s_and_saveexec_b64 s[10:11], s[0:1]
	s_cbranch_execz .LBB12_427
; %bb.431:                              ;   in Loop: Header=BB12_430 Depth=1
	global_load_dword v2, v[8:9], off offset:20 sc0 sc1
	s_waitcnt vmcnt(0)
	buffer_inv sc0 sc1
	v_and_b32_e32 v2, 1, v2
	s_branch .LBB12_427
.LBB12_432:
	global_load_dwordx2 v[2:3], v[0:1], off
	s_and_saveexec_b64 s[10:11], s[0:1]
	s_cbranch_execz .LBB12_435
; %bb.433:
	v_mov_b32_e32 v8, 0
	global_load_dwordx2 v[0:1], v8, s[2:3] offset:40
	global_load_dwordx2 v[10:11], v8, s[2:3] offset:24 sc0 sc1
	global_load_dwordx2 v[12:13], v8, s[2:3]
	s_mov_b64 s[0:1], 0
	s_waitcnt vmcnt(2)
	v_lshl_add_u64 v[4:5], v[0:1], 0, 1
	v_lshl_add_u64 v[14:15], v[4:5], 0, s[8:9]
	v_cmp_eq_u64_e32 vcc, 0, v[14:15]
	s_waitcnt vmcnt(1)
	v_mov_b32_e32 v6, v10
	v_cndmask_b32_e32 v5, v15, v5, vcc
	v_cndmask_b32_e32 v4, v14, v4, vcc
	v_and_b32_e32 v1, v5, v1
	v_and_b32_e32 v0, v4, v0
	v_mul_lo_u32 v1, v1, 24
	v_mul_hi_u32 v7, v0, 24
	v_mul_lo_u32 v0, v0, 24
	v_add_u32_e32 v1, v7, v1
	s_waitcnt vmcnt(0)
	v_lshl_add_u64 v[0:1], v[12:13], 0, v[0:1]
	global_store_dwordx2 v[0:1], v[10:11], off
	v_mov_b32_e32 v7, v11
	buffer_wbl2 sc0 sc1
	s_waitcnt vmcnt(0)
	global_atomic_cmpswap_x2 v[6:7], v8, v[4:7], s[2:3] offset:24 sc0 sc1
	s_waitcnt vmcnt(0)
	v_cmp_ne_u64_e32 vcc, v[6:7], v[10:11]
	s_and_b64 exec, exec, vcc
	s_cbranch_execz .LBB12_435
.LBB12_434:                             ; =>This Inner Loop Header: Depth=1
	s_sleep 1
	global_store_dwordx2 v[0:1], v[6:7], off
	buffer_wbl2 sc0 sc1
	s_waitcnt vmcnt(0)
	global_atomic_cmpswap_x2 v[10:11], v8, v[4:7], s[2:3] offset:24 sc0 sc1
	s_waitcnt vmcnt(0)
	v_cmp_eq_u64_e32 vcc, v[10:11], v[6:7]
	s_or_b64 s[0:1], vcc, s[0:1]
	v_mov_b64_e32 v[6:7], v[10:11]
	s_andn2_b64 exec, exec, s[0:1]
	s_cbranch_execnz .LBB12_434
.LBB12_435:
	s_or_b64 exec, exec, s[10:11]
.LBB12_436:
	v_readfirstlane_b32 s0, v36
	s_waitcnt vmcnt(0)
	v_mov_b64_e32 v[0:1], 0
	v_cmp_eq_u32_e64 s[0:1], s0, v36
	s_and_saveexec_b64 s[8:9], s[0:1]
	s_cbranch_execz .LBB12_442
; %bb.437:
	v_mov_b32_e32 v4, 0
	global_load_dwordx2 v[8:9], v4, s[2:3] offset:24 sc0 sc1
	s_waitcnt vmcnt(0)
	buffer_inv sc0 sc1
	global_load_dwordx2 v[0:1], v4, s[2:3] offset:40
	global_load_dwordx2 v[6:7], v4, s[2:3]
	s_waitcnt vmcnt(1)
	v_and_b32_e32 v0, v0, v8
	v_and_b32_e32 v1, v1, v9
	v_mul_lo_u32 v1, v1, 24
	v_mul_hi_u32 v5, v0, 24
	v_add_u32_e32 v1, v5, v1
	v_mul_lo_u32 v0, v0, 24
	s_waitcnt vmcnt(0)
	v_lshl_add_u64 v[0:1], v[6:7], 0, v[0:1]
	global_load_dwordx2 v[6:7], v[0:1], off sc0 sc1
	s_waitcnt vmcnt(0)
	global_atomic_cmpswap_x2 v[0:1], v4, v[6:9], s[2:3] offset:24 sc0 sc1
	s_waitcnt vmcnt(0)
	buffer_inv sc0 sc1
	v_cmp_ne_u64_e32 vcc, v[0:1], v[8:9]
	s_and_saveexec_b64 s[10:11], vcc
	s_cbranch_execz .LBB12_441
; %bb.438:
	s_mov_b64 s[12:13], 0
.LBB12_439:                             ; =>This Inner Loop Header: Depth=1
	s_sleep 1
	global_load_dwordx2 v[6:7], v4, s[2:3] offset:40
	global_load_dwordx2 v[10:11], v4, s[2:3]
	v_mov_b64_e32 v[8:9], v[0:1]
	s_waitcnt vmcnt(1)
	v_and_b32_e32 v0, v6, v8
	s_waitcnt vmcnt(0)
	v_mad_u64_u32 v[0:1], s[14:15], v0, 24, v[10:11]
	v_and_b32_e32 v5, v7, v9
	v_mov_b32_e32 v6, v1
	v_mad_u64_u32 v[6:7], s[14:15], v5, 24, v[6:7]
	v_mov_b32_e32 v1, v6
	global_load_dwordx2 v[6:7], v[0:1], off sc0 sc1
	s_waitcnt vmcnt(0)
	global_atomic_cmpswap_x2 v[0:1], v4, v[6:9], s[2:3] offset:24 sc0 sc1
	s_waitcnt vmcnt(0)
	buffer_inv sc0 sc1
	v_cmp_eq_u64_e32 vcc, v[0:1], v[8:9]
	s_or_b64 s[12:13], vcc, s[12:13]
	s_andn2_b64 exec, exec, s[12:13]
	s_cbranch_execnz .LBB12_439
; %bb.440:
	s_or_b64 exec, exec, s[12:13]
.LBB12_441:
	s_or_b64 exec, exec, s[10:11]
.LBB12_442:
	s_or_b64 exec, exec, s[8:9]
	v_mov_b32_e32 v5, 0
	global_load_dwordx2 v[10:11], v5, s[2:3] offset:40
	global_load_dwordx4 v[6:9], v5, s[2:3]
	v_readfirstlane_b32 s8, v0
	v_readfirstlane_b32 s9, v1
	s_mov_b64 s[10:11], exec
	s_waitcnt vmcnt(1)
	v_readfirstlane_b32 s12, v10
	v_readfirstlane_b32 s13, v11
	s_and_b64 s[12:13], s[8:9], s[12:13]
	s_mul_i32 s14, s13, 24
	s_mul_hi_u32 s15, s12, 24
	s_add_i32 s15, s15, s14
	s_mul_i32 s14, s12, 24
	s_waitcnt vmcnt(0)
	v_lshl_add_u64 v[10:11], v[6:7], 0, s[14:15]
	s_and_saveexec_b64 s[14:15], s[0:1]
	s_cbranch_execz .LBB12_444
; %bb.443:
	v_mov_b64_e32 v[12:13], s[10:11]
	v_mov_b32_e32 v14, 2
	v_mov_b32_e32 v15, 1
	global_store_dwordx4 v[10:11], v[12:15], off offset:8
.LBB12_444:
	s_or_b64 exec, exec, s[14:15]
	s_lshl_b64 s[10:11], s[12:13], 12
	v_lshl_add_u64 v[0:1], v[8:9], 0, s[10:11]
	s_movk_i32 s10, 0xff1d
	s_mov_b32 s12, 0
	v_and_or_b32 v2, v2, s10, 34
	v_mov_b32_e32 v4, 10
	v_readfirstlane_b32 s10, v0
	v_readfirstlane_b32 s11, v1
	s_mov_b32 s13, s12
	s_mov_b32 s14, s12
	s_mov_b32 s15, s12
	s_nop 1
	global_store_dwordx4 v28, v[2:5], s[10:11]
	v_mov_b64_e32 v[0:1], s[12:13]
	s_nop 0
	v_mov_b64_e32 v[2:3], s[14:15]
	global_store_dwordx4 v28, v[0:3], s[10:11] offset:16
	global_store_dwordx4 v28, v[0:3], s[10:11] offset:32
	;; [unrolled: 1-line block ×3, first 2 shown]
	s_and_saveexec_b64 s[10:11], s[0:1]
	s_cbranch_execz .LBB12_452
; %bb.445:
	v_mov_b32_e32 v8, 0
	global_load_dwordx2 v[14:15], v8, s[2:3] offset:32 sc0 sc1
	global_load_dwordx2 v[0:1], v8, s[2:3] offset:40
	v_mov_b32_e32 v12, s8
	v_mov_b32_e32 v13, s9
	s_waitcnt vmcnt(0)
	v_readfirstlane_b32 s12, v0
	v_readfirstlane_b32 s13, v1
	s_and_b64 s[12:13], s[12:13], s[8:9]
	s_mul_i32 s13, s13, 24
	s_mul_hi_u32 s14, s12, 24
	s_mul_i32 s12, s12, 24
	s_add_i32 s13, s14, s13
	v_lshl_add_u64 v[4:5], v[6:7], 0, s[12:13]
	global_store_dwordx2 v[4:5], v[14:15], off
	buffer_wbl2 sc0 sc1
	s_waitcnt vmcnt(0)
	global_atomic_cmpswap_x2 v[2:3], v8, v[12:15], s[2:3] offset:32 sc0 sc1
	s_waitcnt vmcnt(0)
	v_cmp_ne_u64_e32 vcc, v[2:3], v[14:15]
	s_and_saveexec_b64 s[12:13], vcc
	s_cbranch_execz .LBB12_448
; %bb.446:
	s_mov_b64 s[14:15], 0
.LBB12_447:                             ; =>This Inner Loop Header: Depth=1
	s_sleep 1
	global_store_dwordx2 v[4:5], v[2:3], off
	v_mov_b32_e32 v0, s8
	v_mov_b32_e32 v1, s9
	buffer_wbl2 sc0 sc1
	s_waitcnt vmcnt(0)
	global_atomic_cmpswap_x2 v[0:1], v8, v[0:3], s[2:3] offset:32 sc0 sc1
	s_waitcnt vmcnt(0)
	v_cmp_eq_u64_e32 vcc, v[0:1], v[2:3]
	s_or_b64 s[14:15], vcc, s[14:15]
	v_mov_b64_e32 v[2:3], v[0:1]
	s_andn2_b64 exec, exec, s[14:15]
	s_cbranch_execnz .LBB12_447
.LBB12_448:
	s_or_b64 exec, exec, s[12:13]
	v_mov_b32_e32 v3, 0
	global_load_dwordx2 v[0:1], v3, s[2:3] offset:16
	s_mov_b64 s[12:13], exec
	v_mbcnt_lo_u32_b32 v2, s12, 0
	v_mbcnt_hi_u32_b32 v2, s13, v2
	v_cmp_eq_u32_e32 vcc, 0, v2
	s_and_saveexec_b64 s[14:15], vcc
	s_cbranch_execz .LBB12_450
; %bb.449:
	s_bcnt1_i32_b64 s12, s[12:13]
	v_mov_b32_e32 v2, s12
	buffer_wbl2 sc0 sc1
	s_waitcnt vmcnt(0)
	global_atomic_add_x2 v[0:1], v[2:3], off offset:8 sc1
.LBB12_450:
	s_or_b64 exec, exec, s[14:15]
	s_waitcnt vmcnt(0)
	global_load_dwordx2 v[2:3], v[0:1], off offset:16
	s_waitcnt vmcnt(0)
	v_cmp_eq_u64_e32 vcc, 0, v[2:3]
	s_cbranch_vccnz .LBB12_452
; %bb.451:
	global_load_dword v0, v[0:1], off offset:24
	v_mov_b32_e32 v1, 0
	buffer_wbl2 sc0 sc1
	s_waitcnt vmcnt(0)
	global_store_dwordx2 v[2:3], v[0:1], off sc0 sc1
	v_and_b32_e32 v0, 0xffffff, v0
	s_nop 0
	v_readfirstlane_b32 m0, v0
	s_sendmsg sendmsg(MSG_INTERRUPT)
.LBB12_452:
	s_or_b64 exec, exec, s[10:11]
	s_branch .LBB12_456
.LBB12_453:                             ;   in Loop: Header=BB12_456 Depth=1
	s_or_b64 exec, exec, s[10:11]
	v_readfirstlane_b32 s10, v0
	s_cmp_eq_u32 s10, 0
	s_cbranch_scc1 .LBB12_455
; %bb.454:                              ;   in Loop: Header=BB12_456 Depth=1
	s_sleep 1
	s_cbranch_execnz .LBB12_456
	s_branch .LBB12_458
.LBB12_455:
	s_branch .LBB12_458
.LBB12_456:                             ; =>This Inner Loop Header: Depth=1
	v_mov_b32_e32 v0, 1
	s_and_saveexec_b64 s[10:11], s[0:1]
	s_cbranch_execz .LBB12_453
; %bb.457:                              ;   in Loop: Header=BB12_456 Depth=1
	global_load_dword v0, v[10:11], off offset:20 sc0 sc1
	s_waitcnt vmcnt(0)
	buffer_inv sc0 sc1
	v_and_b32_e32 v0, 1, v0
	s_branch .LBB12_453
.LBB12_458:
	s_and_saveexec_b64 s[10:11], s[0:1]
	s_cbranch_execz .LBB12_461
; %bb.459:
	v_mov_b32_e32 v6, 0
	global_load_dwordx2 v[4:5], v6, s[2:3] offset:40
	global_load_dwordx2 v[8:9], v6, s[2:3] offset:24 sc0 sc1
	global_load_dwordx2 v[10:11], v6, s[2:3]
	s_mov_b64 s[0:1], 0
	s_waitcnt vmcnt(2)
	v_lshl_add_u64 v[0:1], v[4:5], 0, 1
	v_lshl_add_u64 v[12:13], v[0:1], 0, s[8:9]
	v_cmp_eq_u64_e32 vcc, 0, v[12:13]
	s_waitcnt vmcnt(1)
	v_mov_b32_e32 v2, v8
	v_cndmask_b32_e32 v1, v13, v1, vcc
	v_cndmask_b32_e32 v0, v12, v0, vcc
	v_and_b32_e32 v3, v1, v5
	v_and_b32_e32 v4, v0, v4
	v_mul_lo_u32 v3, v3, 24
	v_mul_hi_u32 v5, v4, 24
	v_mul_lo_u32 v4, v4, 24
	v_add_u32_e32 v5, v5, v3
	s_waitcnt vmcnt(0)
	v_lshl_add_u64 v[4:5], v[10:11], 0, v[4:5]
	global_store_dwordx2 v[4:5], v[8:9], off
	v_mov_b32_e32 v3, v9
	buffer_wbl2 sc0 sc1
	s_waitcnt vmcnt(0)
	global_atomic_cmpswap_x2 v[2:3], v6, v[0:3], s[2:3] offset:24 sc0 sc1
	s_waitcnt vmcnt(0)
	v_cmp_ne_u64_e32 vcc, v[2:3], v[8:9]
	s_and_b64 exec, exec, vcc
	s_cbranch_execz .LBB12_461
.LBB12_460:                             ; =>This Inner Loop Header: Depth=1
	s_sleep 1
	global_store_dwordx2 v[4:5], v[2:3], off
	buffer_wbl2 sc0 sc1
	s_waitcnt vmcnt(0)
	global_atomic_cmpswap_x2 v[8:9], v6, v[0:3], s[2:3] offset:24 sc0 sc1
	s_waitcnt vmcnt(0)
	v_cmp_eq_u64_e32 vcc, v[8:9], v[2:3]
	s_or_b64 s[0:1], vcc, s[0:1]
	v_mov_b64_e32 v[2:3], v[8:9]
	s_andn2_b64 exec, exec, s[0:1]
	s_cbranch_execnz .LBB12_460
.LBB12_461:
	s_or_b64 exec, exec, s[10:11]
	v_readfirstlane_b32 s0, v36
	v_mov_b64_e32 v[4:5], 0
	s_nop 0
	v_cmp_eq_u32_e64 s[0:1], s0, v36
	s_and_saveexec_b64 s[8:9], s[0:1]
	s_cbranch_execz .LBB12_467
; %bb.462:
	v_mov_b32_e32 v0, 0
	global_load_dwordx2 v[6:7], v0, s[2:3] offset:24 sc0 sc1
	s_waitcnt vmcnt(0)
	buffer_inv sc0 sc1
	global_load_dwordx2 v[2:3], v0, s[2:3] offset:40
	global_load_dwordx2 v[4:5], v0, s[2:3]
	s_waitcnt vmcnt(1)
	v_and_b32_e32 v1, v2, v6
	v_and_b32_e32 v2, v3, v7
	v_mul_lo_u32 v2, v2, 24
	v_mul_hi_u32 v3, v1, 24
	v_add_u32_e32 v3, v3, v2
	v_mul_lo_u32 v2, v1, 24
	s_waitcnt vmcnt(0)
	v_lshl_add_u64 v[2:3], v[4:5], 0, v[2:3]
	global_load_dwordx2 v[4:5], v[2:3], off sc0 sc1
	s_waitcnt vmcnt(0)
	global_atomic_cmpswap_x2 v[4:5], v0, v[4:7], s[2:3] offset:24 sc0 sc1
	s_waitcnt vmcnt(0)
	buffer_inv sc0 sc1
	v_cmp_ne_u64_e32 vcc, v[4:5], v[6:7]
	s_and_saveexec_b64 s[10:11], vcc
	s_cbranch_execz .LBB12_466
; %bb.463:
	s_mov_b64 s[12:13], 0
.LBB12_464:                             ; =>This Inner Loop Header: Depth=1
	s_sleep 1
	global_load_dwordx2 v[2:3], v0, s[2:3] offset:40
	global_load_dwordx2 v[8:9], v0, s[2:3]
	v_mov_b64_e32 v[6:7], v[4:5]
	s_waitcnt vmcnt(1)
	v_and_b32_e32 v2, v2, v6
	v_and_b32_e32 v1, v3, v7
	s_waitcnt vmcnt(0)
	v_mad_u64_u32 v[2:3], s[14:15], v2, 24, v[8:9]
	v_mov_b32_e32 v4, v3
	v_mad_u64_u32 v[4:5], s[14:15], v1, 24, v[4:5]
	v_mov_b32_e32 v3, v4
	global_load_dwordx2 v[4:5], v[2:3], off sc0 sc1
	s_waitcnt vmcnt(0)
	global_atomic_cmpswap_x2 v[4:5], v0, v[4:7], s[2:3] offset:24 sc0 sc1
	s_waitcnt vmcnt(0)
	buffer_inv sc0 sc1
	v_cmp_eq_u64_e32 vcc, v[4:5], v[6:7]
	s_or_b64 s[12:13], vcc, s[12:13]
	s_andn2_b64 exec, exec, s[12:13]
	s_cbranch_execnz .LBB12_464
; %bb.465:
	s_or_b64 exec, exec, s[12:13]
.LBB12_466:
	s_or_b64 exec, exec, s[10:11]
.LBB12_467:
	s_or_b64 exec, exec, s[8:9]
	v_mov_b32_e32 v29, 0
	global_load_dwordx2 v[6:7], v29, s[2:3] offset:40
	global_load_dwordx4 v[0:3], v29, s[2:3]
	v_readfirstlane_b32 s8, v4
	v_readfirstlane_b32 s9, v5
	s_mov_b64 s[10:11], exec
	s_waitcnt vmcnt(1)
	v_readfirstlane_b32 s12, v6
	v_readfirstlane_b32 s13, v7
	s_and_b64 s[12:13], s[8:9], s[12:13]
	s_mul_i32 s14, s13, 24
	s_mul_hi_u32 s15, s12, 24
	s_add_i32 s15, s15, s14
	s_mul_i32 s14, s12, 24
	s_waitcnt vmcnt(0)
	v_lshl_add_u64 v[4:5], v[0:1], 0, s[14:15]
	s_and_saveexec_b64 s[14:15], s[0:1]
	s_cbranch_execz .LBB12_469
; %bb.468:
	v_mov_b64_e32 v[6:7], s[10:11]
	v_mov_b32_e32 v8, 2
	v_mov_b32_e32 v9, 1
	global_store_dwordx4 v[4:5], v[6:9], off offset:8
.LBB12_469:
	s_or_b64 exec, exec, s[14:15]
	s_lshl_b64 s[10:11], s[12:13], 12
	v_lshl_add_u64 v[6:7], v[2:3], 0, s[10:11]
	s_mov_b32 s12, 0
	v_mov_b32_e32 v8, 33
	v_mov_b32_e32 v9, v29
	;; [unrolled: 1-line block ×4, first 2 shown]
	v_readfirstlane_b32 s10, v6
	v_readfirstlane_b32 s11, v7
	s_mov_b32 s13, s12
	s_mov_b32 s14, s12
	;; [unrolled: 1-line block ×3, first 2 shown]
	s_nop 1
	global_store_dwordx4 v28, v[8:11], s[10:11]
	s_nop 1
	v_mov_b64_e32 v[8:9], s[12:13]
	v_mov_b64_e32 v[10:11], s[14:15]
	global_store_dwordx4 v28, v[8:11], s[10:11] offset:16
	global_store_dwordx4 v28, v[8:11], s[10:11] offset:32
	;; [unrolled: 1-line block ×3, first 2 shown]
	s_and_saveexec_b64 s[10:11], s[0:1]
	s_cbranch_execz .LBB12_477
; %bb.470:
	v_mov_b32_e32 v10, 0
	global_load_dwordx2 v[14:15], v10, s[2:3] offset:32 sc0 sc1
	global_load_dwordx2 v[2:3], v10, s[2:3] offset:40
	v_mov_b32_e32 v12, s8
	v_mov_b32_e32 v13, s9
	s_waitcnt vmcnt(0)
	v_readfirstlane_b32 s12, v2
	v_readfirstlane_b32 s13, v3
	s_and_b64 s[12:13], s[12:13], s[8:9]
	s_mul_i32 s13, s13, 24
	s_mul_hi_u32 s14, s12, 24
	s_mul_i32 s12, s12, 24
	s_add_i32 s13, s14, s13
	v_lshl_add_u64 v[8:9], v[0:1], 0, s[12:13]
	global_store_dwordx2 v[8:9], v[14:15], off
	buffer_wbl2 sc0 sc1
	s_waitcnt vmcnt(0)
	global_atomic_cmpswap_x2 v[2:3], v10, v[12:15], s[2:3] offset:32 sc0 sc1
	s_waitcnt vmcnt(0)
	v_cmp_ne_u64_e32 vcc, v[2:3], v[14:15]
	s_and_saveexec_b64 s[12:13], vcc
	s_cbranch_execz .LBB12_473
; %bb.471:
	s_mov_b64 s[14:15], 0
.LBB12_472:                             ; =>This Inner Loop Header: Depth=1
	s_sleep 1
	global_store_dwordx2 v[8:9], v[2:3], off
	v_mov_b32_e32 v0, s8
	v_mov_b32_e32 v1, s9
	buffer_wbl2 sc0 sc1
	s_waitcnt vmcnt(0)
	global_atomic_cmpswap_x2 v[0:1], v10, v[0:3], s[2:3] offset:32 sc0 sc1
	s_waitcnt vmcnt(0)
	v_cmp_eq_u64_e32 vcc, v[0:1], v[2:3]
	s_or_b64 s[14:15], vcc, s[14:15]
	v_mov_b64_e32 v[2:3], v[0:1]
	s_andn2_b64 exec, exec, s[14:15]
	s_cbranch_execnz .LBB12_472
.LBB12_473:
	s_or_b64 exec, exec, s[12:13]
	v_mov_b32_e32 v3, 0
	global_load_dwordx2 v[0:1], v3, s[2:3] offset:16
	s_mov_b64 s[12:13], exec
	v_mbcnt_lo_u32_b32 v2, s12, 0
	v_mbcnt_hi_u32_b32 v2, s13, v2
	v_cmp_eq_u32_e32 vcc, 0, v2
	s_and_saveexec_b64 s[14:15], vcc
	s_cbranch_execz .LBB12_475
; %bb.474:
	s_bcnt1_i32_b64 s12, s[12:13]
	v_mov_b32_e32 v2, s12
	buffer_wbl2 sc0 sc1
	s_waitcnt vmcnt(0)
	global_atomic_add_x2 v[0:1], v[2:3], off offset:8 sc1
.LBB12_475:
	s_or_b64 exec, exec, s[14:15]
	s_waitcnt vmcnt(0)
	global_load_dwordx2 v[2:3], v[0:1], off offset:16
	s_waitcnt vmcnt(0)
	v_cmp_eq_u64_e32 vcc, 0, v[2:3]
	s_cbranch_vccnz .LBB12_477
; %bb.476:
	global_load_dword v0, v[0:1], off offset:24
	v_mov_b32_e32 v1, 0
	buffer_wbl2 sc0 sc1
	s_waitcnt vmcnt(0)
	global_store_dwordx2 v[2:3], v[0:1], off sc0 sc1
	v_and_b32_e32 v0, 0xffffff, v0
	s_nop 0
	v_readfirstlane_b32 m0, v0
	s_sendmsg sendmsg(MSG_INTERRUPT)
.LBB12_477:
	s_or_b64 exec, exec, s[10:11]
	v_lshl_add_u64 v[0:1], v[6:7], 0, v[28:29]
	s_branch .LBB12_481
.LBB12_478:                             ;   in Loop: Header=BB12_481 Depth=1
	s_or_b64 exec, exec, s[10:11]
	v_readfirstlane_b32 s10, v2
	s_cmp_eq_u32 s10, 0
	s_cbranch_scc1 .LBB12_480
; %bb.479:                              ;   in Loop: Header=BB12_481 Depth=1
	s_sleep 1
	s_cbranch_execnz .LBB12_481
	s_branch .LBB12_483
.LBB12_480:
	s_branch .LBB12_483
.LBB12_481:                             ; =>This Inner Loop Header: Depth=1
	v_mov_b32_e32 v2, 1
	s_and_saveexec_b64 s[10:11], s[0:1]
	s_cbranch_execz .LBB12_478
; %bb.482:                              ;   in Loop: Header=BB12_481 Depth=1
	global_load_dword v2, v[4:5], off offset:20 sc0 sc1
	s_waitcnt vmcnt(0)
	buffer_inv sc0 sc1
	v_and_b32_e32 v2, 1, v2
	s_branch .LBB12_478
.LBB12_483:
	global_load_dwordx2 v[4:5], v[0:1], off
	s_and_saveexec_b64 s[10:11], s[0:1]
	s_cbranch_execz .LBB12_486
; %bb.484:
	v_mov_b32_e32 v8, 0
	global_load_dwordx2 v[6:7], v8, s[2:3] offset:40
	global_load_dwordx2 v[10:11], v8, s[2:3] offset:24 sc0 sc1
	global_load_dwordx2 v[12:13], v8, s[2:3]
	s_mov_b64 s[0:1], 0
	s_waitcnt vmcnt(2)
	v_lshl_add_u64 v[0:1], v[6:7], 0, 1
	v_lshl_add_u64 v[14:15], v[0:1], 0, s[8:9]
	v_cmp_eq_u64_e32 vcc, 0, v[14:15]
	s_waitcnt vmcnt(1)
	v_mov_b32_e32 v2, v10
	v_cndmask_b32_e32 v1, v15, v1, vcc
	v_cndmask_b32_e32 v0, v14, v0, vcc
	v_and_b32_e32 v3, v1, v7
	v_and_b32_e32 v6, v0, v6
	v_mul_lo_u32 v3, v3, 24
	v_mul_hi_u32 v7, v6, 24
	v_mul_lo_u32 v6, v6, 24
	v_add_u32_e32 v7, v7, v3
	s_waitcnt vmcnt(0)
	v_lshl_add_u64 v[6:7], v[12:13], 0, v[6:7]
	global_store_dwordx2 v[6:7], v[10:11], off
	v_mov_b32_e32 v3, v11
	buffer_wbl2 sc0 sc1
	s_waitcnt vmcnt(0)
	global_atomic_cmpswap_x2 v[2:3], v8, v[0:3], s[2:3] offset:24 sc0 sc1
	s_waitcnt vmcnt(0)
	v_cmp_ne_u64_e32 vcc, v[2:3], v[10:11]
	s_and_b64 exec, exec, vcc
	s_cbranch_execz .LBB12_486
.LBB12_485:                             ; =>This Inner Loop Header: Depth=1
	s_sleep 1
	global_store_dwordx2 v[6:7], v[2:3], off
	buffer_wbl2 sc0 sc1
	s_waitcnt vmcnt(0)
	global_atomic_cmpswap_x2 v[10:11], v8, v[0:3], s[2:3] offset:24 sc0 sc1
	s_waitcnt vmcnt(0)
	v_cmp_eq_u64_e32 vcc, v[10:11], v[2:3]
	s_or_b64 s[0:1], vcc, s[0:1]
	v_mov_b64_e32 v[2:3], v[10:11]
	s_andn2_b64 exec, exec, s[0:1]
	s_cbranch_execnz .LBB12_485
.LBB12_486:
	s_or_b64 exec, exec, s[10:11]
	s_and_b64 vcc, exec, s[4:5]
	s_cbranch_vccz .LBB12_571
; %bb.487:
	s_waitcnt vmcnt(0)
	v_and_b32_e32 v26, 2, v4
	v_mov_b32_e32 v31, 0
	v_and_b32_e32 v0, -3, v4
	v_mov_b32_e32 v1, v5
	s_mov_b64 s[10:11], 3
	v_mov_b32_e32 v8, 2
	v_mov_b32_e32 v9, 1
	s_getpc_b64 s[8:9]
	s_add_u32 s8, s8, .str.5@rel32@lo+4
	s_addc_u32 s9, s9, .str.5@rel32@hi+12
	s_branch .LBB12_489
.LBB12_488:                             ;   in Loop: Header=BB12_489 Depth=1
	s_or_b64 exec, exec, s[16:17]
	s_sub_u32 s10, s10, s12
	s_subb_u32 s11, s11, s13
	s_add_u32 s8, s8, s12
	s_addc_u32 s9, s9, s13
	s_cmp_lg_u64 s[10:11], 0
	s_cbranch_scc0 .LBB12_570
.LBB12_489:                             ; =>This Loop Header: Depth=1
                                        ;     Child Loop BB12_492 Depth 2
                                        ;     Child Loop BB12_499 Depth 2
                                        ;     Child Loop BB12_507 Depth 2
                                        ;     Child Loop BB12_515 Depth 2
                                        ;     Child Loop BB12_523 Depth 2
                                        ;     Child Loop BB12_531 Depth 2
                                        ;     Child Loop BB12_539 Depth 2
                                        ;     Child Loop BB12_547 Depth 2
                                        ;     Child Loop BB12_555 Depth 2
                                        ;     Child Loop BB12_564 Depth 2
                                        ;     Child Loop BB12_569 Depth 2
	v_cmp_lt_u64_e64 s[0:1], s[10:11], 56
	s_and_b64 s[0:1], s[0:1], exec
	v_cmp_gt_u64_e64 s[0:1], s[10:11], 7
	s_cselect_b32 s13, s11, 0
	s_cselect_b32 s12, s10, 56
	s_and_b64 vcc, exec, s[0:1]
	s_cbranch_vccnz .LBB12_494
; %bb.490:                              ;   in Loop: Header=BB12_489 Depth=1
	s_mov_b64 s[0:1], 0
	s_cmp_eq_u64 s[10:11], 0
	s_waitcnt vmcnt(0)
	v_mov_b64_e32 v[2:3], 0
	s_cbranch_scc1 .LBB12_493
; %bb.491:                              ;   in Loop: Header=BB12_489 Depth=1
	s_lshl_b64 s[14:15], s[12:13], 3
	s_mov_b64 s[16:17], 0
	v_mov_b64_e32 v[2:3], 0
	s_mov_b64 s[18:19], s[8:9]
.LBB12_492:                             ;   Parent Loop BB12_489 Depth=1
                                        ; =>  This Inner Loop Header: Depth=2
	global_load_ubyte v6, v31, s[18:19]
	s_waitcnt vmcnt(0)
	v_and_b32_e32 v30, 0xffff, v6
	v_lshlrev_b64 v[6:7], s16, v[30:31]
	s_add_u32 s16, s16, 8
	s_addc_u32 s17, s17, 0
	s_add_u32 s18, s18, 1
	s_addc_u32 s19, s19, 0
	v_or_b32_e32 v2, v6, v2
	s_cmp_lg_u32 s14, s16
	v_or_b32_e32 v3, v7, v3
	s_cbranch_scc1 .LBB12_492
.LBB12_493:                             ;   in Loop: Header=BB12_489 Depth=1
	s_mov_b32 s18, 0
	s_andn2_b64 vcc, exec, s[0:1]
	s_mov_b64 s[0:1], s[8:9]
	s_cbranch_vccz .LBB12_495
	s_branch .LBB12_496
.LBB12_494:                             ;   in Loop: Header=BB12_489 Depth=1
                                        ; implicit-def: $vgpr2_vgpr3
                                        ; implicit-def: $sgpr18
	s_mov_b64 s[0:1], s[8:9]
.LBB12_495:                             ;   in Loop: Header=BB12_489 Depth=1
	global_load_dwordx2 v[2:3], v31, s[8:9]
	s_add_i32 s18, s12, -8
	s_add_u32 s0, s8, 8
	s_addc_u32 s1, s9, 0
.LBB12_496:                             ;   in Loop: Header=BB12_489 Depth=1
	s_cmp_gt_u32 s18, 7
	s_cbranch_scc1 .LBB12_500
; %bb.497:                              ;   in Loop: Header=BB12_489 Depth=1
	s_cmp_eq_u32 s18, 0
	s_cbranch_scc1 .LBB12_501
; %bb.498:                              ;   in Loop: Header=BB12_489 Depth=1
	s_mov_b64 s[14:15], 0
	v_mov_b64_e32 v[10:11], 0
	s_mov_b64 s[16:17], 0
.LBB12_499:                             ;   Parent Loop BB12_489 Depth=1
                                        ; =>  This Inner Loop Header: Depth=2
	s_add_u32 s20, s0, s16
	s_addc_u32 s21, s1, s17
	global_load_ubyte v6, v31, s[20:21]
	s_add_u32 s16, s16, 1
	s_addc_u32 s17, s17, 0
	s_waitcnt vmcnt(0)
	v_and_b32_e32 v30, 0xffff, v6
	v_lshlrev_b64 v[6:7], s14, v[30:31]
	s_add_u32 s14, s14, 8
	s_addc_u32 s15, s15, 0
	v_or_b32_e32 v10, v6, v10
	s_cmp_lg_u32 s18, s16
	v_or_b32_e32 v11, v7, v11
	s_cbranch_scc1 .LBB12_499
	s_branch .LBB12_502
.LBB12_500:                             ;   in Loop: Header=BB12_489 Depth=1
                                        ; implicit-def: $vgpr10_vgpr11
                                        ; implicit-def: $sgpr19
	s_branch .LBB12_503
.LBB12_501:                             ;   in Loop: Header=BB12_489 Depth=1
	v_mov_b64_e32 v[10:11], 0
.LBB12_502:                             ;   in Loop: Header=BB12_489 Depth=1
	s_mov_b32 s19, 0
	s_cbranch_execnz .LBB12_504
.LBB12_503:                             ;   in Loop: Header=BB12_489 Depth=1
	global_load_dwordx2 v[10:11], v31, s[0:1]
	s_add_i32 s19, s18, -8
	s_add_u32 s0, s0, 8
	s_addc_u32 s1, s1, 0
.LBB12_504:                             ;   in Loop: Header=BB12_489 Depth=1
	s_cmp_gt_u32 s19, 7
	s_cbranch_scc1 .LBB12_508
; %bb.505:                              ;   in Loop: Header=BB12_489 Depth=1
	s_cmp_eq_u32 s19, 0
	s_cbranch_scc1 .LBB12_509
; %bb.506:                              ;   in Loop: Header=BB12_489 Depth=1
	s_mov_b64 s[14:15], 0
	v_mov_b64_e32 v[12:13], 0
	s_mov_b64 s[16:17], 0
.LBB12_507:                             ;   Parent Loop BB12_489 Depth=1
                                        ; =>  This Inner Loop Header: Depth=2
	s_add_u32 s20, s0, s16
	s_addc_u32 s21, s1, s17
	global_load_ubyte v6, v31, s[20:21]
	s_add_u32 s16, s16, 1
	s_addc_u32 s17, s17, 0
	s_waitcnt vmcnt(0)
	v_and_b32_e32 v30, 0xffff, v6
	v_lshlrev_b64 v[6:7], s14, v[30:31]
	s_add_u32 s14, s14, 8
	s_addc_u32 s15, s15, 0
	v_or_b32_e32 v12, v6, v12
	s_cmp_lg_u32 s19, s16
	v_or_b32_e32 v13, v7, v13
	s_cbranch_scc1 .LBB12_507
	s_branch .LBB12_510
.LBB12_508:                             ;   in Loop: Header=BB12_489 Depth=1
                                        ; implicit-def: $sgpr18
	s_branch .LBB12_511
.LBB12_509:                             ;   in Loop: Header=BB12_489 Depth=1
	v_mov_b64_e32 v[12:13], 0
.LBB12_510:                             ;   in Loop: Header=BB12_489 Depth=1
	s_mov_b32 s18, 0
	s_cbranch_execnz .LBB12_512
.LBB12_511:                             ;   in Loop: Header=BB12_489 Depth=1
	global_load_dwordx2 v[12:13], v31, s[0:1]
	s_add_i32 s18, s19, -8
	s_add_u32 s0, s0, 8
	s_addc_u32 s1, s1, 0
.LBB12_512:                             ;   in Loop: Header=BB12_489 Depth=1
	s_cmp_gt_u32 s18, 7
	s_cbranch_scc1 .LBB12_516
; %bb.513:                              ;   in Loop: Header=BB12_489 Depth=1
	s_cmp_eq_u32 s18, 0
	s_cbranch_scc1 .LBB12_517
; %bb.514:                              ;   in Loop: Header=BB12_489 Depth=1
	s_mov_b64 s[14:15], 0
	v_mov_b64_e32 v[14:15], 0
	s_mov_b64 s[16:17], 0
.LBB12_515:                             ;   Parent Loop BB12_489 Depth=1
                                        ; =>  This Inner Loop Header: Depth=2
	s_add_u32 s20, s0, s16
	s_addc_u32 s21, s1, s17
	global_load_ubyte v6, v31, s[20:21]
	s_add_u32 s16, s16, 1
	s_addc_u32 s17, s17, 0
	s_waitcnt vmcnt(0)
	v_and_b32_e32 v30, 0xffff, v6
	v_lshlrev_b64 v[6:7], s14, v[30:31]
	s_add_u32 s14, s14, 8
	s_addc_u32 s15, s15, 0
	v_or_b32_e32 v14, v6, v14
	s_cmp_lg_u32 s18, s16
	v_or_b32_e32 v15, v7, v15
	s_cbranch_scc1 .LBB12_515
	s_branch .LBB12_518
.LBB12_516:                             ;   in Loop: Header=BB12_489 Depth=1
                                        ; implicit-def: $vgpr14_vgpr15
                                        ; implicit-def: $sgpr19
	s_branch .LBB12_519
.LBB12_517:                             ;   in Loop: Header=BB12_489 Depth=1
	v_mov_b64_e32 v[14:15], 0
.LBB12_518:                             ;   in Loop: Header=BB12_489 Depth=1
	s_mov_b32 s19, 0
	s_cbranch_execnz .LBB12_520
.LBB12_519:                             ;   in Loop: Header=BB12_489 Depth=1
	global_load_dwordx2 v[14:15], v31, s[0:1]
	s_add_i32 s19, s18, -8
	s_add_u32 s0, s0, 8
	s_addc_u32 s1, s1, 0
.LBB12_520:                             ;   in Loop: Header=BB12_489 Depth=1
	s_cmp_gt_u32 s19, 7
	s_cbranch_scc1 .LBB12_524
; %bb.521:                              ;   in Loop: Header=BB12_489 Depth=1
	s_cmp_eq_u32 s19, 0
	s_cbranch_scc1 .LBB12_525
; %bb.522:                              ;   in Loop: Header=BB12_489 Depth=1
	s_mov_b64 s[14:15], 0
	v_mov_b64_e32 v[16:17], 0
	s_mov_b64 s[16:17], 0
.LBB12_523:                             ;   Parent Loop BB12_489 Depth=1
                                        ; =>  This Inner Loop Header: Depth=2
	s_add_u32 s20, s0, s16
	s_addc_u32 s21, s1, s17
	global_load_ubyte v6, v31, s[20:21]
	s_add_u32 s16, s16, 1
	s_addc_u32 s17, s17, 0
	s_waitcnt vmcnt(0)
	v_and_b32_e32 v30, 0xffff, v6
	v_lshlrev_b64 v[6:7], s14, v[30:31]
	s_add_u32 s14, s14, 8
	s_addc_u32 s15, s15, 0
	v_or_b32_e32 v16, v6, v16
	s_cmp_lg_u32 s19, s16
	v_or_b32_e32 v17, v7, v17
	s_cbranch_scc1 .LBB12_523
	s_branch .LBB12_526
.LBB12_524:                             ;   in Loop: Header=BB12_489 Depth=1
                                        ; implicit-def: $sgpr18
	s_branch .LBB12_527
.LBB12_525:                             ;   in Loop: Header=BB12_489 Depth=1
	v_mov_b64_e32 v[16:17], 0
.LBB12_526:                             ;   in Loop: Header=BB12_489 Depth=1
	s_mov_b32 s18, 0
	s_cbranch_execnz .LBB12_528
.LBB12_527:                             ;   in Loop: Header=BB12_489 Depth=1
	global_load_dwordx2 v[16:17], v31, s[0:1]
	s_add_i32 s18, s19, -8
	s_add_u32 s0, s0, 8
	s_addc_u32 s1, s1, 0
.LBB12_528:                             ;   in Loop: Header=BB12_489 Depth=1
	s_cmp_gt_u32 s18, 7
	s_cbranch_scc1 .LBB12_532
; %bb.529:                              ;   in Loop: Header=BB12_489 Depth=1
	s_cmp_eq_u32 s18, 0
	s_cbranch_scc1 .LBB12_533
; %bb.530:                              ;   in Loop: Header=BB12_489 Depth=1
	s_mov_b64 s[14:15], 0
	v_mov_b64_e32 v[18:19], 0
	s_mov_b64 s[16:17], 0
.LBB12_531:                             ;   Parent Loop BB12_489 Depth=1
                                        ; =>  This Inner Loop Header: Depth=2
	s_add_u32 s20, s0, s16
	s_addc_u32 s21, s1, s17
	global_load_ubyte v6, v31, s[20:21]
	s_add_u32 s16, s16, 1
	s_addc_u32 s17, s17, 0
	s_waitcnt vmcnt(0)
	v_and_b32_e32 v30, 0xffff, v6
	v_lshlrev_b64 v[6:7], s14, v[30:31]
	s_add_u32 s14, s14, 8
	s_addc_u32 s15, s15, 0
	v_or_b32_e32 v18, v6, v18
	s_cmp_lg_u32 s18, s16
	v_or_b32_e32 v19, v7, v19
	s_cbranch_scc1 .LBB12_531
	s_branch .LBB12_534
.LBB12_532:                             ;   in Loop: Header=BB12_489 Depth=1
                                        ; implicit-def: $vgpr18_vgpr19
                                        ; implicit-def: $sgpr19
	s_branch .LBB12_535
.LBB12_533:                             ;   in Loop: Header=BB12_489 Depth=1
	v_mov_b64_e32 v[18:19], 0
.LBB12_534:                             ;   in Loop: Header=BB12_489 Depth=1
	s_mov_b32 s19, 0
	s_cbranch_execnz .LBB12_536
.LBB12_535:                             ;   in Loop: Header=BB12_489 Depth=1
	global_load_dwordx2 v[18:19], v31, s[0:1]
	s_add_i32 s19, s18, -8
	s_add_u32 s0, s0, 8
	s_addc_u32 s1, s1, 0
.LBB12_536:                             ;   in Loop: Header=BB12_489 Depth=1
	s_cmp_gt_u32 s19, 7
	s_cbranch_scc1 .LBB12_540
; %bb.537:                              ;   in Loop: Header=BB12_489 Depth=1
	s_cmp_eq_u32 s19, 0
	s_cbranch_scc1 .LBB12_541
; %bb.538:                              ;   in Loop: Header=BB12_489 Depth=1
	s_mov_b64 s[14:15], 0
	v_mov_b64_e32 v[20:21], 0
	s_mov_b64 s[16:17], s[0:1]
.LBB12_539:                             ;   Parent Loop BB12_489 Depth=1
                                        ; =>  This Inner Loop Header: Depth=2
	global_load_ubyte v6, v31, s[16:17]
	s_add_i32 s19, s19, -1
	s_waitcnt vmcnt(0)
	v_and_b32_e32 v30, 0xffff, v6
	v_lshlrev_b64 v[6:7], s14, v[30:31]
	s_add_u32 s14, s14, 8
	s_addc_u32 s15, s15, 0
	s_add_u32 s16, s16, 1
	s_addc_u32 s17, s17, 0
	v_or_b32_e32 v20, v6, v20
	s_cmp_lg_u32 s19, 0
	v_or_b32_e32 v21, v7, v21
	s_cbranch_scc1 .LBB12_539
	s_branch .LBB12_542
.LBB12_540:                             ;   in Loop: Header=BB12_489 Depth=1
	s_branch .LBB12_543
.LBB12_541:                             ;   in Loop: Header=BB12_489 Depth=1
	v_mov_b64_e32 v[20:21], 0
.LBB12_542:                             ;   in Loop: Header=BB12_489 Depth=1
	s_cbranch_execnz .LBB12_544
.LBB12_543:                             ;   in Loop: Header=BB12_489 Depth=1
	global_load_dwordx2 v[20:21], v31, s[0:1]
.LBB12_544:                             ;   in Loop: Header=BB12_489 Depth=1
	v_readfirstlane_b32 s0, v36
	v_mov_b64_e32 v[6:7], 0
	s_nop 0
	v_cmp_eq_u32_e64 s[0:1], s0, v36
	s_and_saveexec_b64 s[14:15], s[0:1]
	s_cbranch_execz .LBB12_550
; %bb.545:                              ;   in Loop: Header=BB12_489 Depth=1
	global_load_dwordx2 v[24:25], v31, s[2:3] offset:24 sc0 sc1
	s_waitcnt vmcnt(0)
	buffer_inv sc0 sc1
	global_load_dwordx2 v[6:7], v31, s[2:3] offset:40
	global_load_dwordx2 v[22:23], v31, s[2:3]
	s_waitcnt vmcnt(1)
	v_and_b32_e32 v6, v6, v24
	v_and_b32_e32 v7, v7, v25
	v_mul_lo_u32 v7, v7, 24
	v_mul_hi_u32 v27, v6, 24
	v_add_u32_e32 v7, v27, v7
	v_mul_lo_u32 v6, v6, 24
	s_waitcnt vmcnt(0)
	v_lshl_add_u64 v[6:7], v[22:23], 0, v[6:7]
	global_load_dwordx2 v[22:23], v[6:7], off sc0 sc1
	s_waitcnt vmcnt(0)
	global_atomic_cmpswap_x2 v[6:7], v31, v[22:25], s[2:3] offset:24 sc0 sc1
	s_waitcnt vmcnt(0)
	buffer_inv sc0 sc1
	v_cmp_ne_u64_e32 vcc, v[6:7], v[24:25]
	s_and_saveexec_b64 s[16:17], vcc
	s_cbranch_execz .LBB12_549
; %bb.546:                              ;   in Loop: Header=BB12_489 Depth=1
	s_mov_b64 s[18:19], 0
.LBB12_547:                             ;   Parent Loop BB12_489 Depth=1
                                        ; =>  This Inner Loop Header: Depth=2
	s_sleep 1
	global_load_dwordx2 v[22:23], v31, s[2:3] offset:40
	global_load_dwordx2 v[32:33], v31, s[2:3]
	v_mov_b64_e32 v[24:25], v[6:7]
	s_waitcnt vmcnt(1)
	v_and_b32_e32 v6, v22, v24
	s_waitcnt vmcnt(0)
	v_mad_u64_u32 v[6:7], s[20:21], v6, 24, v[32:33]
	v_and_b32_e32 v23, v23, v25
	v_mov_b32_e32 v22, v7
	v_mad_u64_u32 v[22:23], s[20:21], v23, 24, v[22:23]
	v_mov_b32_e32 v7, v22
	global_load_dwordx2 v[22:23], v[6:7], off sc0 sc1
	s_waitcnt vmcnt(0)
	global_atomic_cmpswap_x2 v[6:7], v31, v[22:25], s[2:3] offset:24 sc0 sc1
	s_waitcnt vmcnt(0)
	buffer_inv sc0 sc1
	v_cmp_eq_u64_e32 vcc, v[6:7], v[24:25]
	s_or_b64 s[18:19], vcc, s[18:19]
	s_andn2_b64 exec, exec, s[18:19]
	s_cbranch_execnz .LBB12_547
; %bb.548:                              ;   in Loop: Header=BB12_489 Depth=1
	s_or_b64 exec, exec, s[18:19]
.LBB12_549:                             ;   in Loop: Header=BB12_489 Depth=1
	s_or_b64 exec, exec, s[16:17]
.LBB12_550:                             ;   in Loop: Header=BB12_489 Depth=1
	s_or_b64 exec, exec, s[14:15]
	global_load_dwordx2 v[32:33], v31, s[2:3] offset:40
	global_load_dwordx4 v[22:25], v31, s[2:3]
	v_readfirstlane_b32 s14, v6
	v_readfirstlane_b32 s15, v7
	s_mov_b64 s[16:17], exec
	s_waitcnt vmcnt(1)
	v_readfirstlane_b32 s18, v32
	v_readfirstlane_b32 s19, v33
	s_and_b64 s[18:19], s[14:15], s[18:19]
	s_mul_i32 s20, s19, 24
	s_mul_hi_u32 s21, s18, 24
	s_add_i32 s21, s21, s20
	s_mul_i32 s20, s18, 24
	s_waitcnt vmcnt(0)
	v_lshl_add_u64 v[32:33], v[22:23], 0, s[20:21]
	s_and_saveexec_b64 s[20:21], s[0:1]
	s_cbranch_execz .LBB12_552
; %bb.551:                              ;   in Loop: Header=BB12_489 Depth=1
	v_mov_b64_e32 v[6:7], s[16:17]
	global_store_dwordx4 v[32:33], v[6:9], off offset:8
.LBB12_552:                             ;   in Loop: Header=BB12_489 Depth=1
	s_or_b64 exec, exec, s[20:21]
	s_lshl_b64 s[16:17], s[18:19], 12
	v_lshl_add_u64 v[6:7], v[24:25], 0, s[16:17]
	v_or_b32_e32 v25, v0, v26
	v_cmp_gt_u64_e64 vcc, s[10:11], 56
	s_lshl_b32 s16, s12, 2
	s_add_i32 s16, s16, 28
	v_cndmask_b32_e32 v0, v25, v0, vcc
	v_or_b32_e32 v24, 0, v1
	s_and_b32 s16, s16, 0x1e0
	v_and_b32_e32 v0, 0xffffff1f, v0
	v_cndmask_b32_e32 v1, v24, v1, vcc
	v_or_b32_e32 v0, s16, v0
	v_readfirstlane_b32 s16, v6
	v_readfirstlane_b32 s17, v7
	s_nop 4
	global_store_dwordx4 v28, v[0:3], s[16:17]
	global_store_dwordx4 v28, v[10:13], s[16:17] offset:16
	global_store_dwordx4 v28, v[14:17], s[16:17] offset:32
	;; [unrolled: 1-line block ×3, first 2 shown]
	s_and_saveexec_b64 s[16:17], s[0:1]
	s_cbranch_execz .LBB12_560
; %bb.553:                              ;   in Loop: Header=BB12_489 Depth=1
	global_load_dwordx2 v[14:15], v31, s[2:3] offset:32 sc0 sc1
	global_load_dwordx2 v[0:1], v31, s[2:3] offset:40
	v_mov_b32_e32 v12, s14
	v_mov_b32_e32 v13, s15
	s_waitcnt vmcnt(0)
	v_readfirstlane_b32 s18, v0
	v_readfirstlane_b32 s19, v1
	s_and_b64 s[18:19], s[18:19], s[14:15]
	s_mul_i32 s19, s19, 24
	s_mul_hi_u32 s20, s18, 24
	s_mul_i32 s18, s18, 24
	s_add_i32 s19, s20, s19
	v_lshl_add_u64 v[10:11], v[22:23], 0, s[18:19]
	global_store_dwordx2 v[10:11], v[14:15], off
	buffer_wbl2 sc0 sc1
	s_waitcnt vmcnt(0)
	global_atomic_cmpswap_x2 v[2:3], v31, v[12:15], s[2:3] offset:32 sc0 sc1
	s_waitcnt vmcnt(0)
	v_cmp_ne_u64_e32 vcc, v[2:3], v[14:15]
	s_and_saveexec_b64 s[18:19], vcc
	s_cbranch_execz .LBB12_556
; %bb.554:                              ;   in Loop: Header=BB12_489 Depth=1
	s_mov_b64 s[20:21], 0
.LBB12_555:                             ;   Parent Loop BB12_489 Depth=1
                                        ; =>  This Inner Loop Header: Depth=2
	s_sleep 1
	global_store_dwordx2 v[10:11], v[2:3], off
	v_mov_b32_e32 v0, s14
	v_mov_b32_e32 v1, s15
	buffer_wbl2 sc0 sc1
	s_waitcnt vmcnt(0)
	global_atomic_cmpswap_x2 v[0:1], v31, v[0:3], s[2:3] offset:32 sc0 sc1
	s_waitcnt vmcnt(0)
	v_cmp_eq_u64_e32 vcc, v[0:1], v[2:3]
	s_or_b64 s[20:21], vcc, s[20:21]
	v_mov_b64_e32 v[2:3], v[0:1]
	s_andn2_b64 exec, exec, s[20:21]
	s_cbranch_execnz .LBB12_555
.LBB12_556:                             ;   in Loop: Header=BB12_489 Depth=1
	s_or_b64 exec, exec, s[18:19]
	global_load_dwordx2 v[0:1], v31, s[2:3] offset:16
	s_mov_b64 s[20:21], exec
	v_mbcnt_lo_u32_b32 v2, s20, 0
	v_mbcnt_hi_u32_b32 v2, s21, v2
	v_cmp_eq_u32_e32 vcc, 0, v2
	s_and_saveexec_b64 s[18:19], vcc
	s_cbranch_execz .LBB12_558
; %bb.557:                              ;   in Loop: Header=BB12_489 Depth=1
	s_bcnt1_i32_b64 s20, s[20:21]
	v_mov_b32_e32 v30, s20
	buffer_wbl2 sc0 sc1
	s_waitcnt vmcnt(0)
	global_atomic_add_x2 v[0:1], v[30:31], off offset:8 sc1
.LBB12_558:                             ;   in Loop: Header=BB12_489 Depth=1
	s_or_b64 exec, exec, s[18:19]
	s_waitcnt vmcnt(0)
	global_load_dwordx2 v[2:3], v[0:1], off offset:16
	s_waitcnt vmcnt(0)
	v_cmp_eq_u64_e32 vcc, 0, v[2:3]
	s_cbranch_vccnz .LBB12_560
; %bb.559:                              ;   in Loop: Header=BB12_489 Depth=1
	global_load_dword v30, v[0:1], off offset:24
	s_waitcnt vmcnt(0)
	v_and_b32_e32 v0, 0xffffff, v30
	s_nop 0
	v_readfirstlane_b32 m0, v0
	buffer_wbl2 sc0 sc1
	global_store_dwordx2 v[2:3], v[30:31], off sc0 sc1
	s_sendmsg sendmsg(MSG_INTERRUPT)
.LBB12_560:                             ;   in Loop: Header=BB12_489 Depth=1
	s_or_b64 exec, exec, s[16:17]
	v_mov_b32_e32 v29, v31
	v_lshl_add_u64 v[0:1], v[6:7], 0, v[28:29]
	s_branch .LBB12_564
.LBB12_561:                             ;   in Loop: Header=BB12_564 Depth=2
	s_or_b64 exec, exec, s[16:17]
	v_readfirstlane_b32 s16, v2
	s_cmp_eq_u32 s16, 0
	s_cbranch_scc1 .LBB12_563
; %bb.562:                              ;   in Loop: Header=BB12_564 Depth=2
	s_sleep 1
	s_cbranch_execnz .LBB12_564
	s_branch .LBB12_566
.LBB12_563:                             ;   in Loop: Header=BB12_489 Depth=1
	s_branch .LBB12_566
.LBB12_564:                             ;   Parent Loop BB12_489 Depth=1
                                        ; =>  This Inner Loop Header: Depth=2
	v_mov_b32_e32 v2, 1
	s_and_saveexec_b64 s[16:17], s[0:1]
	s_cbranch_execz .LBB12_561
; %bb.565:                              ;   in Loop: Header=BB12_564 Depth=2
	global_load_dword v2, v[32:33], off offset:20 sc0 sc1
	s_waitcnt vmcnt(0)
	buffer_inv sc0 sc1
	v_and_b32_e32 v2, 1, v2
	s_branch .LBB12_561
.LBB12_566:                             ;   in Loop: Header=BB12_489 Depth=1
	global_load_dwordx4 v[0:3], v[0:1], off
	s_and_saveexec_b64 s[16:17], s[0:1]
	s_cbranch_execz .LBB12_488
; %bb.567:                              ;   in Loop: Header=BB12_489 Depth=1
	global_load_dwordx2 v[2:3], v31, s[2:3] offset:40
	global_load_dwordx2 v[6:7], v31, s[2:3] offset:24 sc0 sc1
	global_load_dwordx2 v[14:15], v31, s[2:3]
	s_waitcnt vmcnt(2)
	v_lshl_add_u64 v[10:11], v[2:3], 0, 1
	v_lshl_add_u64 v[16:17], v[10:11], 0, s[14:15]
	v_cmp_eq_u64_e32 vcc, 0, v[16:17]
	s_waitcnt vmcnt(1)
	v_mov_b32_e32 v12, v6
	v_cndmask_b32_e32 v11, v17, v11, vcc
	v_cndmask_b32_e32 v10, v16, v10, vcc
	v_and_b32_e32 v3, v11, v3
	v_and_b32_e32 v2, v10, v2
	v_mul_lo_u32 v3, v3, 24
	v_mul_hi_u32 v13, v2, 24
	v_mul_lo_u32 v2, v2, 24
	v_add_u32_e32 v3, v13, v3
	s_waitcnt vmcnt(0)
	v_lshl_add_u64 v[2:3], v[14:15], 0, v[2:3]
	global_store_dwordx2 v[2:3], v[6:7], off
	v_mov_b32_e32 v13, v7
	buffer_wbl2 sc0 sc1
	s_waitcnt vmcnt(0)
	global_atomic_cmpswap_x2 v[12:13], v31, v[10:13], s[2:3] offset:24 sc0 sc1
	s_waitcnt vmcnt(0)
	v_cmp_ne_u64_e32 vcc, v[12:13], v[6:7]
	s_and_b64 exec, exec, vcc
	s_cbranch_execz .LBB12_488
; %bb.568:                              ;   in Loop: Header=BB12_489 Depth=1
	s_mov_b64 s[0:1], 0
.LBB12_569:                             ;   Parent Loop BB12_489 Depth=1
                                        ; =>  This Inner Loop Header: Depth=2
	s_sleep 1
	global_store_dwordx2 v[2:3], v[12:13], off
	buffer_wbl2 sc0 sc1
	s_waitcnt vmcnt(0)
	global_atomic_cmpswap_x2 v[6:7], v31, v[10:13], s[2:3] offset:24 sc0 sc1
	s_waitcnt vmcnt(0)
	v_cmp_eq_u64_e32 vcc, v[6:7], v[12:13]
	s_or_b64 s[0:1], vcc, s[0:1]
	v_mov_b64_e32 v[12:13], v[6:7]
	s_andn2_b64 exec, exec, s[0:1]
	s_cbranch_execnz .LBB12_569
	s_branch .LBB12_488
.LBB12_570:
	s_mov_b64 s[0:1], 0
	s_branch .LBB12_572
.LBB12_571:
	s_mov_b64 s[0:1], -1
                                        ; implicit-def: $vgpr0_vgpr1
.LBB12_572:
	s_and_b64 vcc, exec, s[0:1]
	s_cbranch_vccz .LBB12_599
; %bb.573:
	v_readfirstlane_b32 s0, v36
	v_mov_b64_e32 v[6:7], 0
	s_nop 0
	v_cmp_eq_u32_e64 s[0:1], s0, v36
	s_and_saveexec_b64 s[8:9], s[0:1]
	s_cbranch_execz .LBB12_579
; %bb.574:
	s_waitcnt vmcnt(0)
	v_mov_b32_e32 v0, 0
	global_load_dwordx2 v[8:9], v0, s[2:3] offset:24 sc0 sc1
	s_waitcnt vmcnt(0)
	buffer_inv sc0 sc1
	global_load_dwordx2 v[2:3], v0, s[2:3] offset:40
	global_load_dwordx2 v[6:7], v0, s[2:3]
	s_waitcnt vmcnt(1)
	v_and_b32_e32 v1, v2, v8
	v_and_b32_e32 v2, v3, v9
	v_mul_lo_u32 v2, v2, 24
	v_mul_hi_u32 v3, v1, 24
	v_add_u32_e32 v3, v3, v2
	v_mul_lo_u32 v2, v1, 24
	s_waitcnt vmcnt(0)
	v_lshl_add_u64 v[2:3], v[6:7], 0, v[2:3]
	global_load_dwordx2 v[6:7], v[2:3], off sc0 sc1
	s_waitcnt vmcnt(0)
	global_atomic_cmpswap_x2 v[6:7], v0, v[6:9], s[2:3] offset:24 sc0 sc1
	s_waitcnt vmcnt(0)
	buffer_inv sc0 sc1
	v_cmp_ne_u64_e32 vcc, v[6:7], v[8:9]
	s_and_saveexec_b64 s[10:11], vcc
	s_cbranch_execz .LBB12_578
; %bb.575:
	s_mov_b64 s[12:13], 0
.LBB12_576:                             ; =>This Inner Loop Header: Depth=1
	s_sleep 1
	global_load_dwordx2 v[2:3], v0, s[2:3] offset:40
	global_load_dwordx2 v[10:11], v0, s[2:3]
	v_mov_b64_e32 v[8:9], v[6:7]
	s_waitcnt vmcnt(1)
	v_and_b32_e32 v2, v2, v8
	v_and_b32_e32 v1, v3, v9
	s_waitcnt vmcnt(0)
	v_mad_u64_u32 v[2:3], s[14:15], v2, 24, v[10:11]
	v_mov_b32_e32 v6, v3
	v_mad_u64_u32 v[6:7], s[14:15], v1, 24, v[6:7]
	v_mov_b32_e32 v3, v6
	global_load_dwordx2 v[6:7], v[2:3], off sc0 sc1
	s_waitcnt vmcnt(0)
	global_atomic_cmpswap_x2 v[6:7], v0, v[6:9], s[2:3] offset:24 sc0 sc1
	s_waitcnt vmcnt(0)
	buffer_inv sc0 sc1
	v_cmp_eq_u64_e32 vcc, v[6:7], v[8:9]
	s_or_b64 s[12:13], vcc, s[12:13]
	s_andn2_b64 exec, exec, s[12:13]
	s_cbranch_execnz .LBB12_576
; %bb.577:
	s_or_b64 exec, exec, s[12:13]
.LBB12_578:
	s_or_b64 exec, exec, s[10:11]
.LBB12_579:
	s_or_b64 exec, exec, s[8:9]
	v_mov_b32_e32 v29, 0
	global_load_dwordx2 v[8:9], v29, s[2:3] offset:40
	global_load_dwordx4 v[0:3], v29, s[2:3]
	v_readfirstlane_b32 s8, v6
	v_readfirstlane_b32 s9, v7
	s_mov_b64 s[10:11], exec
	s_waitcnt vmcnt(1)
	v_readfirstlane_b32 s12, v8
	v_readfirstlane_b32 s13, v9
	s_and_b64 s[12:13], s[8:9], s[12:13]
	s_mul_i32 s14, s13, 24
	s_mul_hi_u32 s15, s12, 24
	s_add_i32 s15, s15, s14
	s_mul_i32 s14, s12, 24
	s_waitcnt vmcnt(0)
	v_lshl_add_u64 v[8:9], v[0:1], 0, s[14:15]
	s_and_saveexec_b64 s[14:15], s[0:1]
	s_cbranch_execz .LBB12_581
; %bb.580:
	v_mov_b64_e32 v[10:11], s[10:11]
	v_mov_b32_e32 v12, 2
	v_mov_b32_e32 v13, 1
	global_store_dwordx4 v[8:9], v[10:13], off offset:8
.LBB12_581:
	s_or_b64 exec, exec, s[14:15]
	s_lshl_b64 s[10:11], s[12:13], 12
	v_lshl_add_u64 v[10:11], v[2:3], 0, s[10:11]
	s_movk_i32 s10, 0xff1f
	s_mov_b32 s12, 0
	v_and_or_b32 v4, v4, s10, 32
	v_mov_b32_e32 v6, v29
	v_mov_b32_e32 v7, v29
	v_readfirstlane_b32 s10, v10
	v_readfirstlane_b32 s11, v11
	s_mov_b32 s13, s12
	s_mov_b32 s14, s12
	s_mov_b32 s15, s12
	s_nop 1
	global_store_dwordx4 v28, v[4:7], s[10:11]
	v_mov_b64_e32 v[2:3], s[12:13]
	s_nop 0
	v_mov_b64_e32 v[4:5], s[14:15]
	global_store_dwordx4 v28, v[2:5], s[10:11] offset:16
	global_store_dwordx4 v28, v[2:5], s[10:11] offset:32
	;; [unrolled: 1-line block ×3, first 2 shown]
	s_and_saveexec_b64 s[10:11], s[0:1]
	s_cbranch_execz .LBB12_589
; %bb.582:
	v_mov_b32_e32 v6, 0
	global_load_dwordx2 v[14:15], v6, s[2:3] offset:32 sc0 sc1
	global_load_dwordx2 v[2:3], v6, s[2:3] offset:40
	v_mov_b32_e32 v12, s8
	v_mov_b32_e32 v13, s9
	s_waitcnt vmcnt(0)
	v_readfirstlane_b32 s12, v2
	v_readfirstlane_b32 s13, v3
	s_and_b64 s[12:13], s[12:13], s[8:9]
	s_mul_i32 s13, s13, 24
	s_mul_hi_u32 s14, s12, 24
	s_mul_i32 s12, s12, 24
	s_add_i32 s13, s14, s13
	v_lshl_add_u64 v[4:5], v[0:1], 0, s[12:13]
	global_store_dwordx2 v[4:5], v[14:15], off
	buffer_wbl2 sc0 sc1
	s_waitcnt vmcnt(0)
	global_atomic_cmpswap_x2 v[2:3], v6, v[12:15], s[2:3] offset:32 sc0 sc1
	s_waitcnt vmcnt(0)
	v_cmp_ne_u64_e32 vcc, v[2:3], v[14:15]
	s_and_saveexec_b64 s[12:13], vcc
	s_cbranch_execz .LBB12_585
; %bb.583:
	s_mov_b64 s[14:15], 0
.LBB12_584:                             ; =>This Inner Loop Header: Depth=1
	s_sleep 1
	global_store_dwordx2 v[4:5], v[2:3], off
	v_mov_b32_e32 v0, s8
	v_mov_b32_e32 v1, s9
	buffer_wbl2 sc0 sc1
	s_waitcnt vmcnt(0)
	global_atomic_cmpswap_x2 v[0:1], v6, v[0:3], s[2:3] offset:32 sc0 sc1
	s_waitcnt vmcnt(0)
	v_cmp_eq_u64_e32 vcc, v[0:1], v[2:3]
	s_or_b64 s[14:15], vcc, s[14:15]
	v_mov_b64_e32 v[2:3], v[0:1]
	s_andn2_b64 exec, exec, s[14:15]
	s_cbranch_execnz .LBB12_584
.LBB12_585:
	s_or_b64 exec, exec, s[12:13]
	v_mov_b32_e32 v3, 0
	global_load_dwordx2 v[0:1], v3, s[2:3] offset:16
	s_mov_b64 s[12:13], exec
	v_mbcnt_lo_u32_b32 v2, s12, 0
	v_mbcnt_hi_u32_b32 v2, s13, v2
	v_cmp_eq_u32_e32 vcc, 0, v2
	s_and_saveexec_b64 s[14:15], vcc
	s_cbranch_execz .LBB12_587
; %bb.586:
	s_bcnt1_i32_b64 s12, s[12:13]
	v_mov_b32_e32 v2, s12
	buffer_wbl2 sc0 sc1
	s_waitcnt vmcnt(0)
	global_atomic_add_x2 v[0:1], v[2:3], off offset:8 sc1
.LBB12_587:
	s_or_b64 exec, exec, s[14:15]
	s_waitcnt vmcnt(0)
	global_load_dwordx2 v[2:3], v[0:1], off offset:16
	s_waitcnt vmcnt(0)
	v_cmp_eq_u64_e32 vcc, 0, v[2:3]
	s_cbranch_vccnz .LBB12_589
; %bb.588:
	global_load_dword v0, v[0:1], off offset:24
	v_mov_b32_e32 v1, 0
	buffer_wbl2 sc0 sc1
	s_waitcnt vmcnt(0)
	global_store_dwordx2 v[2:3], v[0:1], off sc0 sc1
	v_and_b32_e32 v0, 0xffffff, v0
	s_nop 0
	v_readfirstlane_b32 m0, v0
	s_sendmsg sendmsg(MSG_INTERRUPT)
.LBB12_589:
	s_or_b64 exec, exec, s[10:11]
	v_lshl_add_u64 v[0:1], v[10:11], 0, v[28:29]
	s_branch .LBB12_593
.LBB12_590:                             ;   in Loop: Header=BB12_593 Depth=1
	s_or_b64 exec, exec, s[10:11]
	v_readfirstlane_b32 s10, v2
	s_cmp_eq_u32 s10, 0
	s_cbranch_scc1 .LBB12_592
; %bb.591:                              ;   in Loop: Header=BB12_593 Depth=1
	s_sleep 1
	s_cbranch_execnz .LBB12_593
	s_branch .LBB12_595
.LBB12_592:
	s_branch .LBB12_595
.LBB12_593:                             ; =>This Inner Loop Header: Depth=1
	v_mov_b32_e32 v2, 1
	s_and_saveexec_b64 s[10:11], s[0:1]
	s_cbranch_execz .LBB12_590
; %bb.594:                              ;   in Loop: Header=BB12_593 Depth=1
	global_load_dword v2, v[8:9], off offset:20 sc0 sc1
	s_waitcnt vmcnt(0)
	buffer_inv sc0 sc1
	v_and_b32_e32 v2, 1, v2
	s_branch .LBB12_590
.LBB12_595:
	global_load_dwordx2 v[0:1], v[0:1], off
	s_and_saveexec_b64 s[10:11], s[0:1]
	s_cbranch_execz .LBB12_598
; %bb.596:
	v_mov_b32_e32 v8, 0
	global_load_dwordx2 v[6:7], v8, s[2:3] offset:40
	global_load_dwordx2 v[10:11], v8, s[2:3] offset:24 sc0 sc1
	global_load_dwordx2 v[12:13], v8, s[2:3]
	s_mov_b64 s[0:1], 0
	s_waitcnt vmcnt(2)
	v_lshl_add_u64 v[2:3], v[6:7], 0, 1
	v_lshl_add_u64 v[14:15], v[2:3], 0, s[8:9]
	v_cmp_eq_u64_e32 vcc, 0, v[14:15]
	s_waitcnt vmcnt(1)
	v_mov_b32_e32 v4, v10
	v_cndmask_b32_e32 v3, v15, v3, vcc
	v_cndmask_b32_e32 v2, v14, v2, vcc
	v_and_b32_e32 v5, v3, v7
	v_and_b32_e32 v6, v2, v6
	v_mul_lo_u32 v5, v5, 24
	v_mul_hi_u32 v7, v6, 24
	v_mul_lo_u32 v6, v6, 24
	v_add_u32_e32 v7, v7, v5
	s_waitcnt vmcnt(0)
	v_lshl_add_u64 v[6:7], v[12:13], 0, v[6:7]
	global_store_dwordx2 v[6:7], v[10:11], off
	v_mov_b32_e32 v5, v11
	buffer_wbl2 sc0 sc1
	s_waitcnt vmcnt(0)
	global_atomic_cmpswap_x2 v[4:5], v8, v[2:5], s[2:3] offset:24 sc0 sc1
	s_waitcnt vmcnt(0)
	v_cmp_ne_u64_e32 vcc, v[4:5], v[10:11]
	s_and_b64 exec, exec, vcc
	s_cbranch_execz .LBB12_598
.LBB12_597:                             ; =>This Inner Loop Header: Depth=1
	s_sleep 1
	global_store_dwordx2 v[6:7], v[4:5], off
	buffer_wbl2 sc0 sc1
	s_waitcnt vmcnt(0)
	global_atomic_cmpswap_x2 v[10:11], v8, v[2:5], s[2:3] offset:24 sc0 sc1
	s_waitcnt vmcnt(0)
	v_cmp_eq_u64_e32 vcc, v[10:11], v[4:5]
	s_or_b64 s[0:1], vcc, s[0:1]
	v_mov_b64_e32 v[4:5], v[10:11]
	s_andn2_b64 exec, exec, s[0:1]
	s_cbranch_execnz .LBB12_597
.LBB12_598:
	s_or_b64 exec, exec, s[10:11]
.LBB12_599:
	s_getpc_b64 s[8:9]
	s_add_u32 s8, s8, .str.1@rel32@lo+4
	s_addc_u32 s9, s9, .str.1@rel32@hi+12
	s_cmp_lg_u64 s[8:9], 0
	s_cbranch_scc0 .LBB12_684
; %bb.600:
	s_waitcnt vmcnt(0)
	v_and_b32_e32 v6, -3, v0
	v_mov_b32_e32 v7, v1
	s_mov_b64 s[10:11], 0x53
	v_mov_b32_e32 v27, 0
	v_mov_b32_e32 v4, 2
	;; [unrolled: 1-line block ×3, first 2 shown]
	s_branch .LBB12_602
.LBB12_601:                             ;   in Loop: Header=BB12_602 Depth=1
	s_or_b64 exec, exec, s[16:17]
	s_sub_u32 s10, s10, s12
	s_subb_u32 s11, s11, s13
	s_add_u32 s8, s8, s12
	s_addc_u32 s9, s9, s13
	s_cmp_lg_u64 s[10:11], 0
	s_cbranch_scc0 .LBB12_683
.LBB12_602:                             ; =>This Loop Header: Depth=1
                                        ;     Child Loop BB12_605 Depth 2
                                        ;     Child Loop BB12_612 Depth 2
	;; [unrolled: 1-line block ×11, first 2 shown]
	v_cmp_lt_u64_e64 s[0:1], s[10:11], 56
	s_and_b64 s[0:1], s[0:1], exec
	v_cmp_gt_u64_e64 s[0:1], s[10:11], 7
	s_cselect_b32 s13, s11, 0
	s_cselect_b32 s12, s10, 56
	s_and_b64 vcc, exec, s[0:1]
	s_cbranch_vccnz .LBB12_607
; %bb.603:                              ;   in Loop: Header=BB12_602 Depth=1
	s_mov_b64 s[0:1], 0
	s_cmp_eq_u64 s[10:11], 0
	s_waitcnt vmcnt(0)
	v_mov_b64_e32 v[8:9], 0
	s_cbranch_scc1 .LBB12_606
; %bb.604:                              ;   in Loop: Header=BB12_602 Depth=1
	s_lshl_b64 s[14:15], s[12:13], 3
	s_mov_b64 s[16:17], 0
	v_mov_b64_e32 v[8:9], 0
	s_mov_b64 s[18:19], s[8:9]
.LBB12_605:                             ;   Parent Loop BB12_602 Depth=1
                                        ; =>  This Inner Loop Header: Depth=2
	global_load_ubyte v2, v27, s[18:19]
	s_waitcnt vmcnt(0)
	v_and_b32_e32 v26, 0xffff, v2
	v_lshlrev_b64 v[2:3], s16, v[26:27]
	s_add_u32 s16, s16, 8
	s_addc_u32 s17, s17, 0
	s_add_u32 s18, s18, 1
	s_addc_u32 s19, s19, 0
	v_or_b32_e32 v8, v2, v8
	s_cmp_lg_u32 s14, s16
	v_or_b32_e32 v9, v3, v9
	s_cbranch_scc1 .LBB12_605
.LBB12_606:                             ;   in Loop: Header=BB12_602 Depth=1
	s_mov_b32 s18, 0
	s_andn2_b64 vcc, exec, s[0:1]
	s_mov_b64 s[0:1], s[8:9]
	s_cbranch_vccz .LBB12_608
	s_branch .LBB12_609
.LBB12_607:                             ;   in Loop: Header=BB12_602 Depth=1
                                        ; implicit-def: $sgpr18
	s_mov_b64 s[0:1], s[8:9]
.LBB12_608:                             ;   in Loop: Header=BB12_602 Depth=1
	global_load_dwordx2 v[8:9], v27, s[8:9]
	s_add_i32 s18, s12, -8
	s_add_u32 s0, s8, 8
	s_addc_u32 s1, s9, 0
.LBB12_609:                             ;   in Loop: Header=BB12_602 Depth=1
	s_cmp_gt_u32 s18, 7
	s_cbranch_scc1 .LBB12_613
; %bb.610:                              ;   in Loop: Header=BB12_602 Depth=1
	s_cmp_eq_u32 s18, 0
	s_cbranch_scc1 .LBB12_614
; %bb.611:                              ;   in Loop: Header=BB12_602 Depth=1
	s_mov_b64 s[14:15], 0
	v_mov_b64_e32 v[10:11], 0
	s_mov_b64 s[16:17], 0
.LBB12_612:                             ;   Parent Loop BB12_602 Depth=1
                                        ; =>  This Inner Loop Header: Depth=2
	s_add_u32 s20, s0, s16
	s_addc_u32 s21, s1, s17
	global_load_ubyte v2, v27, s[20:21]
	s_add_u32 s16, s16, 1
	s_addc_u32 s17, s17, 0
	s_waitcnt vmcnt(0)
	v_and_b32_e32 v26, 0xffff, v2
	v_lshlrev_b64 v[2:3], s14, v[26:27]
	s_add_u32 s14, s14, 8
	s_addc_u32 s15, s15, 0
	v_or_b32_e32 v10, v2, v10
	s_cmp_lg_u32 s18, s16
	v_or_b32_e32 v11, v3, v11
	s_cbranch_scc1 .LBB12_612
	s_branch .LBB12_615
.LBB12_613:                             ;   in Loop: Header=BB12_602 Depth=1
                                        ; implicit-def: $vgpr10_vgpr11
                                        ; implicit-def: $sgpr19
	s_branch .LBB12_616
.LBB12_614:                             ;   in Loop: Header=BB12_602 Depth=1
	v_mov_b64_e32 v[10:11], 0
.LBB12_615:                             ;   in Loop: Header=BB12_602 Depth=1
	s_mov_b32 s19, 0
	s_cbranch_execnz .LBB12_617
.LBB12_616:                             ;   in Loop: Header=BB12_602 Depth=1
	global_load_dwordx2 v[10:11], v27, s[0:1]
	s_add_i32 s19, s18, -8
	s_add_u32 s0, s0, 8
	s_addc_u32 s1, s1, 0
.LBB12_617:                             ;   in Loop: Header=BB12_602 Depth=1
	s_cmp_gt_u32 s19, 7
	s_cbranch_scc1 .LBB12_621
; %bb.618:                              ;   in Loop: Header=BB12_602 Depth=1
	s_cmp_eq_u32 s19, 0
	s_cbranch_scc1 .LBB12_622
; %bb.619:                              ;   in Loop: Header=BB12_602 Depth=1
	s_mov_b64 s[14:15], 0
	v_mov_b64_e32 v[12:13], 0
	s_mov_b64 s[16:17], 0
.LBB12_620:                             ;   Parent Loop BB12_602 Depth=1
                                        ; =>  This Inner Loop Header: Depth=2
	s_add_u32 s20, s0, s16
	s_addc_u32 s21, s1, s17
	global_load_ubyte v2, v27, s[20:21]
	s_add_u32 s16, s16, 1
	s_addc_u32 s17, s17, 0
	s_waitcnt vmcnt(0)
	v_and_b32_e32 v26, 0xffff, v2
	v_lshlrev_b64 v[2:3], s14, v[26:27]
	s_add_u32 s14, s14, 8
	s_addc_u32 s15, s15, 0
	v_or_b32_e32 v12, v2, v12
	s_cmp_lg_u32 s19, s16
	v_or_b32_e32 v13, v3, v13
	s_cbranch_scc1 .LBB12_620
	s_branch .LBB12_623
.LBB12_621:                             ;   in Loop: Header=BB12_602 Depth=1
                                        ; implicit-def: $sgpr18
	s_branch .LBB12_624
.LBB12_622:                             ;   in Loop: Header=BB12_602 Depth=1
	v_mov_b64_e32 v[12:13], 0
.LBB12_623:                             ;   in Loop: Header=BB12_602 Depth=1
	s_mov_b32 s18, 0
	s_cbranch_execnz .LBB12_625
.LBB12_624:                             ;   in Loop: Header=BB12_602 Depth=1
	global_load_dwordx2 v[12:13], v27, s[0:1]
	s_add_i32 s18, s19, -8
	s_add_u32 s0, s0, 8
	s_addc_u32 s1, s1, 0
.LBB12_625:                             ;   in Loop: Header=BB12_602 Depth=1
	s_cmp_gt_u32 s18, 7
	s_cbranch_scc1 .LBB12_629
; %bb.626:                              ;   in Loop: Header=BB12_602 Depth=1
	s_cmp_eq_u32 s18, 0
	s_cbranch_scc1 .LBB12_630
; %bb.627:                              ;   in Loop: Header=BB12_602 Depth=1
	s_mov_b64 s[14:15], 0
	v_mov_b64_e32 v[14:15], 0
	s_mov_b64 s[16:17], 0
.LBB12_628:                             ;   Parent Loop BB12_602 Depth=1
                                        ; =>  This Inner Loop Header: Depth=2
	s_add_u32 s20, s0, s16
	s_addc_u32 s21, s1, s17
	global_load_ubyte v2, v27, s[20:21]
	s_add_u32 s16, s16, 1
	s_addc_u32 s17, s17, 0
	s_waitcnt vmcnt(0)
	v_and_b32_e32 v26, 0xffff, v2
	v_lshlrev_b64 v[2:3], s14, v[26:27]
	s_add_u32 s14, s14, 8
	s_addc_u32 s15, s15, 0
	v_or_b32_e32 v14, v2, v14
	s_cmp_lg_u32 s18, s16
	v_or_b32_e32 v15, v3, v15
	s_cbranch_scc1 .LBB12_628
	s_branch .LBB12_631
.LBB12_629:                             ;   in Loop: Header=BB12_602 Depth=1
                                        ; implicit-def: $vgpr14_vgpr15
                                        ; implicit-def: $sgpr19
	s_branch .LBB12_632
.LBB12_630:                             ;   in Loop: Header=BB12_602 Depth=1
	v_mov_b64_e32 v[14:15], 0
.LBB12_631:                             ;   in Loop: Header=BB12_602 Depth=1
	s_mov_b32 s19, 0
	s_cbranch_execnz .LBB12_633
.LBB12_632:                             ;   in Loop: Header=BB12_602 Depth=1
	global_load_dwordx2 v[14:15], v27, s[0:1]
	s_add_i32 s19, s18, -8
	s_add_u32 s0, s0, 8
	s_addc_u32 s1, s1, 0
.LBB12_633:                             ;   in Loop: Header=BB12_602 Depth=1
	s_cmp_gt_u32 s19, 7
	s_cbranch_scc1 .LBB12_637
; %bb.634:                              ;   in Loop: Header=BB12_602 Depth=1
	s_cmp_eq_u32 s19, 0
	s_cbranch_scc1 .LBB12_638
; %bb.635:                              ;   in Loop: Header=BB12_602 Depth=1
	s_mov_b64 s[14:15], 0
	v_mov_b64_e32 v[16:17], 0
	s_mov_b64 s[16:17], 0
.LBB12_636:                             ;   Parent Loop BB12_602 Depth=1
                                        ; =>  This Inner Loop Header: Depth=2
	s_add_u32 s20, s0, s16
	s_addc_u32 s21, s1, s17
	global_load_ubyte v2, v27, s[20:21]
	s_add_u32 s16, s16, 1
	s_addc_u32 s17, s17, 0
	s_waitcnt vmcnt(0)
	v_and_b32_e32 v26, 0xffff, v2
	v_lshlrev_b64 v[2:3], s14, v[26:27]
	s_add_u32 s14, s14, 8
	s_addc_u32 s15, s15, 0
	v_or_b32_e32 v16, v2, v16
	s_cmp_lg_u32 s19, s16
	v_or_b32_e32 v17, v3, v17
	s_cbranch_scc1 .LBB12_636
	s_branch .LBB12_639
.LBB12_637:                             ;   in Loop: Header=BB12_602 Depth=1
                                        ; implicit-def: $sgpr18
	s_branch .LBB12_640
.LBB12_638:                             ;   in Loop: Header=BB12_602 Depth=1
	v_mov_b64_e32 v[16:17], 0
.LBB12_639:                             ;   in Loop: Header=BB12_602 Depth=1
	s_mov_b32 s18, 0
	s_cbranch_execnz .LBB12_641
.LBB12_640:                             ;   in Loop: Header=BB12_602 Depth=1
	global_load_dwordx2 v[16:17], v27, s[0:1]
	s_add_i32 s18, s19, -8
	s_add_u32 s0, s0, 8
	s_addc_u32 s1, s1, 0
.LBB12_641:                             ;   in Loop: Header=BB12_602 Depth=1
	s_cmp_gt_u32 s18, 7
	s_cbranch_scc1 .LBB12_645
; %bb.642:                              ;   in Loop: Header=BB12_602 Depth=1
	s_cmp_eq_u32 s18, 0
	s_cbranch_scc1 .LBB12_646
; %bb.643:                              ;   in Loop: Header=BB12_602 Depth=1
	s_mov_b64 s[14:15], 0
	v_mov_b64_e32 v[18:19], 0
	s_mov_b64 s[16:17], 0
.LBB12_644:                             ;   Parent Loop BB12_602 Depth=1
                                        ; =>  This Inner Loop Header: Depth=2
	s_add_u32 s20, s0, s16
	s_addc_u32 s21, s1, s17
	global_load_ubyte v2, v27, s[20:21]
	s_add_u32 s16, s16, 1
	s_addc_u32 s17, s17, 0
	s_waitcnt vmcnt(0)
	v_and_b32_e32 v26, 0xffff, v2
	v_lshlrev_b64 v[2:3], s14, v[26:27]
	s_add_u32 s14, s14, 8
	s_addc_u32 s15, s15, 0
	v_or_b32_e32 v18, v2, v18
	s_cmp_lg_u32 s18, s16
	v_or_b32_e32 v19, v3, v19
	s_cbranch_scc1 .LBB12_644
	s_branch .LBB12_647
.LBB12_645:                             ;   in Loop: Header=BB12_602 Depth=1
                                        ; implicit-def: $vgpr18_vgpr19
                                        ; implicit-def: $sgpr19
	s_branch .LBB12_648
.LBB12_646:                             ;   in Loop: Header=BB12_602 Depth=1
	v_mov_b64_e32 v[18:19], 0
.LBB12_647:                             ;   in Loop: Header=BB12_602 Depth=1
	s_mov_b32 s19, 0
	s_cbranch_execnz .LBB12_649
.LBB12_648:                             ;   in Loop: Header=BB12_602 Depth=1
	global_load_dwordx2 v[18:19], v27, s[0:1]
	s_add_i32 s19, s18, -8
	s_add_u32 s0, s0, 8
	s_addc_u32 s1, s1, 0
.LBB12_649:                             ;   in Loop: Header=BB12_602 Depth=1
	s_cmp_gt_u32 s19, 7
	s_cbranch_scc1 .LBB12_653
; %bb.650:                              ;   in Loop: Header=BB12_602 Depth=1
	s_cmp_eq_u32 s19, 0
	s_cbranch_scc1 .LBB12_654
; %bb.651:                              ;   in Loop: Header=BB12_602 Depth=1
	s_mov_b64 s[14:15], 0
	v_mov_b64_e32 v[20:21], 0
	s_mov_b64 s[16:17], s[0:1]
.LBB12_652:                             ;   Parent Loop BB12_602 Depth=1
                                        ; =>  This Inner Loop Header: Depth=2
	global_load_ubyte v2, v27, s[16:17]
	s_add_i32 s19, s19, -1
	s_waitcnt vmcnt(0)
	v_and_b32_e32 v26, 0xffff, v2
	v_lshlrev_b64 v[2:3], s14, v[26:27]
	s_add_u32 s14, s14, 8
	s_addc_u32 s15, s15, 0
	s_add_u32 s16, s16, 1
	s_addc_u32 s17, s17, 0
	v_or_b32_e32 v20, v2, v20
	s_cmp_lg_u32 s19, 0
	v_or_b32_e32 v21, v3, v21
	s_cbranch_scc1 .LBB12_652
	s_branch .LBB12_655
.LBB12_653:                             ;   in Loop: Header=BB12_602 Depth=1
	s_branch .LBB12_656
.LBB12_654:                             ;   in Loop: Header=BB12_602 Depth=1
	v_mov_b64_e32 v[20:21], 0
.LBB12_655:                             ;   in Loop: Header=BB12_602 Depth=1
	s_cbranch_execnz .LBB12_657
.LBB12_656:                             ;   in Loop: Header=BB12_602 Depth=1
	global_load_dwordx2 v[20:21], v27, s[0:1]
.LBB12_657:                             ;   in Loop: Header=BB12_602 Depth=1
	v_readfirstlane_b32 s0, v36
	v_mov_b64_e32 v[2:3], 0
	s_nop 0
	v_cmp_eq_u32_e64 s[0:1], s0, v36
	s_and_saveexec_b64 s[14:15], s[0:1]
	s_cbranch_execz .LBB12_663
; %bb.658:                              ;   in Loop: Header=BB12_602 Depth=1
	global_load_dwordx2 v[24:25], v27, s[2:3] offset:24 sc0 sc1
	s_waitcnt vmcnt(0)
	buffer_inv sc0 sc1
	global_load_dwordx2 v[2:3], v27, s[2:3] offset:40
	global_load_dwordx2 v[22:23], v27, s[2:3]
	s_waitcnt vmcnt(1)
	v_and_b32_e32 v2, v2, v24
	v_and_b32_e32 v3, v3, v25
	v_mul_lo_u32 v3, v3, 24
	v_mul_hi_u32 v26, v2, 24
	v_add_u32_e32 v3, v26, v3
	v_mul_lo_u32 v2, v2, 24
	s_waitcnt vmcnt(0)
	v_lshl_add_u64 v[2:3], v[22:23], 0, v[2:3]
	global_load_dwordx2 v[22:23], v[2:3], off sc0 sc1
	s_waitcnt vmcnt(0)
	global_atomic_cmpswap_x2 v[2:3], v27, v[22:25], s[2:3] offset:24 sc0 sc1
	s_waitcnt vmcnt(0)
	buffer_inv sc0 sc1
	v_cmp_ne_u64_e32 vcc, v[2:3], v[24:25]
	s_and_saveexec_b64 s[16:17], vcc
	s_cbranch_execz .LBB12_662
; %bb.659:                              ;   in Loop: Header=BB12_602 Depth=1
	s_mov_b64 s[18:19], 0
.LBB12_660:                             ;   Parent Loop BB12_602 Depth=1
                                        ; =>  This Inner Loop Header: Depth=2
	s_sleep 1
	global_load_dwordx2 v[22:23], v27, s[2:3] offset:40
	global_load_dwordx2 v[30:31], v27, s[2:3]
	v_mov_b64_e32 v[24:25], v[2:3]
	s_waitcnt vmcnt(1)
	v_and_b32_e32 v2, v22, v24
	s_waitcnt vmcnt(0)
	v_mad_u64_u32 v[2:3], s[20:21], v2, 24, v[30:31]
	v_and_b32_e32 v23, v23, v25
	v_mov_b32_e32 v22, v3
	v_mad_u64_u32 v[22:23], s[20:21], v23, 24, v[22:23]
	v_mov_b32_e32 v3, v22
	global_load_dwordx2 v[22:23], v[2:3], off sc0 sc1
	s_waitcnt vmcnt(0)
	global_atomic_cmpswap_x2 v[2:3], v27, v[22:25], s[2:3] offset:24 sc0 sc1
	s_waitcnt vmcnt(0)
	buffer_inv sc0 sc1
	v_cmp_eq_u64_e32 vcc, v[2:3], v[24:25]
	s_or_b64 s[18:19], vcc, s[18:19]
	s_andn2_b64 exec, exec, s[18:19]
	s_cbranch_execnz .LBB12_660
; %bb.661:                              ;   in Loop: Header=BB12_602 Depth=1
	s_or_b64 exec, exec, s[18:19]
.LBB12_662:                             ;   in Loop: Header=BB12_602 Depth=1
	s_or_b64 exec, exec, s[16:17]
.LBB12_663:                             ;   in Loop: Header=BB12_602 Depth=1
	s_or_b64 exec, exec, s[14:15]
	global_load_dwordx2 v[30:31], v27, s[2:3] offset:40
	global_load_dwordx4 v[22:25], v27, s[2:3]
	v_readfirstlane_b32 s14, v2
	v_readfirstlane_b32 s15, v3
	s_mov_b64 s[16:17], exec
	s_waitcnt vmcnt(1)
	v_readfirstlane_b32 s18, v30
	v_readfirstlane_b32 s19, v31
	s_and_b64 s[18:19], s[14:15], s[18:19]
	s_mul_i32 s20, s19, 24
	s_mul_hi_u32 s21, s18, 24
	s_add_i32 s21, s21, s20
	s_mul_i32 s20, s18, 24
	s_waitcnt vmcnt(0)
	v_lshl_add_u64 v[30:31], v[22:23], 0, s[20:21]
	s_and_saveexec_b64 s[20:21], s[0:1]
	s_cbranch_execz .LBB12_665
; %bb.664:                              ;   in Loop: Header=BB12_602 Depth=1
	v_mov_b64_e32 v[2:3], s[16:17]
	global_store_dwordx4 v[30:31], v[2:5], off offset:8
.LBB12_665:                             ;   in Loop: Header=BB12_602 Depth=1
	s_or_b64 exec, exec, s[20:21]
	s_lshl_b64 s[16:17], s[18:19], 12
	v_lshl_add_u64 v[2:3], v[24:25], 0, s[16:17]
	v_or_b32_e32 v24, 2, v6
	v_cmp_gt_u64_e64 vcc, s[10:11], 56
	s_lshl_b32 s16, s12, 2
	s_add_i32 s16, s16, 28
	v_cndmask_b32_e32 v6, v24, v6, vcc
	s_and_b32 s16, s16, 0x1e0
	v_and_b32_e32 v6, 0xffffff1f, v6
	v_or_b32_e32 v6, s16, v6
	v_readfirstlane_b32 s16, v2
	v_readfirstlane_b32 s17, v3
	s_nop 4
	global_store_dwordx4 v28, v[6:9], s[16:17]
	global_store_dwordx4 v28, v[10:13], s[16:17] offset:16
	global_store_dwordx4 v28, v[14:17], s[16:17] offset:32
	;; [unrolled: 1-line block ×3, first 2 shown]
	s_and_saveexec_b64 s[16:17], s[0:1]
	s_cbranch_execz .LBB12_673
; %bb.666:                              ;   in Loop: Header=BB12_602 Depth=1
	global_load_dwordx2 v[14:15], v27, s[2:3] offset:32 sc0 sc1
	global_load_dwordx2 v[6:7], v27, s[2:3] offset:40
	v_mov_b32_e32 v12, s14
	v_mov_b32_e32 v13, s15
	s_waitcnt vmcnt(0)
	v_readfirstlane_b32 s18, v6
	v_readfirstlane_b32 s19, v7
	s_and_b64 s[18:19], s[18:19], s[14:15]
	s_mul_i32 s19, s19, 24
	s_mul_hi_u32 s20, s18, 24
	s_mul_i32 s18, s18, 24
	s_add_i32 s19, s20, s19
	v_lshl_add_u64 v[10:11], v[22:23], 0, s[18:19]
	global_store_dwordx2 v[10:11], v[14:15], off
	buffer_wbl2 sc0 sc1
	s_waitcnt vmcnt(0)
	global_atomic_cmpswap_x2 v[8:9], v27, v[12:15], s[2:3] offset:32 sc0 sc1
	s_waitcnt vmcnt(0)
	v_cmp_ne_u64_e32 vcc, v[8:9], v[14:15]
	s_and_saveexec_b64 s[18:19], vcc
	s_cbranch_execz .LBB12_669
; %bb.667:                              ;   in Loop: Header=BB12_602 Depth=1
	s_mov_b64 s[20:21], 0
.LBB12_668:                             ;   Parent Loop BB12_602 Depth=1
                                        ; =>  This Inner Loop Header: Depth=2
	s_sleep 1
	global_store_dwordx2 v[10:11], v[8:9], off
	v_mov_b32_e32 v6, s14
	v_mov_b32_e32 v7, s15
	buffer_wbl2 sc0 sc1
	s_waitcnt vmcnt(0)
	global_atomic_cmpswap_x2 v[6:7], v27, v[6:9], s[2:3] offset:32 sc0 sc1
	s_waitcnt vmcnt(0)
	v_cmp_eq_u64_e32 vcc, v[6:7], v[8:9]
	s_or_b64 s[20:21], vcc, s[20:21]
	v_mov_b64_e32 v[8:9], v[6:7]
	s_andn2_b64 exec, exec, s[20:21]
	s_cbranch_execnz .LBB12_668
.LBB12_669:                             ;   in Loop: Header=BB12_602 Depth=1
	s_or_b64 exec, exec, s[18:19]
	global_load_dwordx2 v[6:7], v27, s[2:3] offset:16
	s_mov_b64 s[20:21], exec
	v_mbcnt_lo_u32_b32 v8, s20, 0
	v_mbcnt_hi_u32_b32 v8, s21, v8
	v_cmp_eq_u32_e32 vcc, 0, v8
	s_and_saveexec_b64 s[18:19], vcc
	s_cbranch_execz .LBB12_671
; %bb.670:                              ;   in Loop: Header=BB12_602 Depth=1
	s_bcnt1_i32_b64 s20, s[20:21]
	v_mov_b32_e32 v26, s20
	buffer_wbl2 sc0 sc1
	s_waitcnt vmcnt(0)
	global_atomic_add_x2 v[6:7], v[26:27], off offset:8 sc1
.LBB12_671:                             ;   in Loop: Header=BB12_602 Depth=1
	s_or_b64 exec, exec, s[18:19]
	s_waitcnt vmcnt(0)
	global_load_dwordx2 v[8:9], v[6:7], off offset:16
	s_waitcnt vmcnt(0)
	v_cmp_eq_u64_e32 vcc, 0, v[8:9]
	s_cbranch_vccnz .LBB12_673
; %bb.672:                              ;   in Loop: Header=BB12_602 Depth=1
	global_load_dword v26, v[6:7], off offset:24
	s_waitcnt vmcnt(0)
	v_and_b32_e32 v6, 0xffffff, v26
	s_nop 0
	v_readfirstlane_b32 m0, v6
	buffer_wbl2 sc0 sc1
	global_store_dwordx2 v[8:9], v[26:27], off sc0 sc1
	s_sendmsg sendmsg(MSG_INTERRUPT)
.LBB12_673:                             ;   in Loop: Header=BB12_602 Depth=1
	s_or_b64 exec, exec, s[16:17]
	v_mov_b32_e32 v29, v27
	v_lshl_add_u64 v[2:3], v[2:3], 0, v[28:29]
	s_branch .LBB12_677
.LBB12_674:                             ;   in Loop: Header=BB12_677 Depth=2
	s_or_b64 exec, exec, s[16:17]
	v_readfirstlane_b32 s16, v6
	s_cmp_eq_u32 s16, 0
	s_cbranch_scc1 .LBB12_676
; %bb.675:                              ;   in Loop: Header=BB12_677 Depth=2
	s_sleep 1
	s_cbranch_execnz .LBB12_677
	s_branch .LBB12_679
.LBB12_676:                             ;   in Loop: Header=BB12_602 Depth=1
	s_branch .LBB12_679
.LBB12_677:                             ;   Parent Loop BB12_602 Depth=1
                                        ; =>  This Inner Loop Header: Depth=2
	v_mov_b32_e32 v6, 1
	s_and_saveexec_b64 s[16:17], s[0:1]
	s_cbranch_execz .LBB12_674
; %bb.678:                              ;   in Loop: Header=BB12_677 Depth=2
	global_load_dword v6, v[30:31], off offset:20 sc0 sc1
	s_waitcnt vmcnt(0)
	buffer_inv sc0 sc1
	v_and_b32_e32 v6, 1, v6
	s_branch .LBB12_674
.LBB12_679:                             ;   in Loop: Header=BB12_602 Depth=1
	global_load_dwordx4 v[6:9], v[2:3], off
	s_and_saveexec_b64 s[16:17], s[0:1]
	s_cbranch_execz .LBB12_601
; %bb.680:                              ;   in Loop: Header=BB12_602 Depth=1
	global_load_dwordx2 v[2:3], v27, s[2:3] offset:40
	global_load_dwordx2 v[12:13], v27, s[2:3] offset:24 sc0 sc1
	global_load_dwordx2 v[14:15], v27, s[2:3]
	s_waitcnt vmcnt(2)
	v_lshl_add_u64 v[8:9], v[2:3], 0, 1
	v_lshl_add_u64 v[16:17], v[8:9], 0, s[14:15]
	v_cmp_eq_u64_e32 vcc, 0, v[16:17]
	s_waitcnt vmcnt(1)
	v_mov_b32_e32 v10, v12
	v_cndmask_b32_e32 v9, v17, v9, vcc
	v_cndmask_b32_e32 v8, v16, v8, vcc
	v_and_b32_e32 v3, v9, v3
	v_and_b32_e32 v2, v8, v2
	v_mul_lo_u32 v3, v3, 24
	v_mul_hi_u32 v11, v2, 24
	v_mul_lo_u32 v2, v2, 24
	v_add_u32_e32 v3, v11, v3
	s_waitcnt vmcnt(0)
	v_lshl_add_u64 v[2:3], v[14:15], 0, v[2:3]
	global_store_dwordx2 v[2:3], v[12:13], off
	v_mov_b32_e32 v11, v13
	buffer_wbl2 sc0 sc1
	s_waitcnt vmcnt(0)
	global_atomic_cmpswap_x2 v[10:11], v27, v[8:11], s[2:3] offset:24 sc0 sc1
	s_waitcnt vmcnt(0)
	v_cmp_ne_u64_e32 vcc, v[10:11], v[12:13]
	s_and_b64 exec, exec, vcc
	s_cbranch_execz .LBB12_601
; %bb.681:                              ;   in Loop: Header=BB12_602 Depth=1
	s_mov_b64 s[0:1], 0
.LBB12_682:                             ;   Parent Loop BB12_602 Depth=1
                                        ; =>  This Inner Loop Header: Depth=2
	s_sleep 1
	global_store_dwordx2 v[2:3], v[10:11], off
	buffer_wbl2 sc0 sc1
	s_waitcnt vmcnt(0)
	global_atomic_cmpswap_x2 v[12:13], v27, v[8:11], s[2:3] offset:24 sc0 sc1
	s_waitcnt vmcnt(0)
	v_cmp_eq_u64_e32 vcc, v[12:13], v[10:11]
	s_or_b64 s[0:1], vcc, s[0:1]
	v_mov_b64_e32 v[10:11], v[12:13]
	s_andn2_b64 exec, exec, s[0:1]
	s_cbranch_execnz .LBB12_682
	s_branch .LBB12_601
.LBB12_683:
	s_mov_b64 s[0:1], 0
	s_branch .LBB12_685
.LBB12_684:
	s_mov_b64 s[0:1], -1
.LBB12_685:
	s_and_b64 vcc, exec, s[0:1]
	s_cbranch_vccz .LBB12_712
; %bb.686:
	v_readfirstlane_b32 s0, v36
	s_waitcnt vmcnt(0)
	v_mov_b64_e32 v[8:9], 0
	v_cmp_eq_u32_e64 s[0:1], s0, v36
	s_and_saveexec_b64 s[8:9], s[0:1]
	s_cbranch_execz .LBB12_692
; %bb.687:
	v_mov_b32_e32 v2, 0
	global_load_dwordx2 v[6:7], v2, s[2:3] offset:24 sc0 sc1
	s_waitcnt vmcnt(0)
	buffer_inv sc0 sc1
	global_load_dwordx2 v[4:5], v2, s[2:3] offset:40
	global_load_dwordx2 v[8:9], v2, s[2:3]
	s_waitcnt vmcnt(1)
	v_and_b32_e32 v3, v4, v6
	v_and_b32_e32 v4, v5, v7
	v_mul_lo_u32 v4, v4, 24
	v_mul_hi_u32 v5, v3, 24
	v_add_u32_e32 v5, v5, v4
	v_mul_lo_u32 v4, v3, 24
	s_waitcnt vmcnt(0)
	v_lshl_add_u64 v[4:5], v[8:9], 0, v[4:5]
	global_load_dwordx2 v[4:5], v[4:5], off sc0 sc1
	s_waitcnt vmcnt(0)
	global_atomic_cmpswap_x2 v[8:9], v2, v[4:7], s[2:3] offset:24 sc0 sc1
	s_waitcnt vmcnt(0)
	buffer_inv sc0 sc1
	v_cmp_ne_u64_e32 vcc, v[8:9], v[6:7]
	s_and_saveexec_b64 s[10:11], vcc
	s_cbranch_execz .LBB12_691
; %bb.688:
	s_mov_b64 s[12:13], 0
.LBB12_689:                             ; =>This Inner Loop Header: Depth=1
	s_sleep 1
	global_load_dwordx2 v[4:5], v2, s[2:3] offset:40
	global_load_dwordx2 v[10:11], v2, s[2:3]
	v_mov_b64_e32 v[6:7], v[8:9]
	s_waitcnt vmcnt(1)
	v_and_b32_e32 v4, v4, v6
	v_and_b32_e32 v3, v5, v7
	s_waitcnt vmcnt(0)
	v_mad_u64_u32 v[4:5], s[14:15], v4, 24, v[10:11]
	v_mov_b32_e32 v8, v5
	v_mad_u64_u32 v[8:9], s[14:15], v3, 24, v[8:9]
	v_mov_b32_e32 v5, v8
	global_load_dwordx2 v[4:5], v[4:5], off sc0 sc1
	s_waitcnt vmcnt(0)
	global_atomic_cmpswap_x2 v[8:9], v2, v[4:7], s[2:3] offset:24 sc0 sc1
	s_waitcnt vmcnt(0)
	buffer_inv sc0 sc1
	v_cmp_eq_u64_e32 vcc, v[8:9], v[6:7]
	s_or_b64 s[12:13], vcc, s[12:13]
	s_andn2_b64 exec, exec, s[12:13]
	s_cbranch_execnz .LBB12_689
; %bb.690:
	s_or_b64 exec, exec, s[12:13]
.LBB12_691:
	s_or_b64 exec, exec, s[10:11]
.LBB12_692:
	s_or_b64 exec, exec, s[8:9]
	v_mov_b32_e32 v2, 0
	global_load_dwordx2 v[10:11], v2, s[2:3] offset:40
	global_load_dwordx4 v[4:7], v2, s[2:3]
	v_readfirstlane_b32 s8, v8
	v_readfirstlane_b32 s9, v9
	s_mov_b64 s[10:11], exec
	s_waitcnt vmcnt(1)
	v_readfirstlane_b32 s12, v10
	v_readfirstlane_b32 s13, v11
	s_and_b64 s[12:13], s[8:9], s[12:13]
	s_mul_i32 s14, s13, 24
	s_mul_hi_u32 s15, s12, 24
	s_add_i32 s15, s15, s14
	s_mul_i32 s14, s12, 24
	s_waitcnt vmcnt(0)
	v_lshl_add_u64 v[8:9], v[4:5], 0, s[14:15]
	s_and_saveexec_b64 s[14:15], s[0:1]
	s_cbranch_execz .LBB12_694
; %bb.693:
	v_mov_b64_e32 v[10:11], s[10:11]
	v_mov_b32_e32 v12, 2
	v_mov_b32_e32 v13, 1
	global_store_dwordx4 v[8:9], v[10:13], off offset:8
.LBB12_694:
	s_or_b64 exec, exec, s[14:15]
	s_lshl_b64 s[10:11], s[12:13], 12
	v_lshl_add_u64 v[6:7], v[6:7], 0, s[10:11]
	s_movk_i32 s10, 0xff1d
	s_mov_b32 s12, 0
	v_and_or_b32 v0, v0, s10, 34
	v_mov_b32_e32 v3, v2
	v_readfirstlane_b32 s10, v6
	v_readfirstlane_b32 s11, v7
	s_mov_b32 s13, s12
	s_mov_b32 s14, s12
	;; [unrolled: 1-line block ×3, first 2 shown]
	s_nop 1
	global_store_dwordx4 v28, v[0:3], s[10:11]
	s_nop 1
	v_mov_b64_e32 v[0:1], s[12:13]
	v_mov_b64_e32 v[2:3], s[14:15]
	global_store_dwordx4 v28, v[0:3], s[10:11] offset:16
	global_store_dwordx4 v28, v[0:3], s[10:11] offset:32
	;; [unrolled: 1-line block ×3, first 2 shown]
	s_and_saveexec_b64 s[10:11], s[0:1]
	s_cbranch_execz .LBB12_702
; %bb.695:
	v_mov_b32_e32 v6, 0
	global_load_dwordx2 v[12:13], v6, s[2:3] offset:32 sc0 sc1
	global_load_dwordx2 v[0:1], v6, s[2:3] offset:40
	v_mov_b32_e32 v10, s8
	v_mov_b32_e32 v11, s9
	s_waitcnt vmcnt(0)
	v_readfirstlane_b32 s12, v0
	v_readfirstlane_b32 s13, v1
	s_and_b64 s[12:13], s[12:13], s[8:9]
	s_mul_i32 s13, s13, 24
	s_mul_hi_u32 s14, s12, 24
	s_mul_i32 s12, s12, 24
	s_add_i32 s13, s14, s13
	v_lshl_add_u64 v[4:5], v[4:5], 0, s[12:13]
	global_store_dwordx2 v[4:5], v[12:13], off
	buffer_wbl2 sc0 sc1
	s_waitcnt vmcnt(0)
	global_atomic_cmpswap_x2 v[2:3], v6, v[10:13], s[2:3] offset:32 sc0 sc1
	s_waitcnt vmcnt(0)
	v_cmp_ne_u64_e32 vcc, v[2:3], v[12:13]
	s_and_saveexec_b64 s[12:13], vcc
	s_cbranch_execz .LBB12_698
; %bb.696:
	s_mov_b64 s[14:15], 0
.LBB12_697:                             ; =>This Inner Loop Header: Depth=1
	s_sleep 1
	global_store_dwordx2 v[4:5], v[2:3], off
	v_mov_b32_e32 v0, s8
	v_mov_b32_e32 v1, s9
	buffer_wbl2 sc0 sc1
	s_waitcnt vmcnt(0)
	global_atomic_cmpswap_x2 v[0:1], v6, v[0:3], s[2:3] offset:32 sc0 sc1
	s_waitcnt vmcnt(0)
	v_cmp_eq_u64_e32 vcc, v[0:1], v[2:3]
	s_or_b64 s[14:15], vcc, s[14:15]
	v_mov_b64_e32 v[2:3], v[0:1]
	s_andn2_b64 exec, exec, s[14:15]
	s_cbranch_execnz .LBB12_697
.LBB12_698:
	s_or_b64 exec, exec, s[12:13]
	v_mov_b32_e32 v3, 0
	global_load_dwordx2 v[0:1], v3, s[2:3] offset:16
	s_mov_b64 s[12:13], exec
	v_mbcnt_lo_u32_b32 v2, s12, 0
	v_mbcnt_hi_u32_b32 v2, s13, v2
	v_cmp_eq_u32_e32 vcc, 0, v2
	s_and_saveexec_b64 s[14:15], vcc
	s_cbranch_execz .LBB12_700
; %bb.699:
	s_bcnt1_i32_b64 s12, s[12:13]
	v_mov_b32_e32 v2, s12
	buffer_wbl2 sc0 sc1
	s_waitcnt vmcnt(0)
	global_atomic_add_x2 v[0:1], v[2:3], off offset:8 sc1
.LBB12_700:
	s_or_b64 exec, exec, s[14:15]
	s_waitcnt vmcnt(0)
	global_load_dwordx2 v[2:3], v[0:1], off offset:16
	s_waitcnt vmcnt(0)
	v_cmp_eq_u64_e32 vcc, 0, v[2:3]
	s_cbranch_vccnz .LBB12_702
; %bb.701:
	global_load_dword v0, v[0:1], off offset:24
	v_mov_b32_e32 v1, 0
	buffer_wbl2 sc0 sc1
	s_waitcnt vmcnt(0)
	global_store_dwordx2 v[2:3], v[0:1], off sc0 sc1
	v_and_b32_e32 v0, 0xffffff, v0
	s_nop 0
	v_readfirstlane_b32 m0, v0
	s_sendmsg sendmsg(MSG_INTERRUPT)
.LBB12_702:
	s_or_b64 exec, exec, s[10:11]
	s_branch .LBB12_706
.LBB12_703:                             ;   in Loop: Header=BB12_706 Depth=1
	s_or_b64 exec, exec, s[10:11]
	v_readfirstlane_b32 s10, v0
	s_cmp_eq_u32 s10, 0
	s_cbranch_scc1 .LBB12_705
; %bb.704:                              ;   in Loop: Header=BB12_706 Depth=1
	s_sleep 1
	s_cbranch_execnz .LBB12_706
	s_branch .LBB12_708
.LBB12_705:
	s_branch .LBB12_708
.LBB12_706:                             ; =>This Inner Loop Header: Depth=1
	v_mov_b32_e32 v0, 1
	s_and_saveexec_b64 s[10:11], s[0:1]
	s_cbranch_execz .LBB12_703
; %bb.707:                              ;   in Loop: Header=BB12_706 Depth=1
	global_load_dword v0, v[8:9], off offset:20 sc0 sc1
	s_waitcnt vmcnt(0)
	buffer_inv sc0 sc1
	v_and_b32_e32 v0, 1, v0
	s_branch .LBB12_703
.LBB12_708:
	s_and_saveexec_b64 s[10:11], s[0:1]
	s_cbranch_execz .LBB12_711
; %bb.709:
	v_mov_b32_e32 v6, 0
	global_load_dwordx2 v[4:5], v6, s[2:3] offset:40
	global_load_dwordx2 v[8:9], v6, s[2:3] offset:24 sc0 sc1
	global_load_dwordx2 v[10:11], v6, s[2:3]
	s_mov_b64 s[0:1], 0
	s_waitcnt vmcnt(2)
	v_lshl_add_u64 v[0:1], v[4:5], 0, 1
	v_lshl_add_u64 v[12:13], v[0:1], 0, s[8:9]
	v_cmp_eq_u64_e32 vcc, 0, v[12:13]
	s_waitcnt vmcnt(1)
	v_mov_b32_e32 v2, v8
	v_cndmask_b32_e32 v1, v13, v1, vcc
	v_cndmask_b32_e32 v0, v12, v0, vcc
	v_and_b32_e32 v3, v1, v5
	v_and_b32_e32 v4, v0, v4
	v_mul_lo_u32 v3, v3, 24
	v_mul_hi_u32 v5, v4, 24
	v_mul_lo_u32 v4, v4, 24
	v_add_u32_e32 v5, v5, v3
	s_waitcnt vmcnt(0)
	v_lshl_add_u64 v[4:5], v[10:11], 0, v[4:5]
	global_store_dwordx2 v[4:5], v[8:9], off
	v_mov_b32_e32 v3, v9
	buffer_wbl2 sc0 sc1
	s_waitcnt vmcnt(0)
	global_atomic_cmpswap_x2 v[2:3], v6, v[0:3], s[2:3] offset:24 sc0 sc1
	s_waitcnt vmcnt(0)
	v_cmp_ne_u64_e32 vcc, v[2:3], v[8:9]
	s_and_b64 exec, exec, vcc
	s_cbranch_execz .LBB12_711
.LBB12_710:                             ; =>This Inner Loop Header: Depth=1
	s_sleep 1
	global_store_dwordx2 v[4:5], v[2:3], off
	buffer_wbl2 sc0 sc1
	s_waitcnt vmcnt(0)
	global_atomic_cmpswap_x2 v[8:9], v6, v[0:3], s[2:3] offset:24 sc0 sc1
	s_waitcnt vmcnt(0)
	v_cmp_eq_u64_e32 vcc, v[8:9], v[2:3]
	s_or_b64 s[0:1], vcc, s[0:1]
	v_mov_b64_e32 v[2:3], v[8:9]
	s_andn2_b64 exec, exec, s[0:1]
	s_cbranch_execnz .LBB12_710
.LBB12_711:
	s_or_b64 exec, exec, s[10:11]
.LBB12_712:
	v_readfirstlane_b32 s0, v36
	s_waitcnt vmcnt(0)
	v_mov_b64_e32 v[4:5], 0
	v_cmp_eq_u32_e64 s[0:1], s0, v36
	s_and_saveexec_b64 s[8:9], s[0:1]
	s_cbranch_execz .LBB12_718
; %bb.713:
	v_mov_b32_e32 v0, 0
	global_load_dwordx2 v[6:7], v0, s[2:3] offset:24 sc0 sc1
	s_waitcnt vmcnt(0)
	buffer_inv sc0 sc1
	global_load_dwordx2 v[2:3], v0, s[2:3] offset:40
	global_load_dwordx2 v[4:5], v0, s[2:3]
	s_waitcnt vmcnt(1)
	v_and_b32_e32 v1, v2, v6
	v_and_b32_e32 v2, v3, v7
	v_mul_lo_u32 v2, v2, 24
	v_mul_hi_u32 v3, v1, 24
	v_add_u32_e32 v3, v3, v2
	v_mul_lo_u32 v2, v1, 24
	s_waitcnt vmcnt(0)
	v_lshl_add_u64 v[2:3], v[4:5], 0, v[2:3]
	global_load_dwordx2 v[4:5], v[2:3], off sc0 sc1
	s_waitcnt vmcnt(0)
	global_atomic_cmpswap_x2 v[4:5], v0, v[4:7], s[2:3] offset:24 sc0 sc1
	s_waitcnt vmcnt(0)
	buffer_inv sc0 sc1
	v_cmp_ne_u64_e32 vcc, v[4:5], v[6:7]
	s_and_saveexec_b64 s[10:11], vcc
	s_cbranch_execz .LBB12_717
; %bb.714:
	s_mov_b64 s[12:13], 0
.LBB12_715:                             ; =>This Inner Loop Header: Depth=1
	s_sleep 1
	global_load_dwordx2 v[2:3], v0, s[2:3] offset:40
	global_load_dwordx2 v[8:9], v0, s[2:3]
	v_mov_b64_e32 v[6:7], v[4:5]
	s_waitcnt vmcnt(1)
	v_and_b32_e32 v2, v2, v6
	v_and_b32_e32 v1, v3, v7
	s_waitcnt vmcnt(0)
	v_mad_u64_u32 v[2:3], s[14:15], v2, 24, v[8:9]
	v_mov_b32_e32 v4, v3
	v_mad_u64_u32 v[4:5], s[14:15], v1, 24, v[4:5]
	v_mov_b32_e32 v3, v4
	global_load_dwordx2 v[4:5], v[2:3], off sc0 sc1
	s_waitcnt vmcnt(0)
	global_atomic_cmpswap_x2 v[4:5], v0, v[4:7], s[2:3] offset:24 sc0 sc1
	s_waitcnt vmcnt(0)
	buffer_inv sc0 sc1
	v_cmp_eq_u64_e32 vcc, v[4:5], v[6:7]
	s_or_b64 s[12:13], vcc, s[12:13]
	s_andn2_b64 exec, exec, s[12:13]
	s_cbranch_execnz .LBB12_715
; %bb.716:
	s_or_b64 exec, exec, s[12:13]
.LBB12_717:
	s_or_b64 exec, exec, s[10:11]
.LBB12_718:
	s_or_b64 exec, exec, s[8:9]
	v_mov_b32_e32 v29, 0
	global_load_dwordx2 v[6:7], v29, s[2:3] offset:40
	global_load_dwordx4 v[0:3], v29, s[2:3]
	v_readfirstlane_b32 s8, v4
	v_readfirstlane_b32 s9, v5
	s_mov_b64 s[10:11], exec
	s_waitcnt vmcnt(1)
	v_readfirstlane_b32 s12, v6
	v_readfirstlane_b32 s13, v7
	s_and_b64 s[12:13], s[8:9], s[12:13]
	s_mul_i32 s14, s13, 24
	s_mul_hi_u32 s15, s12, 24
	s_add_i32 s15, s15, s14
	s_mul_i32 s14, s12, 24
	s_waitcnt vmcnt(0)
	v_lshl_add_u64 v[4:5], v[0:1], 0, s[14:15]
	s_and_saveexec_b64 s[14:15], s[0:1]
	s_cbranch_execz .LBB12_720
; %bb.719:
	v_mov_b64_e32 v[6:7], s[10:11]
	v_mov_b32_e32 v8, 2
	v_mov_b32_e32 v9, 1
	global_store_dwordx4 v[4:5], v[6:9], off offset:8
.LBB12_720:
	s_or_b64 exec, exec, s[14:15]
	s_lshl_b64 s[10:11], s[12:13], 12
	v_lshl_add_u64 v[6:7], v[2:3], 0, s[10:11]
	s_mov_b32 s12, 0
	v_mov_b32_e32 v8, 33
	v_mov_b32_e32 v9, v29
	;; [unrolled: 1-line block ×4, first 2 shown]
	v_readfirstlane_b32 s10, v6
	v_readfirstlane_b32 s11, v7
	s_mov_b32 s13, s12
	s_mov_b32 s14, s12
	;; [unrolled: 1-line block ×3, first 2 shown]
	s_nop 1
	global_store_dwordx4 v28, v[8:11], s[10:11]
	s_nop 1
	v_mov_b64_e32 v[8:9], s[12:13]
	v_mov_b64_e32 v[10:11], s[14:15]
	global_store_dwordx4 v28, v[8:11], s[10:11] offset:16
	global_store_dwordx4 v28, v[8:11], s[10:11] offset:32
	;; [unrolled: 1-line block ×3, first 2 shown]
	s_and_saveexec_b64 s[10:11], s[0:1]
	s_cbranch_execz .LBB12_728
; %bb.721:
	v_mov_b32_e32 v10, 0
	global_load_dwordx2 v[14:15], v10, s[2:3] offset:32 sc0 sc1
	global_load_dwordx2 v[2:3], v10, s[2:3] offset:40
	v_mov_b32_e32 v12, s8
	v_mov_b32_e32 v13, s9
	s_waitcnt vmcnt(0)
	v_readfirstlane_b32 s12, v2
	v_readfirstlane_b32 s13, v3
	s_and_b64 s[12:13], s[12:13], s[8:9]
	s_mul_i32 s13, s13, 24
	s_mul_hi_u32 s14, s12, 24
	s_mul_i32 s12, s12, 24
	s_add_i32 s13, s14, s13
	v_lshl_add_u64 v[8:9], v[0:1], 0, s[12:13]
	global_store_dwordx2 v[8:9], v[14:15], off
	buffer_wbl2 sc0 sc1
	s_waitcnt vmcnt(0)
	global_atomic_cmpswap_x2 v[2:3], v10, v[12:15], s[2:3] offset:32 sc0 sc1
	s_waitcnt vmcnt(0)
	v_cmp_ne_u64_e32 vcc, v[2:3], v[14:15]
	s_and_saveexec_b64 s[12:13], vcc
	s_cbranch_execz .LBB12_724
; %bb.722:
	s_mov_b64 s[14:15], 0
.LBB12_723:                             ; =>This Inner Loop Header: Depth=1
	s_sleep 1
	global_store_dwordx2 v[8:9], v[2:3], off
	v_mov_b32_e32 v0, s8
	v_mov_b32_e32 v1, s9
	buffer_wbl2 sc0 sc1
	s_waitcnt vmcnt(0)
	global_atomic_cmpswap_x2 v[0:1], v10, v[0:3], s[2:3] offset:32 sc0 sc1
	s_waitcnt vmcnt(0)
	v_cmp_eq_u64_e32 vcc, v[0:1], v[2:3]
	s_or_b64 s[14:15], vcc, s[14:15]
	v_mov_b64_e32 v[2:3], v[0:1]
	s_andn2_b64 exec, exec, s[14:15]
	s_cbranch_execnz .LBB12_723
.LBB12_724:
	s_or_b64 exec, exec, s[12:13]
	v_mov_b32_e32 v3, 0
	global_load_dwordx2 v[0:1], v3, s[2:3] offset:16
	s_mov_b64 s[12:13], exec
	v_mbcnt_lo_u32_b32 v2, s12, 0
	v_mbcnt_hi_u32_b32 v2, s13, v2
	v_cmp_eq_u32_e32 vcc, 0, v2
	s_and_saveexec_b64 s[14:15], vcc
	s_cbranch_execz .LBB12_726
; %bb.725:
	s_bcnt1_i32_b64 s12, s[12:13]
	v_mov_b32_e32 v2, s12
	buffer_wbl2 sc0 sc1
	s_waitcnt vmcnt(0)
	global_atomic_add_x2 v[0:1], v[2:3], off offset:8 sc1
.LBB12_726:
	s_or_b64 exec, exec, s[14:15]
	s_waitcnt vmcnt(0)
	global_load_dwordx2 v[2:3], v[0:1], off offset:16
	s_waitcnt vmcnt(0)
	v_cmp_eq_u64_e32 vcc, 0, v[2:3]
	s_cbranch_vccnz .LBB12_728
; %bb.727:
	global_load_dword v0, v[0:1], off offset:24
	v_mov_b32_e32 v1, 0
	buffer_wbl2 sc0 sc1
	s_waitcnt vmcnt(0)
	global_store_dwordx2 v[2:3], v[0:1], off sc0 sc1
	v_and_b32_e32 v0, 0xffffff, v0
	s_nop 0
	v_readfirstlane_b32 m0, v0
	s_sendmsg sendmsg(MSG_INTERRUPT)
.LBB12_728:
	s_or_b64 exec, exec, s[10:11]
	v_lshl_add_u64 v[0:1], v[6:7], 0, v[28:29]
	s_branch .LBB12_732
.LBB12_729:                             ;   in Loop: Header=BB12_732 Depth=1
	s_or_b64 exec, exec, s[10:11]
	v_readfirstlane_b32 s10, v2
	s_cmp_eq_u32 s10, 0
	s_cbranch_scc1 .LBB12_731
; %bb.730:                              ;   in Loop: Header=BB12_732 Depth=1
	s_sleep 1
	s_cbranch_execnz .LBB12_732
	s_branch .LBB12_734
.LBB12_731:
	s_branch .LBB12_734
.LBB12_732:                             ; =>This Inner Loop Header: Depth=1
	v_mov_b32_e32 v2, 1
	s_and_saveexec_b64 s[10:11], s[0:1]
	s_cbranch_execz .LBB12_729
; %bb.733:                              ;   in Loop: Header=BB12_732 Depth=1
	global_load_dword v2, v[4:5], off offset:20 sc0 sc1
	s_waitcnt vmcnt(0)
	buffer_inv sc0 sc1
	v_and_b32_e32 v2, 1, v2
	s_branch .LBB12_729
.LBB12_734:
	global_load_dwordx2 v[0:1], v[0:1], off
	s_and_saveexec_b64 s[10:11], s[0:1]
	s_cbranch_execz .LBB12_737
; %bb.735:
	v_mov_b32_e32 v8, 0
	global_load_dwordx2 v[6:7], v8, s[2:3] offset:40
	global_load_dwordx2 v[10:11], v8, s[2:3] offset:24 sc0 sc1
	global_load_dwordx2 v[12:13], v8, s[2:3]
	s_mov_b64 s[0:1], 0
	s_waitcnt vmcnt(2)
	v_lshl_add_u64 v[2:3], v[6:7], 0, 1
	v_lshl_add_u64 v[14:15], v[2:3], 0, s[8:9]
	v_cmp_eq_u64_e32 vcc, 0, v[14:15]
	s_waitcnt vmcnt(1)
	v_mov_b32_e32 v4, v10
	v_cndmask_b32_e32 v3, v15, v3, vcc
	v_cndmask_b32_e32 v2, v14, v2, vcc
	v_and_b32_e32 v5, v3, v7
	v_and_b32_e32 v6, v2, v6
	v_mul_lo_u32 v5, v5, 24
	v_mul_hi_u32 v7, v6, 24
	v_mul_lo_u32 v6, v6, 24
	v_add_u32_e32 v7, v7, v5
	s_waitcnt vmcnt(0)
	v_lshl_add_u64 v[6:7], v[12:13], 0, v[6:7]
	global_store_dwordx2 v[6:7], v[10:11], off
	v_mov_b32_e32 v5, v11
	buffer_wbl2 sc0 sc1
	s_waitcnt vmcnt(0)
	global_atomic_cmpswap_x2 v[4:5], v8, v[2:5], s[2:3] offset:24 sc0 sc1
	s_waitcnt vmcnt(0)
	v_cmp_ne_u64_e32 vcc, v[4:5], v[10:11]
	s_and_b64 exec, exec, vcc
	s_cbranch_execz .LBB12_737
.LBB12_736:                             ; =>This Inner Loop Header: Depth=1
	s_sleep 1
	global_store_dwordx2 v[6:7], v[4:5], off
	buffer_wbl2 sc0 sc1
	s_waitcnt vmcnt(0)
	global_atomic_cmpswap_x2 v[10:11], v8, v[2:5], s[2:3] offset:24 sc0 sc1
	s_waitcnt vmcnt(0)
	v_cmp_eq_u64_e32 vcc, v[10:11], v[4:5]
	s_or_b64 s[0:1], vcc, s[0:1]
	v_mov_b64_e32 v[4:5], v[10:11]
	s_andn2_b64 exec, exec, s[0:1]
	s_cbranch_execnz .LBB12_736
.LBB12_737:
	s_or_b64 exec, exec, s[10:11]
	s_and_b64 vcc, exec, s[6:7]
	s_cbranch_vccz .LBB12_822
; %bb.738:
	s_waitcnt vmcnt(0)
	v_and_b32_e32 v30, 2, v0
	v_mov_b32_e32 v33, 0
	v_and_b32_e32 v2, -3, v0
	v_mov_b32_e32 v3, v1
	s_mov_b64 s[10:11], 3
	v_mov_b32_e32 v6, 2
	v_mov_b32_e32 v7, 1
	s_getpc_b64 s[8:9]
	s_add_u32 s8, s8, .str.6@rel32@lo+4
	s_addc_u32 s9, s9, .str.6@rel32@hi+12
	s_branch .LBB12_740
.LBB12_739:                             ;   in Loop: Header=BB12_740 Depth=1
	s_or_b64 exec, exec, s[16:17]
	s_sub_u32 s10, s10, s12
	s_subb_u32 s11, s11, s13
	s_add_u32 s8, s8, s12
	s_addc_u32 s9, s9, s13
	s_cmp_lg_u64 s[10:11], 0
	s_cbranch_scc0 .LBB12_821
.LBB12_740:                             ; =>This Loop Header: Depth=1
                                        ;     Child Loop BB12_743 Depth 2
                                        ;     Child Loop BB12_750 Depth 2
	;; [unrolled: 1-line block ×11, first 2 shown]
	v_cmp_lt_u64_e64 s[0:1], s[10:11], 56
	s_and_b64 s[0:1], s[0:1], exec
	v_cmp_gt_u64_e64 s[0:1], s[10:11], 7
	s_cselect_b32 s13, s11, 0
	s_cselect_b32 s12, s10, 56
	s_and_b64 vcc, exec, s[0:1]
	s_cbranch_vccnz .LBB12_745
; %bb.741:                              ;   in Loop: Header=BB12_740 Depth=1
	s_mov_b64 s[0:1], 0
	s_cmp_eq_u64 s[10:11], 0
	v_mov_b64_e32 v[10:11], 0
	s_cbranch_scc1 .LBB12_744
; %bb.742:                              ;   in Loop: Header=BB12_740 Depth=1
	s_lshl_b64 s[14:15], s[12:13], 3
	s_mov_b64 s[16:17], 0
	v_mov_b64_e32 v[10:11], 0
	s_mov_b64 s[18:19], s[8:9]
.LBB12_743:                             ;   Parent Loop BB12_740 Depth=1
                                        ; =>  This Inner Loop Header: Depth=2
	global_load_ubyte v4, v33, s[18:19]
	s_waitcnt vmcnt(0)
	v_and_b32_e32 v32, 0xffff, v4
	v_lshlrev_b64 v[4:5], s16, v[32:33]
	s_add_u32 s16, s16, 8
	s_addc_u32 s17, s17, 0
	s_add_u32 s18, s18, 1
	s_addc_u32 s19, s19, 0
	v_or_b32_e32 v10, v4, v10
	s_cmp_lg_u32 s14, s16
	v_or_b32_e32 v11, v5, v11
	s_cbranch_scc1 .LBB12_743
.LBB12_744:                             ;   in Loop: Header=BB12_740 Depth=1
	s_mov_b32 s18, 0
	s_andn2_b64 vcc, exec, s[0:1]
	s_mov_b64 s[0:1], s[8:9]
	s_cbranch_vccz .LBB12_746
	s_branch .LBB12_747
.LBB12_745:                             ;   in Loop: Header=BB12_740 Depth=1
                                        ; implicit-def: $vgpr10_vgpr11
                                        ; implicit-def: $sgpr18
	s_mov_b64 s[0:1], s[8:9]
.LBB12_746:                             ;   in Loop: Header=BB12_740 Depth=1
	global_load_dwordx2 v[10:11], v33, s[8:9]
	s_add_i32 s18, s12, -8
	s_add_u32 s0, s8, 8
	s_addc_u32 s1, s9, 0
.LBB12_747:                             ;   in Loop: Header=BB12_740 Depth=1
	s_cmp_gt_u32 s18, 7
	s_cbranch_scc1 .LBB12_751
; %bb.748:                              ;   in Loop: Header=BB12_740 Depth=1
	s_cmp_eq_u32 s18, 0
	s_cbranch_scc1 .LBB12_752
; %bb.749:                              ;   in Loop: Header=BB12_740 Depth=1
	s_mov_b64 s[14:15], 0
	v_mov_b64_e32 v[12:13], 0
	s_mov_b64 s[16:17], 0
.LBB12_750:                             ;   Parent Loop BB12_740 Depth=1
                                        ; =>  This Inner Loop Header: Depth=2
	s_add_u32 s20, s0, s16
	s_addc_u32 s21, s1, s17
	global_load_ubyte v4, v33, s[20:21]
	s_add_u32 s16, s16, 1
	s_addc_u32 s17, s17, 0
	s_waitcnt vmcnt(0)
	v_and_b32_e32 v32, 0xffff, v4
	v_lshlrev_b64 v[4:5], s14, v[32:33]
	s_add_u32 s14, s14, 8
	s_addc_u32 s15, s15, 0
	v_or_b32_e32 v12, v4, v12
	s_cmp_lg_u32 s18, s16
	v_or_b32_e32 v13, v5, v13
	s_cbranch_scc1 .LBB12_750
	s_branch .LBB12_753
.LBB12_751:                             ;   in Loop: Header=BB12_740 Depth=1
                                        ; implicit-def: $vgpr12_vgpr13
                                        ; implicit-def: $sgpr19
	s_branch .LBB12_754
.LBB12_752:                             ;   in Loop: Header=BB12_740 Depth=1
	v_mov_b64_e32 v[12:13], 0
.LBB12_753:                             ;   in Loop: Header=BB12_740 Depth=1
	s_mov_b32 s19, 0
	s_cbranch_execnz .LBB12_755
.LBB12_754:                             ;   in Loop: Header=BB12_740 Depth=1
	global_load_dwordx2 v[12:13], v33, s[0:1]
	s_add_i32 s19, s18, -8
	s_add_u32 s0, s0, 8
	s_addc_u32 s1, s1, 0
.LBB12_755:                             ;   in Loop: Header=BB12_740 Depth=1
	s_cmp_gt_u32 s19, 7
	s_cbranch_scc1 .LBB12_759
; %bb.756:                              ;   in Loop: Header=BB12_740 Depth=1
	s_cmp_eq_u32 s19, 0
	s_cbranch_scc1 .LBB12_760
; %bb.757:                              ;   in Loop: Header=BB12_740 Depth=1
	s_mov_b64 s[14:15], 0
	v_mov_b64_e32 v[14:15], 0
	s_mov_b64 s[16:17], 0
.LBB12_758:                             ;   Parent Loop BB12_740 Depth=1
                                        ; =>  This Inner Loop Header: Depth=2
	s_add_u32 s20, s0, s16
	s_addc_u32 s21, s1, s17
	global_load_ubyte v4, v33, s[20:21]
	s_add_u32 s16, s16, 1
	s_addc_u32 s17, s17, 0
	s_waitcnt vmcnt(0)
	v_and_b32_e32 v32, 0xffff, v4
	v_lshlrev_b64 v[4:5], s14, v[32:33]
	s_add_u32 s14, s14, 8
	s_addc_u32 s15, s15, 0
	v_or_b32_e32 v14, v4, v14
	s_cmp_lg_u32 s19, s16
	v_or_b32_e32 v15, v5, v15
	s_cbranch_scc1 .LBB12_758
	s_branch .LBB12_761
.LBB12_759:                             ;   in Loop: Header=BB12_740 Depth=1
                                        ; implicit-def: $sgpr18
	s_branch .LBB12_762
.LBB12_760:                             ;   in Loop: Header=BB12_740 Depth=1
	v_mov_b64_e32 v[14:15], 0
.LBB12_761:                             ;   in Loop: Header=BB12_740 Depth=1
	s_mov_b32 s18, 0
	s_cbranch_execnz .LBB12_763
.LBB12_762:                             ;   in Loop: Header=BB12_740 Depth=1
	global_load_dwordx2 v[14:15], v33, s[0:1]
	s_add_i32 s18, s19, -8
	s_add_u32 s0, s0, 8
	s_addc_u32 s1, s1, 0
.LBB12_763:                             ;   in Loop: Header=BB12_740 Depth=1
	s_cmp_gt_u32 s18, 7
	s_cbranch_scc1 .LBB12_767
; %bb.764:                              ;   in Loop: Header=BB12_740 Depth=1
	s_cmp_eq_u32 s18, 0
	s_cbranch_scc1 .LBB12_768
; %bb.765:                              ;   in Loop: Header=BB12_740 Depth=1
	s_mov_b64 s[14:15], 0
	v_mov_b64_e32 v[16:17], 0
	s_mov_b64 s[16:17], 0
.LBB12_766:                             ;   Parent Loop BB12_740 Depth=1
                                        ; =>  This Inner Loop Header: Depth=2
	s_add_u32 s20, s0, s16
	s_addc_u32 s21, s1, s17
	global_load_ubyte v4, v33, s[20:21]
	s_add_u32 s16, s16, 1
	s_addc_u32 s17, s17, 0
	s_waitcnt vmcnt(0)
	v_and_b32_e32 v32, 0xffff, v4
	v_lshlrev_b64 v[4:5], s14, v[32:33]
	s_add_u32 s14, s14, 8
	s_addc_u32 s15, s15, 0
	v_or_b32_e32 v16, v4, v16
	s_cmp_lg_u32 s18, s16
	v_or_b32_e32 v17, v5, v17
	s_cbranch_scc1 .LBB12_766
	s_branch .LBB12_769
.LBB12_767:                             ;   in Loop: Header=BB12_740 Depth=1
                                        ; implicit-def: $vgpr16_vgpr17
                                        ; implicit-def: $sgpr19
	s_branch .LBB12_770
.LBB12_768:                             ;   in Loop: Header=BB12_740 Depth=1
	v_mov_b64_e32 v[16:17], 0
.LBB12_769:                             ;   in Loop: Header=BB12_740 Depth=1
	s_mov_b32 s19, 0
	s_cbranch_execnz .LBB12_771
.LBB12_770:                             ;   in Loop: Header=BB12_740 Depth=1
	global_load_dwordx2 v[16:17], v33, s[0:1]
	s_add_i32 s19, s18, -8
	s_add_u32 s0, s0, 8
	s_addc_u32 s1, s1, 0
.LBB12_771:                             ;   in Loop: Header=BB12_740 Depth=1
	s_cmp_gt_u32 s19, 7
	s_cbranch_scc1 .LBB12_775
; %bb.772:                              ;   in Loop: Header=BB12_740 Depth=1
	s_cmp_eq_u32 s19, 0
	s_cbranch_scc1 .LBB12_776
; %bb.773:                              ;   in Loop: Header=BB12_740 Depth=1
	s_mov_b64 s[14:15], 0
	v_mov_b64_e32 v[18:19], 0
	s_mov_b64 s[16:17], 0
.LBB12_774:                             ;   Parent Loop BB12_740 Depth=1
                                        ; =>  This Inner Loop Header: Depth=2
	s_add_u32 s20, s0, s16
	s_addc_u32 s21, s1, s17
	global_load_ubyte v4, v33, s[20:21]
	s_add_u32 s16, s16, 1
	s_addc_u32 s17, s17, 0
	s_waitcnt vmcnt(0)
	v_and_b32_e32 v32, 0xffff, v4
	v_lshlrev_b64 v[4:5], s14, v[32:33]
	s_add_u32 s14, s14, 8
	s_addc_u32 s15, s15, 0
	v_or_b32_e32 v18, v4, v18
	s_cmp_lg_u32 s19, s16
	v_or_b32_e32 v19, v5, v19
	s_cbranch_scc1 .LBB12_774
	s_branch .LBB12_777
.LBB12_775:                             ;   in Loop: Header=BB12_740 Depth=1
                                        ; implicit-def: $sgpr18
	s_branch .LBB12_778
.LBB12_776:                             ;   in Loop: Header=BB12_740 Depth=1
	v_mov_b64_e32 v[18:19], 0
.LBB12_777:                             ;   in Loop: Header=BB12_740 Depth=1
	s_mov_b32 s18, 0
	s_cbranch_execnz .LBB12_779
.LBB12_778:                             ;   in Loop: Header=BB12_740 Depth=1
	global_load_dwordx2 v[18:19], v33, s[0:1]
	s_add_i32 s18, s19, -8
	s_add_u32 s0, s0, 8
	s_addc_u32 s1, s1, 0
.LBB12_779:                             ;   in Loop: Header=BB12_740 Depth=1
	s_cmp_gt_u32 s18, 7
	s_cbranch_scc1 .LBB12_783
; %bb.780:                              ;   in Loop: Header=BB12_740 Depth=1
	s_cmp_eq_u32 s18, 0
	s_cbranch_scc1 .LBB12_784
; %bb.781:                              ;   in Loop: Header=BB12_740 Depth=1
	s_mov_b64 s[14:15], 0
	v_mov_b64_e32 v[20:21], 0
	s_mov_b64 s[16:17], 0
.LBB12_782:                             ;   Parent Loop BB12_740 Depth=1
                                        ; =>  This Inner Loop Header: Depth=2
	s_add_u32 s20, s0, s16
	s_addc_u32 s21, s1, s17
	global_load_ubyte v4, v33, s[20:21]
	s_add_u32 s16, s16, 1
	s_addc_u32 s17, s17, 0
	s_waitcnt vmcnt(0)
	v_and_b32_e32 v32, 0xffff, v4
	v_lshlrev_b64 v[4:5], s14, v[32:33]
	s_add_u32 s14, s14, 8
	s_addc_u32 s15, s15, 0
	v_or_b32_e32 v20, v4, v20
	s_cmp_lg_u32 s18, s16
	v_or_b32_e32 v21, v5, v21
	s_cbranch_scc1 .LBB12_782
	s_branch .LBB12_785
.LBB12_783:                             ;   in Loop: Header=BB12_740 Depth=1
                                        ; implicit-def: $vgpr20_vgpr21
                                        ; implicit-def: $sgpr19
	s_branch .LBB12_786
.LBB12_784:                             ;   in Loop: Header=BB12_740 Depth=1
	v_mov_b64_e32 v[20:21], 0
.LBB12_785:                             ;   in Loop: Header=BB12_740 Depth=1
	s_mov_b32 s19, 0
	s_cbranch_execnz .LBB12_787
.LBB12_786:                             ;   in Loop: Header=BB12_740 Depth=1
	global_load_dwordx2 v[20:21], v33, s[0:1]
	s_add_i32 s19, s18, -8
	s_add_u32 s0, s0, 8
	s_addc_u32 s1, s1, 0
.LBB12_787:                             ;   in Loop: Header=BB12_740 Depth=1
	s_cmp_gt_u32 s19, 7
	s_cbranch_scc1 .LBB12_791
; %bb.788:                              ;   in Loop: Header=BB12_740 Depth=1
	s_cmp_eq_u32 s19, 0
	s_cbranch_scc1 .LBB12_792
; %bb.789:                              ;   in Loop: Header=BB12_740 Depth=1
	s_mov_b64 s[14:15], 0
	v_mov_b64_e32 v[22:23], 0
	s_mov_b64 s[16:17], s[0:1]
.LBB12_790:                             ;   Parent Loop BB12_740 Depth=1
                                        ; =>  This Inner Loop Header: Depth=2
	global_load_ubyte v4, v33, s[16:17]
	s_add_i32 s19, s19, -1
	s_waitcnt vmcnt(0)
	v_and_b32_e32 v32, 0xffff, v4
	v_lshlrev_b64 v[4:5], s14, v[32:33]
	s_add_u32 s14, s14, 8
	s_addc_u32 s15, s15, 0
	s_add_u32 s16, s16, 1
	s_addc_u32 s17, s17, 0
	v_or_b32_e32 v22, v4, v22
	s_cmp_lg_u32 s19, 0
	v_or_b32_e32 v23, v5, v23
	s_cbranch_scc1 .LBB12_790
	s_branch .LBB12_793
.LBB12_791:                             ;   in Loop: Header=BB12_740 Depth=1
	s_branch .LBB12_794
.LBB12_792:                             ;   in Loop: Header=BB12_740 Depth=1
	v_mov_b64_e32 v[22:23], 0
.LBB12_793:                             ;   in Loop: Header=BB12_740 Depth=1
	s_cbranch_execnz .LBB12_795
.LBB12_794:                             ;   in Loop: Header=BB12_740 Depth=1
	global_load_dwordx2 v[22:23], v33, s[0:1]
.LBB12_795:                             ;   in Loop: Header=BB12_740 Depth=1
	v_readfirstlane_b32 s0, v36
	s_waitcnt vmcnt(0)
	v_mov_b64_e32 v[4:5], 0
	v_cmp_eq_u32_e64 s[0:1], s0, v36
	s_and_saveexec_b64 s[14:15], s[0:1]
	s_cbranch_execz .LBB12_801
; %bb.796:                              ;   in Loop: Header=BB12_740 Depth=1
	global_load_dwordx2 v[26:27], v33, s[2:3] offset:24 sc0 sc1
	s_waitcnt vmcnt(0)
	buffer_inv sc0 sc1
	global_load_dwordx2 v[4:5], v33, s[2:3] offset:40
	global_load_dwordx2 v[8:9], v33, s[2:3]
	s_waitcnt vmcnt(1)
	v_and_b32_e32 v4, v4, v26
	v_and_b32_e32 v5, v5, v27
	v_mul_lo_u32 v5, v5, 24
	v_mul_hi_u32 v24, v4, 24
	v_add_u32_e32 v5, v24, v5
	v_mul_lo_u32 v4, v4, 24
	s_waitcnt vmcnt(0)
	v_lshl_add_u64 v[4:5], v[8:9], 0, v[4:5]
	global_load_dwordx2 v[24:25], v[4:5], off sc0 sc1
	s_waitcnt vmcnt(0)
	global_atomic_cmpswap_x2 v[4:5], v33, v[24:27], s[2:3] offset:24 sc0 sc1
	s_waitcnt vmcnt(0)
	buffer_inv sc0 sc1
	v_cmp_ne_u64_e32 vcc, v[4:5], v[26:27]
	s_and_saveexec_b64 s[16:17], vcc
	s_cbranch_execz .LBB12_800
; %bb.797:                              ;   in Loop: Header=BB12_740 Depth=1
	s_mov_b64 s[18:19], 0
.LBB12_798:                             ;   Parent Loop BB12_740 Depth=1
                                        ; =>  This Inner Loop Header: Depth=2
	s_sleep 1
	global_load_dwordx2 v[8:9], v33, s[2:3] offset:40
	global_load_dwordx2 v[24:25], v33, s[2:3]
	v_mov_b64_e32 v[26:27], v[4:5]
	s_waitcnt vmcnt(1)
	v_and_b32_e32 v4, v8, v26
	s_waitcnt vmcnt(0)
	v_mad_u64_u32 v[4:5], s[20:21], v4, 24, v[24:25]
	v_and_b32_e32 v9, v9, v27
	v_mov_b32_e32 v8, v5
	v_mad_u64_u32 v[8:9], s[20:21], v9, 24, v[8:9]
	v_mov_b32_e32 v5, v8
	global_load_dwordx2 v[24:25], v[4:5], off sc0 sc1
	s_waitcnt vmcnt(0)
	global_atomic_cmpswap_x2 v[4:5], v33, v[24:27], s[2:3] offset:24 sc0 sc1
	s_waitcnt vmcnt(0)
	buffer_inv sc0 sc1
	v_cmp_eq_u64_e32 vcc, v[4:5], v[26:27]
	s_or_b64 s[18:19], vcc, s[18:19]
	s_andn2_b64 exec, exec, s[18:19]
	s_cbranch_execnz .LBB12_798
; %bb.799:                              ;   in Loop: Header=BB12_740 Depth=1
	s_or_b64 exec, exec, s[18:19]
.LBB12_800:                             ;   in Loop: Header=BB12_740 Depth=1
	s_or_b64 exec, exec, s[16:17]
.LBB12_801:                             ;   in Loop: Header=BB12_740 Depth=1
	s_or_b64 exec, exec, s[14:15]
	global_load_dwordx2 v[8:9], v33, s[2:3] offset:40
	global_load_dwordx4 v[24:27], v33, s[2:3]
	v_readfirstlane_b32 s14, v4
	v_readfirstlane_b32 s15, v5
	s_mov_b64 s[16:17], exec
	s_waitcnt vmcnt(1)
	v_readfirstlane_b32 s18, v8
	v_readfirstlane_b32 s19, v9
	s_and_b64 s[18:19], s[14:15], s[18:19]
	s_mul_i32 s20, s19, 24
	s_mul_hi_u32 s21, s18, 24
	s_add_i32 s21, s21, s20
	s_mul_i32 s20, s18, 24
	s_waitcnt vmcnt(0)
	v_lshl_add_u64 v[34:35], v[24:25], 0, s[20:21]
	s_and_saveexec_b64 s[20:21], s[0:1]
	s_cbranch_execz .LBB12_803
; %bb.802:                              ;   in Loop: Header=BB12_740 Depth=1
	v_mov_b64_e32 v[4:5], s[16:17]
	global_store_dwordx4 v[34:35], v[4:7], off offset:8
.LBB12_803:                             ;   in Loop: Header=BB12_740 Depth=1
	s_or_b64 exec, exec, s[20:21]
	s_lshl_b64 s[16:17], s[18:19], 12
	v_lshl_add_u64 v[26:27], v[26:27], 0, s[16:17]
	v_or_b32_e32 v5, v2, v30
	v_cmp_gt_u64_e64 vcc, s[10:11], 56
	s_lshl_b32 s16, s12, 2
	s_add_i32 s16, s16, 28
	v_cndmask_b32_e32 v2, v5, v2, vcc
	v_or_b32_e32 v4, 0, v3
	s_and_b32 s16, s16, 0x1e0
	v_and_b32_e32 v2, 0xffffff1f, v2
	v_cndmask_b32_e32 v9, v4, v3, vcc
	v_or_b32_e32 v8, s16, v2
	v_readfirstlane_b32 s16, v26
	v_readfirstlane_b32 s17, v27
	s_nop 4
	global_store_dwordx4 v28, v[8:11], s[16:17]
	global_store_dwordx4 v28, v[12:15], s[16:17] offset:16
	global_store_dwordx4 v28, v[16:19], s[16:17] offset:32
	;; [unrolled: 1-line block ×3, first 2 shown]
	s_and_saveexec_b64 s[16:17], s[0:1]
	s_cbranch_execz .LBB12_811
; %bb.804:                              ;   in Loop: Header=BB12_740 Depth=1
	global_load_dwordx2 v[12:13], v33, s[2:3] offset:32 sc0 sc1
	global_load_dwordx2 v[2:3], v33, s[2:3] offset:40
	v_mov_b32_e32 v10, s14
	v_mov_b32_e32 v11, s15
	s_waitcnt vmcnt(0)
	v_readfirstlane_b32 s18, v2
	v_readfirstlane_b32 s19, v3
	s_and_b64 s[18:19], s[18:19], s[14:15]
	s_mul_i32 s19, s19, 24
	s_mul_hi_u32 s20, s18, 24
	s_mul_i32 s18, s18, 24
	s_add_i32 s19, s20, s19
	v_lshl_add_u64 v[8:9], v[24:25], 0, s[18:19]
	global_store_dwordx2 v[8:9], v[12:13], off
	buffer_wbl2 sc0 sc1
	s_waitcnt vmcnt(0)
	global_atomic_cmpswap_x2 v[4:5], v33, v[10:13], s[2:3] offset:32 sc0 sc1
	s_waitcnt vmcnt(0)
	v_cmp_ne_u64_e32 vcc, v[4:5], v[12:13]
	s_and_saveexec_b64 s[18:19], vcc
	s_cbranch_execz .LBB12_807
; %bb.805:                              ;   in Loop: Header=BB12_740 Depth=1
	s_mov_b64 s[20:21], 0
.LBB12_806:                             ;   Parent Loop BB12_740 Depth=1
                                        ; =>  This Inner Loop Header: Depth=2
	s_sleep 1
	global_store_dwordx2 v[8:9], v[4:5], off
	v_mov_b32_e32 v2, s14
	v_mov_b32_e32 v3, s15
	buffer_wbl2 sc0 sc1
	s_waitcnt vmcnt(0)
	global_atomic_cmpswap_x2 v[2:3], v33, v[2:5], s[2:3] offset:32 sc0 sc1
	s_waitcnt vmcnt(0)
	v_cmp_eq_u64_e32 vcc, v[2:3], v[4:5]
	s_or_b64 s[20:21], vcc, s[20:21]
	v_mov_b64_e32 v[4:5], v[2:3]
	s_andn2_b64 exec, exec, s[20:21]
	s_cbranch_execnz .LBB12_806
.LBB12_807:                             ;   in Loop: Header=BB12_740 Depth=1
	s_or_b64 exec, exec, s[18:19]
	global_load_dwordx2 v[2:3], v33, s[2:3] offset:16
	s_mov_b64 s[20:21], exec
	v_mbcnt_lo_u32_b32 v4, s20, 0
	v_mbcnt_hi_u32_b32 v4, s21, v4
	v_cmp_eq_u32_e32 vcc, 0, v4
	s_and_saveexec_b64 s[18:19], vcc
	s_cbranch_execz .LBB12_809
; %bb.808:                              ;   in Loop: Header=BB12_740 Depth=1
	s_bcnt1_i32_b64 s20, s[20:21]
	v_mov_b32_e32 v32, s20
	buffer_wbl2 sc0 sc1
	s_waitcnt vmcnt(0)
	global_atomic_add_x2 v[2:3], v[32:33], off offset:8 sc1
.LBB12_809:                             ;   in Loop: Header=BB12_740 Depth=1
	s_or_b64 exec, exec, s[18:19]
	s_waitcnt vmcnt(0)
	global_load_dwordx2 v[4:5], v[2:3], off offset:16
	s_waitcnt vmcnt(0)
	v_cmp_eq_u64_e32 vcc, 0, v[4:5]
	s_cbranch_vccnz .LBB12_811
; %bb.810:                              ;   in Loop: Header=BB12_740 Depth=1
	global_load_dword v32, v[2:3], off offset:24
	s_waitcnt vmcnt(0)
	v_and_b32_e32 v2, 0xffffff, v32
	s_nop 0
	v_readfirstlane_b32 m0, v2
	buffer_wbl2 sc0 sc1
	global_store_dwordx2 v[4:5], v[32:33], off sc0 sc1
	s_sendmsg sendmsg(MSG_INTERRUPT)
.LBB12_811:                             ;   in Loop: Header=BB12_740 Depth=1
	s_or_b64 exec, exec, s[16:17]
	v_mov_b32_e32 v29, v33
	v_lshl_add_u64 v[2:3], v[26:27], 0, v[28:29]
	s_branch .LBB12_815
.LBB12_812:                             ;   in Loop: Header=BB12_815 Depth=2
	s_or_b64 exec, exec, s[16:17]
	v_readfirstlane_b32 s16, v4
	s_cmp_eq_u32 s16, 0
	s_cbranch_scc1 .LBB12_814
; %bb.813:                              ;   in Loop: Header=BB12_815 Depth=2
	s_sleep 1
	s_cbranch_execnz .LBB12_815
	s_branch .LBB12_817
.LBB12_814:                             ;   in Loop: Header=BB12_740 Depth=1
	s_branch .LBB12_817
.LBB12_815:                             ;   Parent Loop BB12_740 Depth=1
                                        ; =>  This Inner Loop Header: Depth=2
	v_mov_b32_e32 v4, 1
	s_and_saveexec_b64 s[16:17], s[0:1]
	s_cbranch_execz .LBB12_812
; %bb.816:                              ;   in Loop: Header=BB12_815 Depth=2
	global_load_dword v4, v[34:35], off offset:20 sc0 sc1
	s_waitcnt vmcnt(0)
	buffer_inv sc0 sc1
	v_and_b32_e32 v4, 1, v4
	s_branch .LBB12_812
.LBB12_817:                             ;   in Loop: Header=BB12_740 Depth=1
	global_load_dwordx4 v[2:5], v[2:3], off
	s_and_saveexec_b64 s[16:17], s[0:1]
	s_cbranch_execz .LBB12_739
; %bb.818:                              ;   in Loop: Header=BB12_740 Depth=1
	global_load_dwordx2 v[4:5], v33, s[2:3] offset:40
	global_load_dwordx2 v[12:13], v33, s[2:3] offset:24 sc0 sc1
	global_load_dwordx2 v[14:15], v33, s[2:3]
	s_waitcnt vmcnt(2)
	v_lshl_add_u64 v[8:9], v[4:5], 0, 1
	v_lshl_add_u64 v[16:17], v[8:9], 0, s[14:15]
	v_cmp_eq_u64_e32 vcc, 0, v[16:17]
	s_waitcnt vmcnt(1)
	v_mov_b32_e32 v10, v12
	v_cndmask_b32_e32 v9, v17, v9, vcc
	v_cndmask_b32_e32 v8, v16, v8, vcc
	v_and_b32_e32 v5, v9, v5
	v_and_b32_e32 v4, v8, v4
	v_mul_lo_u32 v5, v5, 24
	v_mul_hi_u32 v11, v4, 24
	v_mul_lo_u32 v4, v4, 24
	v_add_u32_e32 v5, v11, v5
	s_waitcnt vmcnt(0)
	v_lshl_add_u64 v[4:5], v[14:15], 0, v[4:5]
	global_store_dwordx2 v[4:5], v[12:13], off
	v_mov_b32_e32 v11, v13
	buffer_wbl2 sc0 sc1
	s_waitcnt vmcnt(0)
	global_atomic_cmpswap_x2 v[10:11], v33, v[8:11], s[2:3] offset:24 sc0 sc1
	s_waitcnt vmcnt(0)
	v_cmp_ne_u64_e32 vcc, v[10:11], v[12:13]
	s_and_b64 exec, exec, vcc
	s_cbranch_execz .LBB12_739
; %bb.819:                              ;   in Loop: Header=BB12_740 Depth=1
	s_mov_b64 s[0:1], 0
.LBB12_820:                             ;   Parent Loop BB12_740 Depth=1
                                        ; =>  This Inner Loop Header: Depth=2
	s_sleep 1
	global_store_dwordx2 v[4:5], v[10:11], off
	buffer_wbl2 sc0 sc1
	s_waitcnt vmcnt(0)
	global_atomic_cmpswap_x2 v[12:13], v33, v[8:11], s[2:3] offset:24 sc0 sc1
	s_waitcnt vmcnt(0)
	v_cmp_eq_u64_e32 vcc, v[12:13], v[10:11]
	s_or_b64 s[0:1], vcc, s[0:1]
	v_mov_b64_e32 v[10:11], v[12:13]
	s_andn2_b64 exec, exec, s[0:1]
	s_cbranch_execnz .LBB12_820
	s_branch .LBB12_739
.LBB12_821:
	s_mov_b64 s[0:1], 0
	s_branch .LBB12_823
.LBB12_822:
	s_mov_b64 s[0:1], -1
                                        ; implicit-def: $vgpr2_vgpr3
.LBB12_823:
	s_and_b64 vcc, exec, s[0:1]
	s_cbranch_vccz .LBB12_850
; %bb.824:
	v_readfirstlane_b32 s0, v36
	s_waitcnt vmcnt(0)
	v_mov_b64_e32 v[2:3], 0
	v_cmp_eq_u32_e64 s[0:1], s0, v36
	s_and_saveexec_b64 s[8:9], s[0:1]
	s_cbranch_execz .LBB12_830
; %bb.825:
	v_mov_b32_e32 v4, 0
	global_load_dwordx2 v[8:9], v4, s[2:3] offset:24 sc0 sc1
	s_waitcnt vmcnt(0)
	buffer_inv sc0 sc1
	global_load_dwordx2 v[2:3], v4, s[2:3] offset:40
	global_load_dwordx2 v[6:7], v4, s[2:3]
	s_waitcnt vmcnt(1)
	v_and_b32_e32 v2, v2, v8
	v_and_b32_e32 v3, v3, v9
	v_mul_lo_u32 v3, v3, 24
	v_mul_hi_u32 v5, v2, 24
	v_add_u32_e32 v3, v5, v3
	v_mul_lo_u32 v2, v2, 24
	s_waitcnt vmcnt(0)
	v_lshl_add_u64 v[2:3], v[6:7], 0, v[2:3]
	global_load_dwordx2 v[6:7], v[2:3], off sc0 sc1
	s_waitcnt vmcnt(0)
	global_atomic_cmpswap_x2 v[2:3], v4, v[6:9], s[2:3] offset:24 sc0 sc1
	s_waitcnt vmcnt(0)
	buffer_inv sc0 sc1
	v_cmp_ne_u64_e32 vcc, v[2:3], v[8:9]
	s_and_saveexec_b64 s[10:11], vcc
	s_cbranch_execz .LBB12_829
; %bb.826:
	s_mov_b64 s[12:13], 0
.LBB12_827:                             ; =>This Inner Loop Header: Depth=1
	s_sleep 1
	global_load_dwordx2 v[6:7], v4, s[2:3] offset:40
	global_load_dwordx2 v[10:11], v4, s[2:3]
	v_mov_b64_e32 v[8:9], v[2:3]
	s_waitcnt vmcnt(1)
	v_and_b32_e32 v2, v6, v8
	s_waitcnt vmcnt(0)
	v_mad_u64_u32 v[2:3], s[14:15], v2, 24, v[10:11]
	v_and_b32_e32 v5, v7, v9
	v_mov_b32_e32 v6, v3
	v_mad_u64_u32 v[6:7], s[14:15], v5, 24, v[6:7]
	v_mov_b32_e32 v3, v6
	global_load_dwordx2 v[6:7], v[2:3], off sc0 sc1
	s_waitcnt vmcnt(0)
	global_atomic_cmpswap_x2 v[2:3], v4, v[6:9], s[2:3] offset:24 sc0 sc1
	s_waitcnt vmcnt(0)
	buffer_inv sc0 sc1
	v_cmp_eq_u64_e32 vcc, v[2:3], v[8:9]
	s_or_b64 s[12:13], vcc, s[12:13]
	s_andn2_b64 exec, exec, s[12:13]
	s_cbranch_execnz .LBB12_827
; %bb.828:
	s_or_b64 exec, exec, s[12:13]
.LBB12_829:
	s_or_b64 exec, exec, s[10:11]
.LBB12_830:
	s_or_b64 exec, exec, s[8:9]
	v_mov_b32_e32 v29, 0
	global_load_dwordx2 v[8:9], v29, s[2:3] offset:40
	global_load_dwordx4 v[4:7], v29, s[2:3]
	v_readfirstlane_b32 s8, v2
	v_readfirstlane_b32 s9, v3
	s_mov_b64 s[10:11], exec
	s_waitcnt vmcnt(1)
	v_readfirstlane_b32 s12, v8
	v_readfirstlane_b32 s13, v9
	s_and_b64 s[12:13], s[8:9], s[12:13]
	s_mul_i32 s14, s13, 24
	s_mul_hi_u32 s15, s12, 24
	s_add_i32 s15, s15, s14
	s_mul_i32 s14, s12, 24
	s_waitcnt vmcnt(0)
	v_lshl_add_u64 v[8:9], v[4:5], 0, s[14:15]
	s_and_saveexec_b64 s[14:15], s[0:1]
	s_cbranch_execz .LBB12_832
; %bb.831:
	v_mov_b64_e32 v[10:11], s[10:11]
	v_mov_b32_e32 v12, 2
	v_mov_b32_e32 v13, 1
	global_store_dwordx4 v[8:9], v[10:13], off offset:8
.LBB12_832:
	s_or_b64 exec, exec, s[14:15]
	s_lshl_b64 s[10:11], s[12:13], 12
	v_lshl_add_u64 v[6:7], v[6:7], 0, s[10:11]
	s_movk_i32 s10, 0xff1f
	s_mov_b32 s12, 0
	v_and_or_b32 v0, v0, s10, 32
	v_mov_b32_e32 v2, v29
	v_mov_b32_e32 v3, v29
	v_readfirstlane_b32 s10, v6
	v_readfirstlane_b32 s11, v7
	s_mov_b32 s13, s12
	s_mov_b32 s14, s12
	;; [unrolled: 1-line block ×3, first 2 shown]
	s_nop 1
	global_store_dwordx4 v28, v[0:3], s[10:11]
	s_nop 1
	v_mov_b64_e32 v[0:1], s[12:13]
	v_mov_b64_e32 v[2:3], s[14:15]
	global_store_dwordx4 v28, v[0:3], s[10:11] offset:16
	global_store_dwordx4 v28, v[0:3], s[10:11] offset:32
	;; [unrolled: 1-line block ×3, first 2 shown]
	s_and_saveexec_b64 s[10:11], s[0:1]
	s_cbranch_execz .LBB12_840
; %bb.833:
	v_mov_b32_e32 v10, 0
	global_load_dwordx2 v[14:15], v10, s[2:3] offset:32 sc0 sc1
	global_load_dwordx2 v[0:1], v10, s[2:3] offset:40
	v_mov_b32_e32 v12, s8
	v_mov_b32_e32 v13, s9
	s_waitcnt vmcnt(0)
	v_readfirstlane_b32 s12, v0
	v_readfirstlane_b32 s13, v1
	s_and_b64 s[12:13], s[12:13], s[8:9]
	s_mul_i32 s13, s13, 24
	s_mul_hi_u32 s14, s12, 24
	s_mul_i32 s12, s12, 24
	s_add_i32 s13, s14, s13
	v_lshl_add_u64 v[4:5], v[4:5], 0, s[12:13]
	global_store_dwordx2 v[4:5], v[14:15], off
	buffer_wbl2 sc0 sc1
	s_waitcnt vmcnt(0)
	global_atomic_cmpswap_x2 v[2:3], v10, v[12:15], s[2:3] offset:32 sc0 sc1
	s_waitcnt vmcnt(0)
	v_cmp_ne_u64_e32 vcc, v[2:3], v[14:15]
	s_and_saveexec_b64 s[12:13], vcc
	s_cbranch_execz .LBB12_836
; %bb.834:
	s_mov_b64 s[14:15], 0
.LBB12_835:                             ; =>This Inner Loop Header: Depth=1
	s_sleep 1
	global_store_dwordx2 v[4:5], v[2:3], off
	v_mov_b32_e32 v0, s8
	v_mov_b32_e32 v1, s9
	buffer_wbl2 sc0 sc1
	s_waitcnt vmcnt(0)
	global_atomic_cmpswap_x2 v[0:1], v10, v[0:3], s[2:3] offset:32 sc0 sc1
	s_waitcnt vmcnt(0)
	v_cmp_eq_u64_e32 vcc, v[0:1], v[2:3]
	s_or_b64 s[14:15], vcc, s[14:15]
	v_mov_b64_e32 v[2:3], v[0:1]
	s_andn2_b64 exec, exec, s[14:15]
	s_cbranch_execnz .LBB12_835
.LBB12_836:
	s_or_b64 exec, exec, s[12:13]
	v_mov_b32_e32 v3, 0
	global_load_dwordx2 v[0:1], v3, s[2:3] offset:16
	s_mov_b64 s[12:13], exec
	v_mbcnt_lo_u32_b32 v2, s12, 0
	v_mbcnt_hi_u32_b32 v2, s13, v2
	v_cmp_eq_u32_e32 vcc, 0, v2
	s_and_saveexec_b64 s[14:15], vcc
	s_cbranch_execz .LBB12_838
; %bb.837:
	s_bcnt1_i32_b64 s12, s[12:13]
	v_mov_b32_e32 v2, s12
	buffer_wbl2 sc0 sc1
	s_waitcnt vmcnt(0)
	global_atomic_add_x2 v[0:1], v[2:3], off offset:8 sc1
.LBB12_838:
	s_or_b64 exec, exec, s[14:15]
	s_waitcnt vmcnt(0)
	global_load_dwordx2 v[2:3], v[0:1], off offset:16
	s_waitcnt vmcnt(0)
	v_cmp_eq_u64_e32 vcc, 0, v[2:3]
	s_cbranch_vccnz .LBB12_840
; %bb.839:
	global_load_dword v0, v[0:1], off offset:24
	v_mov_b32_e32 v1, 0
	buffer_wbl2 sc0 sc1
	s_waitcnt vmcnt(0)
	global_store_dwordx2 v[2:3], v[0:1], off sc0 sc1
	v_and_b32_e32 v0, 0xffffff, v0
	s_nop 0
	v_readfirstlane_b32 m0, v0
	s_sendmsg sendmsg(MSG_INTERRUPT)
.LBB12_840:
	s_or_b64 exec, exec, s[10:11]
	v_lshl_add_u64 v[0:1], v[6:7], 0, v[28:29]
	s_branch .LBB12_844
.LBB12_841:                             ;   in Loop: Header=BB12_844 Depth=1
	s_or_b64 exec, exec, s[10:11]
	v_readfirstlane_b32 s10, v2
	s_cmp_eq_u32 s10, 0
	s_cbranch_scc1 .LBB12_843
; %bb.842:                              ;   in Loop: Header=BB12_844 Depth=1
	s_sleep 1
	s_cbranch_execnz .LBB12_844
	s_branch .LBB12_846
.LBB12_843:
	s_branch .LBB12_846
.LBB12_844:                             ; =>This Inner Loop Header: Depth=1
	v_mov_b32_e32 v2, 1
	s_and_saveexec_b64 s[10:11], s[0:1]
	s_cbranch_execz .LBB12_841
; %bb.845:                              ;   in Loop: Header=BB12_844 Depth=1
	global_load_dword v2, v[8:9], off offset:20 sc0 sc1
	s_waitcnt vmcnt(0)
	buffer_inv sc0 sc1
	v_and_b32_e32 v2, 1, v2
	s_branch .LBB12_841
.LBB12_846:
	global_load_dwordx2 v[2:3], v[0:1], off
	s_and_saveexec_b64 s[10:11], s[0:1]
	s_cbranch_execz .LBB12_849
; %bb.847:
	v_mov_b32_e32 v8, 0
	global_load_dwordx2 v[0:1], v8, s[2:3] offset:40
	global_load_dwordx2 v[10:11], v8, s[2:3] offset:24 sc0 sc1
	global_load_dwordx2 v[12:13], v8, s[2:3]
	s_mov_b64 s[0:1], 0
	s_waitcnt vmcnt(2)
	v_lshl_add_u64 v[4:5], v[0:1], 0, 1
	v_lshl_add_u64 v[14:15], v[4:5], 0, s[8:9]
	v_cmp_eq_u64_e32 vcc, 0, v[14:15]
	s_waitcnt vmcnt(1)
	v_mov_b32_e32 v6, v10
	v_cndmask_b32_e32 v5, v15, v5, vcc
	v_cndmask_b32_e32 v4, v14, v4, vcc
	v_and_b32_e32 v1, v5, v1
	v_and_b32_e32 v0, v4, v0
	v_mul_lo_u32 v1, v1, 24
	v_mul_hi_u32 v7, v0, 24
	v_mul_lo_u32 v0, v0, 24
	v_add_u32_e32 v1, v7, v1
	s_waitcnt vmcnt(0)
	v_lshl_add_u64 v[0:1], v[12:13], 0, v[0:1]
	global_store_dwordx2 v[0:1], v[10:11], off
	v_mov_b32_e32 v7, v11
	buffer_wbl2 sc0 sc1
	s_waitcnt vmcnt(0)
	global_atomic_cmpswap_x2 v[6:7], v8, v[4:7], s[2:3] offset:24 sc0 sc1
	s_waitcnt vmcnt(0)
	v_cmp_ne_u64_e32 vcc, v[6:7], v[10:11]
	s_and_b64 exec, exec, vcc
	s_cbranch_execz .LBB12_849
.LBB12_848:                             ; =>This Inner Loop Header: Depth=1
	s_sleep 1
	global_store_dwordx2 v[0:1], v[6:7], off
	buffer_wbl2 sc0 sc1
	s_waitcnt vmcnt(0)
	global_atomic_cmpswap_x2 v[10:11], v8, v[4:7], s[2:3] offset:24 sc0 sc1
	s_waitcnt vmcnt(0)
	v_cmp_eq_u64_e32 vcc, v[10:11], v[6:7]
	s_or_b64 s[0:1], vcc, s[0:1]
	v_mov_b64_e32 v[6:7], v[10:11]
	s_andn2_b64 exec, exec, s[0:1]
	s_cbranch_execnz .LBB12_848
.LBB12_849:
	s_or_b64 exec, exec, s[10:11]
.LBB12_850:
	v_readfirstlane_b32 s0, v36
	s_waitcnt vmcnt(0)
	v_mov_b64_e32 v[0:1], 0
	v_cmp_eq_u32_e64 s[0:1], s0, v36
	s_and_saveexec_b64 s[8:9], s[0:1]
	s_cbranch_execz .LBB12_856
; %bb.851:
	v_mov_b32_e32 v4, 0
	global_load_dwordx2 v[8:9], v4, s[2:3] offset:24 sc0 sc1
	s_waitcnt vmcnt(0)
	buffer_inv sc0 sc1
	global_load_dwordx2 v[0:1], v4, s[2:3] offset:40
	global_load_dwordx2 v[6:7], v4, s[2:3]
	s_waitcnt vmcnt(1)
	v_and_b32_e32 v0, v0, v8
	v_and_b32_e32 v1, v1, v9
	v_mul_lo_u32 v1, v1, 24
	v_mul_hi_u32 v5, v0, 24
	v_add_u32_e32 v1, v5, v1
	v_mul_lo_u32 v0, v0, 24
	s_waitcnt vmcnt(0)
	v_lshl_add_u64 v[0:1], v[6:7], 0, v[0:1]
	global_load_dwordx2 v[6:7], v[0:1], off sc0 sc1
	s_waitcnt vmcnt(0)
	global_atomic_cmpswap_x2 v[0:1], v4, v[6:9], s[2:3] offset:24 sc0 sc1
	s_waitcnt vmcnt(0)
	buffer_inv sc0 sc1
	v_cmp_ne_u64_e32 vcc, v[0:1], v[8:9]
	s_and_saveexec_b64 s[10:11], vcc
	s_cbranch_execz .LBB12_855
; %bb.852:
	s_mov_b64 s[12:13], 0
.LBB12_853:                             ; =>This Inner Loop Header: Depth=1
	s_sleep 1
	global_load_dwordx2 v[6:7], v4, s[2:3] offset:40
	global_load_dwordx2 v[10:11], v4, s[2:3]
	v_mov_b64_e32 v[8:9], v[0:1]
	s_waitcnt vmcnt(1)
	v_and_b32_e32 v0, v6, v8
	s_waitcnt vmcnt(0)
	v_mad_u64_u32 v[0:1], s[14:15], v0, 24, v[10:11]
	v_and_b32_e32 v5, v7, v9
	v_mov_b32_e32 v6, v1
	v_mad_u64_u32 v[6:7], s[14:15], v5, 24, v[6:7]
	v_mov_b32_e32 v1, v6
	global_load_dwordx2 v[6:7], v[0:1], off sc0 sc1
	s_waitcnt vmcnt(0)
	global_atomic_cmpswap_x2 v[0:1], v4, v[6:9], s[2:3] offset:24 sc0 sc1
	s_waitcnt vmcnt(0)
	buffer_inv sc0 sc1
	v_cmp_eq_u64_e32 vcc, v[0:1], v[8:9]
	s_or_b64 s[12:13], vcc, s[12:13]
	s_andn2_b64 exec, exec, s[12:13]
	s_cbranch_execnz .LBB12_853
; %bb.854:
	s_or_b64 exec, exec, s[12:13]
.LBB12_855:
	s_or_b64 exec, exec, s[10:11]
.LBB12_856:
	s_or_b64 exec, exec, s[8:9]
	v_mov_b32_e32 v5, 0
	global_load_dwordx2 v[10:11], v5, s[2:3] offset:40
	global_load_dwordx4 v[6:9], v5, s[2:3]
	v_readfirstlane_b32 s8, v0
	v_readfirstlane_b32 s9, v1
	s_mov_b64 s[10:11], exec
	s_waitcnt vmcnt(1)
	v_readfirstlane_b32 s12, v10
	v_readfirstlane_b32 s13, v11
	s_and_b64 s[12:13], s[8:9], s[12:13]
	s_mul_i32 s14, s13, 24
	s_mul_hi_u32 s15, s12, 24
	s_add_i32 s15, s15, s14
	s_mul_i32 s14, s12, 24
	s_waitcnt vmcnt(0)
	v_lshl_add_u64 v[10:11], v[6:7], 0, s[14:15]
	s_and_saveexec_b64 s[14:15], s[0:1]
	s_cbranch_execz .LBB12_858
; %bb.857:
	v_mov_b64_e32 v[12:13], s[10:11]
	v_mov_b32_e32 v14, 2
	v_mov_b32_e32 v15, 1
	global_store_dwordx4 v[10:11], v[12:15], off offset:8
.LBB12_858:
	s_or_b64 exec, exec, s[14:15]
	s_lshl_b64 s[10:11], s[12:13], 12
	v_lshl_add_u64 v[0:1], v[8:9], 0, s[10:11]
	s_movk_i32 s10, 0xff1d
	s_mov_b32 s12, 0
	v_and_or_b32 v2, v2, s10, 34
	v_mov_b32_e32 v4, 58
	v_readfirstlane_b32 s10, v0
	v_readfirstlane_b32 s11, v1
	s_mov_b32 s13, s12
	s_mov_b32 s14, s12
	;; [unrolled: 1-line block ×3, first 2 shown]
	s_nop 1
	global_store_dwordx4 v28, v[2:5], s[10:11]
	v_mov_b64_e32 v[0:1], s[12:13]
	s_nop 0
	v_mov_b64_e32 v[2:3], s[14:15]
	global_store_dwordx4 v28, v[0:3], s[10:11] offset:16
	global_store_dwordx4 v28, v[0:3], s[10:11] offset:32
	;; [unrolled: 1-line block ×3, first 2 shown]
	s_and_saveexec_b64 s[10:11], s[0:1]
	s_cbranch_execz .LBB12_866
; %bb.859:
	v_mov_b32_e32 v8, 0
	global_load_dwordx2 v[14:15], v8, s[2:3] offset:32 sc0 sc1
	global_load_dwordx2 v[0:1], v8, s[2:3] offset:40
	v_mov_b32_e32 v12, s8
	v_mov_b32_e32 v13, s9
	s_waitcnt vmcnt(0)
	v_readfirstlane_b32 s12, v0
	v_readfirstlane_b32 s13, v1
	s_and_b64 s[12:13], s[12:13], s[8:9]
	s_mul_i32 s13, s13, 24
	s_mul_hi_u32 s14, s12, 24
	s_mul_i32 s12, s12, 24
	s_add_i32 s13, s14, s13
	v_lshl_add_u64 v[4:5], v[6:7], 0, s[12:13]
	global_store_dwordx2 v[4:5], v[14:15], off
	buffer_wbl2 sc0 sc1
	s_waitcnt vmcnt(0)
	global_atomic_cmpswap_x2 v[2:3], v8, v[12:15], s[2:3] offset:32 sc0 sc1
	s_waitcnt vmcnt(0)
	v_cmp_ne_u64_e32 vcc, v[2:3], v[14:15]
	s_and_saveexec_b64 s[12:13], vcc
	s_cbranch_execz .LBB12_862
; %bb.860:
	s_mov_b64 s[14:15], 0
.LBB12_861:                             ; =>This Inner Loop Header: Depth=1
	s_sleep 1
	global_store_dwordx2 v[4:5], v[2:3], off
	v_mov_b32_e32 v0, s8
	v_mov_b32_e32 v1, s9
	buffer_wbl2 sc0 sc1
	s_waitcnt vmcnt(0)
	global_atomic_cmpswap_x2 v[0:1], v8, v[0:3], s[2:3] offset:32 sc0 sc1
	s_waitcnt vmcnt(0)
	v_cmp_eq_u64_e32 vcc, v[0:1], v[2:3]
	s_or_b64 s[14:15], vcc, s[14:15]
	v_mov_b64_e32 v[2:3], v[0:1]
	s_andn2_b64 exec, exec, s[14:15]
	s_cbranch_execnz .LBB12_861
.LBB12_862:
	s_or_b64 exec, exec, s[12:13]
	v_mov_b32_e32 v3, 0
	global_load_dwordx2 v[0:1], v3, s[2:3] offset:16
	s_mov_b64 s[12:13], exec
	v_mbcnt_lo_u32_b32 v2, s12, 0
	v_mbcnt_hi_u32_b32 v2, s13, v2
	v_cmp_eq_u32_e32 vcc, 0, v2
	s_and_saveexec_b64 s[14:15], vcc
	s_cbranch_execz .LBB12_864
; %bb.863:
	s_bcnt1_i32_b64 s12, s[12:13]
	v_mov_b32_e32 v2, s12
	buffer_wbl2 sc0 sc1
	s_waitcnt vmcnt(0)
	global_atomic_add_x2 v[0:1], v[2:3], off offset:8 sc1
.LBB12_864:
	s_or_b64 exec, exec, s[14:15]
	s_waitcnt vmcnt(0)
	global_load_dwordx2 v[2:3], v[0:1], off offset:16
	s_waitcnt vmcnt(0)
	v_cmp_eq_u64_e32 vcc, 0, v[2:3]
	s_cbranch_vccnz .LBB12_866
; %bb.865:
	global_load_dword v0, v[0:1], off offset:24
	v_mov_b32_e32 v1, 0
	buffer_wbl2 sc0 sc1
	s_waitcnt vmcnt(0)
	global_store_dwordx2 v[2:3], v[0:1], off sc0 sc1
	v_and_b32_e32 v0, 0xffffff, v0
	s_nop 0
	v_readfirstlane_b32 m0, v0
	s_sendmsg sendmsg(MSG_INTERRUPT)
.LBB12_866:
	s_or_b64 exec, exec, s[10:11]
	s_branch .LBB12_870
.LBB12_867:                             ;   in Loop: Header=BB12_870 Depth=1
	s_or_b64 exec, exec, s[10:11]
	v_readfirstlane_b32 s10, v0
	s_cmp_eq_u32 s10, 0
	s_cbranch_scc1 .LBB12_869
; %bb.868:                              ;   in Loop: Header=BB12_870 Depth=1
	s_sleep 1
	s_cbranch_execnz .LBB12_870
	s_branch .LBB12_872
.LBB12_869:
	s_branch .LBB12_872
.LBB12_870:                             ; =>This Inner Loop Header: Depth=1
	v_mov_b32_e32 v0, 1
	s_and_saveexec_b64 s[10:11], s[0:1]
	s_cbranch_execz .LBB12_867
; %bb.871:                              ;   in Loop: Header=BB12_870 Depth=1
	global_load_dword v0, v[10:11], off offset:20 sc0 sc1
	s_waitcnt vmcnt(0)
	buffer_inv sc0 sc1
	v_and_b32_e32 v0, 1, v0
	s_branch .LBB12_867
.LBB12_872:
	s_and_saveexec_b64 s[10:11], s[0:1]
	s_cbranch_execz .LBB12_875
; %bb.873:
	v_mov_b32_e32 v6, 0
	global_load_dwordx2 v[4:5], v6, s[2:3] offset:40
	global_load_dwordx2 v[8:9], v6, s[2:3] offset:24 sc0 sc1
	global_load_dwordx2 v[10:11], v6, s[2:3]
	s_mov_b64 s[0:1], 0
	s_waitcnt vmcnt(2)
	v_lshl_add_u64 v[0:1], v[4:5], 0, 1
	v_lshl_add_u64 v[12:13], v[0:1], 0, s[8:9]
	v_cmp_eq_u64_e32 vcc, 0, v[12:13]
	s_waitcnt vmcnt(1)
	v_mov_b32_e32 v2, v8
	v_cndmask_b32_e32 v1, v13, v1, vcc
	v_cndmask_b32_e32 v0, v12, v0, vcc
	v_and_b32_e32 v3, v1, v5
	v_and_b32_e32 v4, v0, v4
	v_mul_lo_u32 v3, v3, 24
	v_mul_hi_u32 v5, v4, 24
	v_mul_lo_u32 v4, v4, 24
	v_add_u32_e32 v5, v5, v3
	s_waitcnt vmcnt(0)
	v_lshl_add_u64 v[4:5], v[10:11], 0, v[4:5]
	global_store_dwordx2 v[4:5], v[8:9], off
	v_mov_b32_e32 v3, v9
	buffer_wbl2 sc0 sc1
	s_waitcnt vmcnt(0)
	global_atomic_cmpswap_x2 v[2:3], v6, v[0:3], s[2:3] offset:24 sc0 sc1
	s_waitcnt vmcnt(0)
	v_cmp_ne_u64_e32 vcc, v[2:3], v[8:9]
	s_and_b64 exec, exec, vcc
	s_cbranch_execz .LBB12_875
.LBB12_874:                             ; =>This Inner Loop Header: Depth=1
	s_sleep 1
	global_store_dwordx2 v[4:5], v[2:3], off
	buffer_wbl2 sc0 sc1
	s_waitcnt vmcnt(0)
	global_atomic_cmpswap_x2 v[8:9], v6, v[0:3], s[2:3] offset:24 sc0 sc1
	s_waitcnt vmcnt(0)
	v_cmp_eq_u64_e32 vcc, v[8:9], v[2:3]
	s_or_b64 s[0:1], vcc, s[0:1]
	v_mov_b64_e32 v[2:3], v[8:9]
	s_andn2_b64 exec, exec, s[0:1]
	s_cbranch_execnz .LBB12_874
.LBB12_875:
	s_or_b64 exec, exec, s[10:11]
	v_readfirstlane_b32 s0, v36
	v_mov_b64_e32 v[4:5], 0
	s_nop 0
	v_cmp_eq_u32_e64 s[0:1], s0, v36
	s_and_saveexec_b64 s[8:9], s[0:1]
	s_cbranch_execz .LBB12_881
; %bb.876:
	v_mov_b32_e32 v0, 0
	global_load_dwordx2 v[6:7], v0, s[2:3] offset:24 sc0 sc1
	s_waitcnt vmcnt(0)
	buffer_inv sc0 sc1
	global_load_dwordx2 v[2:3], v0, s[2:3] offset:40
	global_load_dwordx2 v[4:5], v0, s[2:3]
	s_waitcnt vmcnt(1)
	v_and_b32_e32 v1, v2, v6
	v_and_b32_e32 v2, v3, v7
	v_mul_lo_u32 v2, v2, 24
	v_mul_hi_u32 v3, v1, 24
	v_add_u32_e32 v3, v3, v2
	v_mul_lo_u32 v2, v1, 24
	s_waitcnt vmcnt(0)
	v_lshl_add_u64 v[2:3], v[4:5], 0, v[2:3]
	global_load_dwordx2 v[4:5], v[2:3], off sc0 sc1
	s_waitcnt vmcnt(0)
	global_atomic_cmpswap_x2 v[4:5], v0, v[4:7], s[2:3] offset:24 sc0 sc1
	s_waitcnt vmcnt(0)
	buffer_inv sc0 sc1
	v_cmp_ne_u64_e32 vcc, v[4:5], v[6:7]
	s_and_saveexec_b64 s[10:11], vcc
	s_cbranch_execz .LBB12_880
; %bb.877:
	s_mov_b64 s[12:13], 0
.LBB12_878:                             ; =>This Inner Loop Header: Depth=1
	s_sleep 1
	global_load_dwordx2 v[2:3], v0, s[2:3] offset:40
	global_load_dwordx2 v[8:9], v0, s[2:3]
	v_mov_b64_e32 v[6:7], v[4:5]
	s_waitcnt vmcnt(1)
	v_and_b32_e32 v2, v2, v6
	v_and_b32_e32 v1, v3, v7
	s_waitcnt vmcnt(0)
	v_mad_u64_u32 v[2:3], s[14:15], v2, 24, v[8:9]
	v_mov_b32_e32 v4, v3
	v_mad_u64_u32 v[4:5], s[14:15], v1, 24, v[4:5]
	v_mov_b32_e32 v3, v4
	global_load_dwordx2 v[4:5], v[2:3], off sc0 sc1
	s_waitcnt vmcnt(0)
	global_atomic_cmpswap_x2 v[4:5], v0, v[4:7], s[2:3] offset:24 sc0 sc1
	s_waitcnt vmcnt(0)
	buffer_inv sc0 sc1
	v_cmp_eq_u64_e32 vcc, v[4:5], v[6:7]
	s_or_b64 s[12:13], vcc, s[12:13]
	s_andn2_b64 exec, exec, s[12:13]
	s_cbranch_execnz .LBB12_878
; %bb.879:
	s_or_b64 exec, exec, s[12:13]
.LBB12_880:
	s_or_b64 exec, exec, s[10:11]
.LBB12_881:
	s_or_b64 exec, exec, s[8:9]
	v_mov_b32_e32 v29, 0
	global_load_dwordx2 v[6:7], v29, s[2:3] offset:40
	global_load_dwordx4 v[0:3], v29, s[2:3]
	v_readfirstlane_b32 s8, v4
	v_readfirstlane_b32 s9, v5
	s_mov_b64 s[10:11], exec
	s_waitcnt vmcnt(1)
	v_readfirstlane_b32 s12, v6
	v_readfirstlane_b32 s13, v7
	s_and_b64 s[12:13], s[8:9], s[12:13]
	s_mul_i32 s14, s13, 24
	s_mul_hi_u32 s15, s12, 24
	s_add_i32 s15, s15, s14
	s_mul_i32 s14, s12, 24
	s_waitcnt vmcnt(0)
	v_lshl_add_u64 v[4:5], v[0:1], 0, s[14:15]
	s_and_saveexec_b64 s[14:15], s[0:1]
	s_cbranch_execz .LBB12_883
; %bb.882:
	v_mov_b64_e32 v[6:7], s[10:11]
	v_mov_b32_e32 v8, 2
	v_mov_b32_e32 v9, 1
	global_store_dwordx4 v[4:5], v[6:9], off offset:8
.LBB12_883:
	s_or_b64 exec, exec, s[14:15]
	s_lshl_b64 s[10:11], s[12:13], 12
	v_lshl_add_u64 v[6:7], v[2:3], 0, s[10:11]
	s_mov_b32 s12, 0
	v_mov_b32_e32 v8, 33
	v_mov_b32_e32 v9, v29
	;; [unrolled: 1-line block ×4, first 2 shown]
	v_readfirstlane_b32 s10, v6
	v_readfirstlane_b32 s11, v7
	s_mov_b32 s13, s12
	s_mov_b32 s14, s12
	;; [unrolled: 1-line block ×3, first 2 shown]
	s_nop 1
	global_store_dwordx4 v28, v[8:11], s[10:11]
	s_nop 1
	v_mov_b64_e32 v[8:9], s[12:13]
	v_mov_b64_e32 v[10:11], s[14:15]
	global_store_dwordx4 v28, v[8:11], s[10:11] offset:16
	global_store_dwordx4 v28, v[8:11], s[10:11] offset:32
	;; [unrolled: 1-line block ×3, first 2 shown]
	s_and_saveexec_b64 s[10:11], s[0:1]
	s_cbranch_execz .LBB12_891
; %bb.884:
	v_mov_b32_e32 v10, 0
	global_load_dwordx2 v[14:15], v10, s[2:3] offset:32 sc0 sc1
	global_load_dwordx2 v[2:3], v10, s[2:3] offset:40
	v_mov_b32_e32 v12, s8
	v_mov_b32_e32 v13, s9
	s_waitcnt vmcnt(0)
	v_readfirstlane_b32 s12, v2
	v_readfirstlane_b32 s13, v3
	s_and_b64 s[12:13], s[12:13], s[8:9]
	s_mul_i32 s13, s13, 24
	s_mul_hi_u32 s14, s12, 24
	s_mul_i32 s12, s12, 24
	s_add_i32 s13, s14, s13
	v_lshl_add_u64 v[8:9], v[0:1], 0, s[12:13]
	global_store_dwordx2 v[8:9], v[14:15], off
	buffer_wbl2 sc0 sc1
	s_waitcnt vmcnt(0)
	global_atomic_cmpswap_x2 v[2:3], v10, v[12:15], s[2:3] offset:32 sc0 sc1
	s_waitcnt vmcnt(0)
	v_cmp_ne_u64_e32 vcc, v[2:3], v[14:15]
	s_and_saveexec_b64 s[12:13], vcc
	s_cbranch_execz .LBB12_887
; %bb.885:
	s_mov_b64 s[14:15], 0
.LBB12_886:                             ; =>This Inner Loop Header: Depth=1
	s_sleep 1
	global_store_dwordx2 v[8:9], v[2:3], off
	v_mov_b32_e32 v0, s8
	v_mov_b32_e32 v1, s9
	buffer_wbl2 sc0 sc1
	s_waitcnt vmcnt(0)
	global_atomic_cmpswap_x2 v[0:1], v10, v[0:3], s[2:3] offset:32 sc0 sc1
	s_waitcnt vmcnt(0)
	v_cmp_eq_u64_e32 vcc, v[0:1], v[2:3]
	s_or_b64 s[14:15], vcc, s[14:15]
	v_mov_b64_e32 v[2:3], v[0:1]
	s_andn2_b64 exec, exec, s[14:15]
	s_cbranch_execnz .LBB12_886
.LBB12_887:
	s_or_b64 exec, exec, s[12:13]
	v_mov_b32_e32 v3, 0
	global_load_dwordx2 v[0:1], v3, s[2:3] offset:16
	s_mov_b64 s[12:13], exec
	v_mbcnt_lo_u32_b32 v2, s12, 0
	v_mbcnt_hi_u32_b32 v2, s13, v2
	v_cmp_eq_u32_e32 vcc, 0, v2
	s_and_saveexec_b64 s[14:15], vcc
	s_cbranch_execz .LBB12_889
; %bb.888:
	s_bcnt1_i32_b64 s12, s[12:13]
	v_mov_b32_e32 v2, s12
	buffer_wbl2 sc0 sc1
	s_waitcnt vmcnt(0)
	global_atomic_add_x2 v[0:1], v[2:3], off offset:8 sc1
.LBB12_889:
	s_or_b64 exec, exec, s[14:15]
	s_waitcnt vmcnt(0)
	global_load_dwordx2 v[2:3], v[0:1], off offset:16
	s_waitcnt vmcnt(0)
	v_cmp_eq_u64_e32 vcc, 0, v[2:3]
	s_cbranch_vccnz .LBB12_891
; %bb.890:
	global_load_dword v0, v[0:1], off offset:24
	v_mov_b32_e32 v1, 0
	buffer_wbl2 sc0 sc1
	s_waitcnt vmcnt(0)
	global_store_dwordx2 v[2:3], v[0:1], off sc0 sc1
	v_and_b32_e32 v0, 0xffffff, v0
	s_nop 0
	v_readfirstlane_b32 m0, v0
	s_sendmsg sendmsg(MSG_INTERRUPT)
.LBB12_891:
	s_or_b64 exec, exec, s[10:11]
	v_lshl_add_u64 v[0:1], v[6:7], 0, v[28:29]
	s_branch .LBB12_895
.LBB12_892:                             ;   in Loop: Header=BB12_895 Depth=1
	s_or_b64 exec, exec, s[10:11]
	v_readfirstlane_b32 s10, v2
	s_cmp_eq_u32 s10, 0
	s_cbranch_scc1 .LBB12_894
; %bb.893:                              ;   in Loop: Header=BB12_895 Depth=1
	s_sleep 1
	s_cbranch_execnz .LBB12_895
	s_branch .LBB12_897
.LBB12_894:
	s_branch .LBB12_897
.LBB12_895:                             ; =>This Inner Loop Header: Depth=1
	v_mov_b32_e32 v2, 1
	s_and_saveexec_b64 s[10:11], s[0:1]
	s_cbranch_execz .LBB12_892
; %bb.896:                              ;   in Loop: Header=BB12_895 Depth=1
	global_load_dword v2, v[4:5], off offset:20 sc0 sc1
	s_waitcnt vmcnt(0)
	buffer_inv sc0 sc1
	v_and_b32_e32 v2, 1, v2
	s_branch .LBB12_892
.LBB12_897:
	global_load_dwordx2 v[0:1], v[0:1], off
	s_and_saveexec_b64 s[10:11], s[0:1]
	s_cbranch_execz .LBB12_900
; %bb.898:
	v_mov_b32_e32 v8, 0
	global_load_dwordx2 v[6:7], v8, s[2:3] offset:40
	global_load_dwordx2 v[10:11], v8, s[2:3] offset:24 sc0 sc1
	global_load_dwordx2 v[12:13], v8, s[2:3]
	s_mov_b64 s[0:1], 0
	s_waitcnt vmcnt(2)
	v_lshl_add_u64 v[2:3], v[6:7], 0, 1
	v_lshl_add_u64 v[14:15], v[2:3], 0, s[8:9]
	v_cmp_eq_u64_e32 vcc, 0, v[14:15]
	s_waitcnt vmcnt(1)
	v_mov_b32_e32 v4, v10
	v_cndmask_b32_e32 v3, v15, v3, vcc
	v_cndmask_b32_e32 v2, v14, v2, vcc
	v_and_b32_e32 v5, v3, v7
	v_and_b32_e32 v6, v2, v6
	v_mul_lo_u32 v5, v5, 24
	v_mul_hi_u32 v7, v6, 24
	v_mul_lo_u32 v6, v6, 24
	v_add_u32_e32 v7, v7, v5
	s_waitcnt vmcnt(0)
	v_lshl_add_u64 v[6:7], v[12:13], 0, v[6:7]
	global_store_dwordx2 v[6:7], v[10:11], off
	v_mov_b32_e32 v5, v11
	buffer_wbl2 sc0 sc1
	s_waitcnt vmcnt(0)
	global_atomic_cmpswap_x2 v[4:5], v8, v[2:5], s[2:3] offset:24 sc0 sc1
	s_waitcnt vmcnt(0)
	v_cmp_ne_u64_e32 vcc, v[4:5], v[10:11]
	s_and_b64 exec, exec, vcc
	s_cbranch_execz .LBB12_900
.LBB12_899:                             ; =>This Inner Loop Header: Depth=1
	s_sleep 1
	global_store_dwordx2 v[6:7], v[4:5], off
	buffer_wbl2 sc0 sc1
	s_waitcnt vmcnt(0)
	global_atomic_cmpswap_x2 v[10:11], v8, v[2:5], s[2:3] offset:24 sc0 sc1
	s_waitcnt vmcnt(0)
	v_cmp_eq_u64_e32 vcc, v[10:11], v[4:5]
	s_or_b64 s[0:1], vcc, s[0:1]
	v_mov_b64_e32 v[4:5], v[10:11]
	s_andn2_b64 exec, exec, s[0:1]
	s_cbranch_execnz .LBB12_899
.LBB12_900:
	s_or_b64 exec, exec, s[10:11]
	s_getpc_b64 s[8:9]
	s_add_u32 s8, s8, .str.7@rel32@lo+4
	s_addc_u32 s9, s9, .str.7@rel32@hi+12
	s_cmp_lg_u64 s[8:9], 0
	s_cbranch_scc0 .LBB12_985
; %bb.901:
	s_waitcnt vmcnt(0)
	v_and_b32_e32 v30, 2, v0
	v_mov_b32_e32 v33, 0
	v_and_b32_e32 v2, -3, v0
	v_mov_b32_e32 v3, v1
	s_mov_b64 s[10:11], 4
	v_mov_b32_e32 v6, 2
	v_mov_b32_e32 v7, 1
	s_branch .LBB12_903
.LBB12_902:                             ;   in Loop: Header=BB12_903 Depth=1
	s_or_b64 exec, exec, s[16:17]
	s_sub_u32 s10, s10, s12
	s_subb_u32 s11, s11, s13
	s_add_u32 s8, s8, s12
	s_addc_u32 s9, s9, s13
	s_cmp_lg_u64 s[10:11], 0
	s_cbranch_scc0 .LBB12_984
.LBB12_903:                             ; =>This Loop Header: Depth=1
                                        ;     Child Loop BB12_906 Depth 2
                                        ;     Child Loop BB12_913 Depth 2
	;; [unrolled: 1-line block ×11, first 2 shown]
	v_cmp_lt_u64_e64 s[0:1], s[10:11], 56
	s_and_b64 s[0:1], s[0:1], exec
	v_cmp_gt_u64_e64 s[0:1], s[10:11], 7
	s_cselect_b32 s13, s11, 0
	s_cselect_b32 s12, s10, 56
	s_and_b64 vcc, exec, s[0:1]
	s_cbranch_vccnz .LBB12_908
; %bb.904:                              ;   in Loop: Header=BB12_903 Depth=1
	s_mov_b64 s[0:1], 0
	s_cmp_eq_u64 s[10:11], 0
	v_mov_b64_e32 v[10:11], 0
	s_cbranch_scc1 .LBB12_907
; %bb.905:                              ;   in Loop: Header=BB12_903 Depth=1
	s_lshl_b64 s[14:15], s[12:13], 3
	s_mov_b64 s[16:17], 0
	v_mov_b64_e32 v[10:11], 0
	s_mov_b64 s[18:19], s[8:9]
.LBB12_906:                             ;   Parent Loop BB12_903 Depth=1
                                        ; =>  This Inner Loop Header: Depth=2
	global_load_ubyte v4, v33, s[18:19]
	s_waitcnt vmcnt(0)
	v_and_b32_e32 v32, 0xffff, v4
	v_lshlrev_b64 v[4:5], s16, v[32:33]
	s_add_u32 s16, s16, 8
	s_addc_u32 s17, s17, 0
	s_add_u32 s18, s18, 1
	s_addc_u32 s19, s19, 0
	v_or_b32_e32 v10, v4, v10
	s_cmp_lg_u32 s14, s16
	v_or_b32_e32 v11, v5, v11
	s_cbranch_scc1 .LBB12_906
.LBB12_907:                             ;   in Loop: Header=BB12_903 Depth=1
	s_mov_b32 s18, 0
	s_andn2_b64 vcc, exec, s[0:1]
	s_mov_b64 s[0:1], s[8:9]
	s_cbranch_vccz .LBB12_909
	s_branch .LBB12_910
.LBB12_908:                             ;   in Loop: Header=BB12_903 Depth=1
                                        ; implicit-def: $vgpr10_vgpr11
                                        ; implicit-def: $sgpr18
	s_mov_b64 s[0:1], s[8:9]
.LBB12_909:                             ;   in Loop: Header=BB12_903 Depth=1
	global_load_dwordx2 v[10:11], v33, s[8:9]
	s_add_i32 s18, s12, -8
	s_add_u32 s0, s8, 8
	s_addc_u32 s1, s9, 0
.LBB12_910:                             ;   in Loop: Header=BB12_903 Depth=1
	s_cmp_gt_u32 s18, 7
	s_cbranch_scc1 .LBB12_914
; %bb.911:                              ;   in Loop: Header=BB12_903 Depth=1
	s_cmp_eq_u32 s18, 0
	s_cbranch_scc1 .LBB12_915
; %bb.912:                              ;   in Loop: Header=BB12_903 Depth=1
	s_mov_b64 s[14:15], 0
	v_mov_b64_e32 v[12:13], 0
	s_mov_b64 s[16:17], 0
.LBB12_913:                             ;   Parent Loop BB12_903 Depth=1
                                        ; =>  This Inner Loop Header: Depth=2
	s_add_u32 s20, s0, s16
	s_addc_u32 s21, s1, s17
	global_load_ubyte v4, v33, s[20:21]
	s_add_u32 s16, s16, 1
	s_addc_u32 s17, s17, 0
	s_waitcnt vmcnt(0)
	v_and_b32_e32 v32, 0xffff, v4
	v_lshlrev_b64 v[4:5], s14, v[32:33]
	s_add_u32 s14, s14, 8
	s_addc_u32 s15, s15, 0
	v_or_b32_e32 v12, v4, v12
	s_cmp_lg_u32 s18, s16
	v_or_b32_e32 v13, v5, v13
	s_cbranch_scc1 .LBB12_913
	s_branch .LBB12_916
.LBB12_914:                             ;   in Loop: Header=BB12_903 Depth=1
                                        ; implicit-def: $vgpr12_vgpr13
                                        ; implicit-def: $sgpr19
	s_branch .LBB12_917
.LBB12_915:                             ;   in Loop: Header=BB12_903 Depth=1
	v_mov_b64_e32 v[12:13], 0
.LBB12_916:                             ;   in Loop: Header=BB12_903 Depth=1
	s_mov_b32 s19, 0
	s_cbranch_execnz .LBB12_918
.LBB12_917:                             ;   in Loop: Header=BB12_903 Depth=1
	global_load_dwordx2 v[12:13], v33, s[0:1]
	s_add_i32 s19, s18, -8
	s_add_u32 s0, s0, 8
	s_addc_u32 s1, s1, 0
.LBB12_918:                             ;   in Loop: Header=BB12_903 Depth=1
	s_cmp_gt_u32 s19, 7
	s_cbranch_scc1 .LBB12_922
; %bb.919:                              ;   in Loop: Header=BB12_903 Depth=1
	s_cmp_eq_u32 s19, 0
	s_cbranch_scc1 .LBB12_923
; %bb.920:                              ;   in Loop: Header=BB12_903 Depth=1
	s_mov_b64 s[14:15], 0
	v_mov_b64_e32 v[14:15], 0
	s_mov_b64 s[16:17], 0
.LBB12_921:                             ;   Parent Loop BB12_903 Depth=1
                                        ; =>  This Inner Loop Header: Depth=2
	s_add_u32 s20, s0, s16
	s_addc_u32 s21, s1, s17
	global_load_ubyte v4, v33, s[20:21]
	s_add_u32 s16, s16, 1
	s_addc_u32 s17, s17, 0
	s_waitcnt vmcnt(0)
	v_and_b32_e32 v32, 0xffff, v4
	v_lshlrev_b64 v[4:5], s14, v[32:33]
	s_add_u32 s14, s14, 8
	s_addc_u32 s15, s15, 0
	v_or_b32_e32 v14, v4, v14
	s_cmp_lg_u32 s19, s16
	v_or_b32_e32 v15, v5, v15
	s_cbranch_scc1 .LBB12_921
	s_branch .LBB12_924
.LBB12_922:                             ;   in Loop: Header=BB12_903 Depth=1
                                        ; implicit-def: $sgpr18
	s_branch .LBB12_925
.LBB12_923:                             ;   in Loop: Header=BB12_903 Depth=1
	v_mov_b64_e32 v[14:15], 0
.LBB12_924:                             ;   in Loop: Header=BB12_903 Depth=1
	s_mov_b32 s18, 0
	s_cbranch_execnz .LBB12_926
.LBB12_925:                             ;   in Loop: Header=BB12_903 Depth=1
	global_load_dwordx2 v[14:15], v33, s[0:1]
	s_add_i32 s18, s19, -8
	s_add_u32 s0, s0, 8
	s_addc_u32 s1, s1, 0
.LBB12_926:                             ;   in Loop: Header=BB12_903 Depth=1
	s_cmp_gt_u32 s18, 7
	s_cbranch_scc1 .LBB12_930
; %bb.927:                              ;   in Loop: Header=BB12_903 Depth=1
	s_cmp_eq_u32 s18, 0
	s_cbranch_scc1 .LBB12_931
; %bb.928:                              ;   in Loop: Header=BB12_903 Depth=1
	s_mov_b64 s[14:15], 0
	v_mov_b64_e32 v[16:17], 0
	s_mov_b64 s[16:17], 0
.LBB12_929:                             ;   Parent Loop BB12_903 Depth=1
                                        ; =>  This Inner Loop Header: Depth=2
	s_add_u32 s20, s0, s16
	s_addc_u32 s21, s1, s17
	global_load_ubyte v4, v33, s[20:21]
	s_add_u32 s16, s16, 1
	s_addc_u32 s17, s17, 0
	s_waitcnt vmcnt(0)
	v_and_b32_e32 v32, 0xffff, v4
	v_lshlrev_b64 v[4:5], s14, v[32:33]
	s_add_u32 s14, s14, 8
	s_addc_u32 s15, s15, 0
	v_or_b32_e32 v16, v4, v16
	s_cmp_lg_u32 s18, s16
	v_or_b32_e32 v17, v5, v17
	s_cbranch_scc1 .LBB12_929
	s_branch .LBB12_932
.LBB12_930:                             ;   in Loop: Header=BB12_903 Depth=1
                                        ; implicit-def: $vgpr16_vgpr17
                                        ; implicit-def: $sgpr19
	s_branch .LBB12_933
.LBB12_931:                             ;   in Loop: Header=BB12_903 Depth=1
	v_mov_b64_e32 v[16:17], 0
.LBB12_932:                             ;   in Loop: Header=BB12_903 Depth=1
	s_mov_b32 s19, 0
	s_cbranch_execnz .LBB12_934
.LBB12_933:                             ;   in Loop: Header=BB12_903 Depth=1
	global_load_dwordx2 v[16:17], v33, s[0:1]
	s_add_i32 s19, s18, -8
	s_add_u32 s0, s0, 8
	s_addc_u32 s1, s1, 0
.LBB12_934:                             ;   in Loop: Header=BB12_903 Depth=1
	s_cmp_gt_u32 s19, 7
	s_cbranch_scc1 .LBB12_938
; %bb.935:                              ;   in Loop: Header=BB12_903 Depth=1
	s_cmp_eq_u32 s19, 0
	s_cbranch_scc1 .LBB12_939
; %bb.936:                              ;   in Loop: Header=BB12_903 Depth=1
	s_mov_b64 s[14:15], 0
	v_mov_b64_e32 v[18:19], 0
	s_mov_b64 s[16:17], 0
.LBB12_937:                             ;   Parent Loop BB12_903 Depth=1
                                        ; =>  This Inner Loop Header: Depth=2
	s_add_u32 s20, s0, s16
	s_addc_u32 s21, s1, s17
	global_load_ubyte v4, v33, s[20:21]
	s_add_u32 s16, s16, 1
	s_addc_u32 s17, s17, 0
	s_waitcnt vmcnt(0)
	v_and_b32_e32 v32, 0xffff, v4
	v_lshlrev_b64 v[4:5], s14, v[32:33]
	s_add_u32 s14, s14, 8
	s_addc_u32 s15, s15, 0
	v_or_b32_e32 v18, v4, v18
	s_cmp_lg_u32 s19, s16
	v_or_b32_e32 v19, v5, v19
	s_cbranch_scc1 .LBB12_937
	s_branch .LBB12_940
.LBB12_938:                             ;   in Loop: Header=BB12_903 Depth=1
                                        ; implicit-def: $sgpr18
	s_branch .LBB12_941
.LBB12_939:                             ;   in Loop: Header=BB12_903 Depth=1
	v_mov_b64_e32 v[18:19], 0
.LBB12_940:                             ;   in Loop: Header=BB12_903 Depth=1
	s_mov_b32 s18, 0
	s_cbranch_execnz .LBB12_942
.LBB12_941:                             ;   in Loop: Header=BB12_903 Depth=1
	global_load_dwordx2 v[18:19], v33, s[0:1]
	s_add_i32 s18, s19, -8
	s_add_u32 s0, s0, 8
	s_addc_u32 s1, s1, 0
.LBB12_942:                             ;   in Loop: Header=BB12_903 Depth=1
	s_cmp_gt_u32 s18, 7
	s_cbranch_scc1 .LBB12_946
; %bb.943:                              ;   in Loop: Header=BB12_903 Depth=1
	s_cmp_eq_u32 s18, 0
	s_cbranch_scc1 .LBB12_947
; %bb.944:                              ;   in Loop: Header=BB12_903 Depth=1
	s_mov_b64 s[14:15], 0
	v_mov_b64_e32 v[20:21], 0
	s_mov_b64 s[16:17], 0
.LBB12_945:                             ;   Parent Loop BB12_903 Depth=1
                                        ; =>  This Inner Loop Header: Depth=2
	s_add_u32 s20, s0, s16
	s_addc_u32 s21, s1, s17
	global_load_ubyte v4, v33, s[20:21]
	s_add_u32 s16, s16, 1
	s_addc_u32 s17, s17, 0
	s_waitcnt vmcnt(0)
	v_and_b32_e32 v32, 0xffff, v4
	v_lshlrev_b64 v[4:5], s14, v[32:33]
	s_add_u32 s14, s14, 8
	s_addc_u32 s15, s15, 0
	v_or_b32_e32 v20, v4, v20
	s_cmp_lg_u32 s18, s16
	v_or_b32_e32 v21, v5, v21
	s_cbranch_scc1 .LBB12_945
	s_branch .LBB12_948
.LBB12_946:                             ;   in Loop: Header=BB12_903 Depth=1
                                        ; implicit-def: $vgpr20_vgpr21
                                        ; implicit-def: $sgpr19
	s_branch .LBB12_949
.LBB12_947:                             ;   in Loop: Header=BB12_903 Depth=1
	v_mov_b64_e32 v[20:21], 0
.LBB12_948:                             ;   in Loop: Header=BB12_903 Depth=1
	s_mov_b32 s19, 0
	s_cbranch_execnz .LBB12_950
.LBB12_949:                             ;   in Loop: Header=BB12_903 Depth=1
	global_load_dwordx2 v[20:21], v33, s[0:1]
	s_add_i32 s19, s18, -8
	s_add_u32 s0, s0, 8
	s_addc_u32 s1, s1, 0
.LBB12_950:                             ;   in Loop: Header=BB12_903 Depth=1
	s_cmp_gt_u32 s19, 7
	s_cbranch_scc1 .LBB12_954
; %bb.951:                              ;   in Loop: Header=BB12_903 Depth=1
	s_cmp_eq_u32 s19, 0
	s_cbranch_scc1 .LBB12_955
; %bb.952:                              ;   in Loop: Header=BB12_903 Depth=1
	s_mov_b64 s[14:15], 0
	v_mov_b64_e32 v[22:23], 0
	s_mov_b64 s[16:17], s[0:1]
.LBB12_953:                             ;   Parent Loop BB12_903 Depth=1
                                        ; =>  This Inner Loop Header: Depth=2
	global_load_ubyte v4, v33, s[16:17]
	s_add_i32 s19, s19, -1
	s_waitcnt vmcnt(0)
	v_and_b32_e32 v32, 0xffff, v4
	v_lshlrev_b64 v[4:5], s14, v[32:33]
	s_add_u32 s14, s14, 8
	s_addc_u32 s15, s15, 0
	s_add_u32 s16, s16, 1
	s_addc_u32 s17, s17, 0
	v_or_b32_e32 v22, v4, v22
	s_cmp_lg_u32 s19, 0
	v_or_b32_e32 v23, v5, v23
	s_cbranch_scc1 .LBB12_953
	s_branch .LBB12_956
.LBB12_954:                             ;   in Loop: Header=BB12_903 Depth=1
	s_branch .LBB12_957
.LBB12_955:                             ;   in Loop: Header=BB12_903 Depth=1
	v_mov_b64_e32 v[22:23], 0
.LBB12_956:                             ;   in Loop: Header=BB12_903 Depth=1
	s_cbranch_execnz .LBB12_958
.LBB12_957:                             ;   in Loop: Header=BB12_903 Depth=1
	global_load_dwordx2 v[22:23], v33, s[0:1]
.LBB12_958:                             ;   in Loop: Header=BB12_903 Depth=1
	v_readfirstlane_b32 s0, v36
	s_waitcnt vmcnt(0)
	v_mov_b64_e32 v[4:5], 0
	v_cmp_eq_u32_e64 s[0:1], s0, v36
	s_and_saveexec_b64 s[14:15], s[0:1]
	s_cbranch_execz .LBB12_964
; %bb.959:                              ;   in Loop: Header=BB12_903 Depth=1
	global_load_dwordx2 v[26:27], v33, s[2:3] offset:24 sc0 sc1
	s_waitcnt vmcnt(0)
	buffer_inv sc0 sc1
	global_load_dwordx2 v[4:5], v33, s[2:3] offset:40
	global_load_dwordx2 v[8:9], v33, s[2:3]
	s_waitcnt vmcnt(1)
	v_and_b32_e32 v4, v4, v26
	v_and_b32_e32 v5, v5, v27
	v_mul_lo_u32 v5, v5, 24
	v_mul_hi_u32 v24, v4, 24
	v_add_u32_e32 v5, v24, v5
	v_mul_lo_u32 v4, v4, 24
	s_waitcnt vmcnt(0)
	v_lshl_add_u64 v[4:5], v[8:9], 0, v[4:5]
	global_load_dwordx2 v[24:25], v[4:5], off sc0 sc1
	s_waitcnt vmcnt(0)
	global_atomic_cmpswap_x2 v[4:5], v33, v[24:27], s[2:3] offset:24 sc0 sc1
	s_waitcnt vmcnt(0)
	buffer_inv sc0 sc1
	v_cmp_ne_u64_e32 vcc, v[4:5], v[26:27]
	s_and_saveexec_b64 s[16:17], vcc
	s_cbranch_execz .LBB12_963
; %bb.960:                              ;   in Loop: Header=BB12_903 Depth=1
	s_mov_b64 s[18:19], 0
.LBB12_961:                             ;   Parent Loop BB12_903 Depth=1
                                        ; =>  This Inner Loop Header: Depth=2
	s_sleep 1
	global_load_dwordx2 v[8:9], v33, s[2:3] offset:40
	global_load_dwordx2 v[24:25], v33, s[2:3]
	v_mov_b64_e32 v[26:27], v[4:5]
	s_waitcnt vmcnt(1)
	v_and_b32_e32 v4, v8, v26
	s_waitcnt vmcnt(0)
	v_mad_u64_u32 v[4:5], s[20:21], v4, 24, v[24:25]
	v_and_b32_e32 v9, v9, v27
	v_mov_b32_e32 v8, v5
	v_mad_u64_u32 v[8:9], s[20:21], v9, 24, v[8:9]
	v_mov_b32_e32 v5, v8
	global_load_dwordx2 v[24:25], v[4:5], off sc0 sc1
	s_waitcnt vmcnt(0)
	global_atomic_cmpswap_x2 v[4:5], v33, v[24:27], s[2:3] offset:24 sc0 sc1
	s_waitcnt vmcnt(0)
	buffer_inv sc0 sc1
	v_cmp_eq_u64_e32 vcc, v[4:5], v[26:27]
	s_or_b64 s[18:19], vcc, s[18:19]
	s_andn2_b64 exec, exec, s[18:19]
	s_cbranch_execnz .LBB12_961
; %bb.962:                              ;   in Loop: Header=BB12_903 Depth=1
	s_or_b64 exec, exec, s[18:19]
.LBB12_963:                             ;   in Loop: Header=BB12_903 Depth=1
	s_or_b64 exec, exec, s[16:17]
.LBB12_964:                             ;   in Loop: Header=BB12_903 Depth=1
	s_or_b64 exec, exec, s[14:15]
	global_load_dwordx2 v[8:9], v33, s[2:3] offset:40
	global_load_dwordx4 v[24:27], v33, s[2:3]
	v_readfirstlane_b32 s14, v4
	v_readfirstlane_b32 s15, v5
	s_mov_b64 s[16:17], exec
	s_waitcnt vmcnt(1)
	v_readfirstlane_b32 s18, v8
	v_readfirstlane_b32 s19, v9
	s_and_b64 s[18:19], s[14:15], s[18:19]
	s_mul_i32 s20, s19, 24
	s_mul_hi_u32 s21, s18, 24
	s_add_i32 s21, s21, s20
	s_mul_i32 s20, s18, 24
	s_waitcnt vmcnt(0)
	v_lshl_add_u64 v[34:35], v[24:25], 0, s[20:21]
	s_and_saveexec_b64 s[20:21], s[0:1]
	s_cbranch_execz .LBB12_966
; %bb.965:                              ;   in Loop: Header=BB12_903 Depth=1
	v_mov_b64_e32 v[4:5], s[16:17]
	global_store_dwordx4 v[34:35], v[4:7], off offset:8
.LBB12_966:                             ;   in Loop: Header=BB12_903 Depth=1
	s_or_b64 exec, exec, s[20:21]
	s_lshl_b64 s[16:17], s[18:19], 12
	v_lshl_add_u64 v[26:27], v[26:27], 0, s[16:17]
	v_or_b32_e32 v5, v2, v30
	v_cmp_gt_u64_e64 vcc, s[10:11], 56
	s_lshl_b32 s16, s12, 2
	s_add_i32 s16, s16, 28
	v_cndmask_b32_e32 v2, v5, v2, vcc
	v_or_b32_e32 v4, 0, v3
	s_and_b32 s16, s16, 0x1e0
	v_and_b32_e32 v2, 0xffffff1f, v2
	v_cndmask_b32_e32 v9, v4, v3, vcc
	v_or_b32_e32 v8, s16, v2
	v_readfirstlane_b32 s16, v26
	v_readfirstlane_b32 s17, v27
	s_nop 4
	global_store_dwordx4 v28, v[8:11], s[16:17]
	global_store_dwordx4 v28, v[12:15], s[16:17] offset:16
	global_store_dwordx4 v28, v[16:19], s[16:17] offset:32
	;; [unrolled: 1-line block ×3, first 2 shown]
	s_and_saveexec_b64 s[16:17], s[0:1]
	s_cbranch_execz .LBB12_974
; %bb.967:                              ;   in Loop: Header=BB12_903 Depth=1
	global_load_dwordx2 v[12:13], v33, s[2:3] offset:32 sc0 sc1
	global_load_dwordx2 v[2:3], v33, s[2:3] offset:40
	v_mov_b32_e32 v10, s14
	v_mov_b32_e32 v11, s15
	s_waitcnt vmcnt(0)
	v_readfirstlane_b32 s18, v2
	v_readfirstlane_b32 s19, v3
	s_and_b64 s[18:19], s[18:19], s[14:15]
	s_mul_i32 s19, s19, 24
	s_mul_hi_u32 s20, s18, 24
	s_mul_i32 s18, s18, 24
	s_add_i32 s19, s20, s19
	v_lshl_add_u64 v[8:9], v[24:25], 0, s[18:19]
	global_store_dwordx2 v[8:9], v[12:13], off
	buffer_wbl2 sc0 sc1
	s_waitcnt vmcnt(0)
	global_atomic_cmpswap_x2 v[4:5], v33, v[10:13], s[2:3] offset:32 sc0 sc1
	s_waitcnt vmcnt(0)
	v_cmp_ne_u64_e32 vcc, v[4:5], v[12:13]
	s_and_saveexec_b64 s[18:19], vcc
	s_cbranch_execz .LBB12_970
; %bb.968:                              ;   in Loop: Header=BB12_903 Depth=1
	s_mov_b64 s[20:21], 0
.LBB12_969:                             ;   Parent Loop BB12_903 Depth=1
                                        ; =>  This Inner Loop Header: Depth=2
	s_sleep 1
	global_store_dwordx2 v[8:9], v[4:5], off
	v_mov_b32_e32 v2, s14
	v_mov_b32_e32 v3, s15
	buffer_wbl2 sc0 sc1
	s_waitcnt vmcnt(0)
	global_atomic_cmpswap_x2 v[2:3], v33, v[2:5], s[2:3] offset:32 sc0 sc1
	s_waitcnt vmcnt(0)
	v_cmp_eq_u64_e32 vcc, v[2:3], v[4:5]
	s_or_b64 s[20:21], vcc, s[20:21]
	v_mov_b64_e32 v[4:5], v[2:3]
	s_andn2_b64 exec, exec, s[20:21]
	s_cbranch_execnz .LBB12_969
.LBB12_970:                             ;   in Loop: Header=BB12_903 Depth=1
	s_or_b64 exec, exec, s[18:19]
	global_load_dwordx2 v[2:3], v33, s[2:3] offset:16
	s_mov_b64 s[20:21], exec
	v_mbcnt_lo_u32_b32 v4, s20, 0
	v_mbcnt_hi_u32_b32 v4, s21, v4
	v_cmp_eq_u32_e32 vcc, 0, v4
	s_and_saveexec_b64 s[18:19], vcc
	s_cbranch_execz .LBB12_972
; %bb.971:                              ;   in Loop: Header=BB12_903 Depth=1
	s_bcnt1_i32_b64 s20, s[20:21]
	v_mov_b32_e32 v32, s20
	buffer_wbl2 sc0 sc1
	s_waitcnt vmcnt(0)
	global_atomic_add_x2 v[2:3], v[32:33], off offset:8 sc1
.LBB12_972:                             ;   in Loop: Header=BB12_903 Depth=1
	s_or_b64 exec, exec, s[18:19]
	s_waitcnt vmcnt(0)
	global_load_dwordx2 v[4:5], v[2:3], off offset:16
	s_waitcnt vmcnt(0)
	v_cmp_eq_u64_e32 vcc, 0, v[4:5]
	s_cbranch_vccnz .LBB12_974
; %bb.973:                              ;   in Loop: Header=BB12_903 Depth=1
	global_load_dword v32, v[2:3], off offset:24
	s_waitcnt vmcnt(0)
	v_and_b32_e32 v2, 0xffffff, v32
	s_nop 0
	v_readfirstlane_b32 m0, v2
	buffer_wbl2 sc0 sc1
	global_store_dwordx2 v[4:5], v[32:33], off sc0 sc1
	s_sendmsg sendmsg(MSG_INTERRUPT)
.LBB12_974:                             ;   in Loop: Header=BB12_903 Depth=1
	s_or_b64 exec, exec, s[16:17]
	v_mov_b32_e32 v29, v33
	v_lshl_add_u64 v[2:3], v[26:27], 0, v[28:29]
	s_branch .LBB12_978
.LBB12_975:                             ;   in Loop: Header=BB12_978 Depth=2
	s_or_b64 exec, exec, s[16:17]
	v_readfirstlane_b32 s16, v4
	s_cmp_eq_u32 s16, 0
	s_cbranch_scc1 .LBB12_977
; %bb.976:                              ;   in Loop: Header=BB12_978 Depth=2
	s_sleep 1
	s_cbranch_execnz .LBB12_978
	s_branch .LBB12_980
.LBB12_977:                             ;   in Loop: Header=BB12_903 Depth=1
	s_branch .LBB12_980
.LBB12_978:                             ;   Parent Loop BB12_903 Depth=1
                                        ; =>  This Inner Loop Header: Depth=2
	v_mov_b32_e32 v4, 1
	s_and_saveexec_b64 s[16:17], s[0:1]
	s_cbranch_execz .LBB12_975
; %bb.979:                              ;   in Loop: Header=BB12_978 Depth=2
	global_load_dword v4, v[34:35], off offset:20 sc0 sc1
	s_waitcnt vmcnt(0)
	buffer_inv sc0 sc1
	v_and_b32_e32 v4, 1, v4
	s_branch .LBB12_975
.LBB12_980:                             ;   in Loop: Header=BB12_903 Depth=1
	global_load_dwordx4 v[2:5], v[2:3], off
	s_and_saveexec_b64 s[16:17], s[0:1]
	s_cbranch_execz .LBB12_902
; %bb.981:                              ;   in Loop: Header=BB12_903 Depth=1
	global_load_dwordx2 v[4:5], v33, s[2:3] offset:40
	global_load_dwordx2 v[12:13], v33, s[2:3] offset:24 sc0 sc1
	global_load_dwordx2 v[14:15], v33, s[2:3]
	s_waitcnt vmcnt(2)
	v_lshl_add_u64 v[8:9], v[4:5], 0, 1
	v_lshl_add_u64 v[16:17], v[8:9], 0, s[14:15]
	v_cmp_eq_u64_e32 vcc, 0, v[16:17]
	s_waitcnt vmcnt(1)
	v_mov_b32_e32 v10, v12
	v_cndmask_b32_e32 v9, v17, v9, vcc
	v_cndmask_b32_e32 v8, v16, v8, vcc
	v_and_b32_e32 v5, v9, v5
	v_and_b32_e32 v4, v8, v4
	v_mul_lo_u32 v5, v5, 24
	v_mul_hi_u32 v11, v4, 24
	v_mul_lo_u32 v4, v4, 24
	v_add_u32_e32 v5, v11, v5
	s_waitcnt vmcnt(0)
	v_lshl_add_u64 v[4:5], v[14:15], 0, v[4:5]
	global_store_dwordx2 v[4:5], v[12:13], off
	v_mov_b32_e32 v11, v13
	buffer_wbl2 sc0 sc1
	s_waitcnt vmcnt(0)
	global_atomic_cmpswap_x2 v[10:11], v33, v[8:11], s[2:3] offset:24 sc0 sc1
	s_waitcnt vmcnt(0)
	v_cmp_ne_u64_e32 vcc, v[10:11], v[12:13]
	s_and_b64 exec, exec, vcc
	s_cbranch_execz .LBB12_902
; %bb.982:                              ;   in Loop: Header=BB12_903 Depth=1
	s_mov_b64 s[0:1], 0
.LBB12_983:                             ;   Parent Loop BB12_903 Depth=1
                                        ; =>  This Inner Loop Header: Depth=2
	s_sleep 1
	global_store_dwordx2 v[4:5], v[10:11], off
	buffer_wbl2 sc0 sc1
	s_waitcnt vmcnt(0)
	global_atomic_cmpswap_x2 v[12:13], v33, v[8:11], s[2:3] offset:24 sc0 sc1
	s_waitcnt vmcnt(0)
	v_cmp_eq_u64_e32 vcc, v[12:13], v[10:11]
	s_or_b64 s[0:1], vcc, s[0:1]
	v_mov_b64_e32 v[10:11], v[12:13]
	s_andn2_b64 exec, exec, s[0:1]
	s_cbranch_execnz .LBB12_983
	s_branch .LBB12_902
.LBB12_984:
	s_mov_b64 s[0:1], 0
	s_branch .LBB12_986
.LBB12_985:
	s_mov_b64 s[0:1], -1
                                        ; implicit-def: $vgpr2_vgpr3
.LBB12_986:
	s_and_b64 vcc, exec, s[0:1]
	s_cbranch_vccz .LBB12_1013
; %bb.987:
	v_readfirstlane_b32 s0, v36
	s_waitcnt vmcnt(0)
	v_mov_b64_e32 v[2:3], 0
	v_cmp_eq_u32_e64 s[0:1], s0, v36
	s_and_saveexec_b64 s[8:9], s[0:1]
	s_cbranch_execz .LBB12_993
; %bb.988:
	v_mov_b32_e32 v4, 0
	global_load_dwordx2 v[8:9], v4, s[2:3] offset:24 sc0 sc1
	s_waitcnt vmcnt(0)
	buffer_inv sc0 sc1
	global_load_dwordx2 v[2:3], v4, s[2:3] offset:40
	global_load_dwordx2 v[6:7], v4, s[2:3]
	s_waitcnt vmcnt(1)
	v_and_b32_e32 v2, v2, v8
	v_and_b32_e32 v3, v3, v9
	v_mul_lo_u32 v3, v3, 24
	v_mul_hi_u32 v5, v2, 24
	v_add_u32_e32 v3, v5, v3
	v_mul_lo_u32 v2, v2, 24
	s_waitcnt vmcnt(0)
	v_lshl_add_u64 v[2:3], v[6:7], 0, v[2:3]
	global_load_dwordx2 v[6:7], v[2:3], off sc0 sc1
	s_waitcnt vmcnt(0)
	global_atomic_cmpswap_x2 v[2:3], v4, v[6:9], s[2:3] offset:24 sc0 sc1
	s_waitcnt vmcnt(0)
	buffer_inv sc0 sc1
	v_cmp_ne_u64_e32 vcc, v[2:3], v[8:9]
	s_and_saveexec_b64 s[10:11], vcc
	s_cbranch_execz .LBB12_992
; %bb.989:
	s_mov_b64 s[12:13], 0
.LBB12_990:                             ; =>This Inner Loop Header: Depth=1
	s_sleep 1
	global_load_dwordx2 v[6:7], v4, s[2:3] offset:40
	global_load_dwordx2 v[10:11], v4, s[2:3]
	v_mov_b64_e32 v[8:9], v[2:3]
	s_waitcnt vmcnt(1)
	v_and_b32_e32 v2, v6, v8
	s_waitcnt vmcnt(0)
	v_mad_u64_u32 v[2:3], s[14:15], v2, 24, v[10:11]
	v_and_b32_e32 v5, v7, v9
	v_mov_b32_e32 v6, v3
	v_mad_u64_u32 v[6:7], s[14:15], v5, 24, v[6:7]
	v_mov_b32_e32 v3, v6
	global_load_dwordx2 v[6:7], v[2:3], off sc0 sc1
	s_waitcnt vmcnt(0)
	global_atomic_cmpswap_x2 v[2:3], v4, v[6:9], s[2:3] offset:24 sc0 sc1
	s_waitcnt vmcnt(0)
	buffer_inv sc0 sc1
	v_cmp_eq_u64_e32 vcc, v[2:3], v[8:9]
	s_or_b64 s[12:13], vcc, s[12:13]
	s_andn2_b64 exec, exec, s[12:13]
	s_cbranch_execnz .LBB12_990
; %bb.991:
	s_or_b64 exec, exec, s[12:13]
.LBB12_992:
	s_or_b64 exec, exec, s[10:11]
.LBB12_993:
	s_or_b64 exec, exec, s[8:9]
	v_mov_b32_e32 v29, 0
	global_load_dwordx2 v[8:9], v29, s[2:3] offset:40
	global_load_dwordx4 v[4:7], v29, s[2:3]
	v_readfirstlane_b32 s8, v2
	v_readfirstlane_b32 s9, v3
	s_mov_b64 s[10:11], exec
	s_waitcnt vmcnt(1)
	v_readfirstlane_b32 s12, v8
	v_readfirstlane_b32 s13, v9
	s_and_b64 s[12:13], s[8:9], s[12:13]
	s_mul_i32 s14, s13, 24
	s_mul_hi_u32 s15, s12, 24
	s_add_i32 s15, s15, s14
	s_mul_i32 s14, s12, 24
	s_waitcnt vmcnt(0)
	v_lshl_add_u64 v[8:9], v[4:5], 0, s[14:15]
	s_and_saveexec_b64 s[14:15], s[0:1]
	s_cbranch_execz .LBB12_995
; %bb.994:
	v_mov_b64_e32 v[10:11], s[10:11]
	v_mov_b32_e32 v12, 2
	v_mov_b32_e32 v13, 1
	global_store_dwordx4 v[8:9], v[10:13], off offset:8
.LBB12_995:
	s_or_b64 exec, exec, s[14:15]
	s_lshl_b64 s[10:11], s[12:13], 12
	v_lshl_add_u64 v[6:7], v[6:7], 0, s[10:11]
	s_movk_i32 s10, 0xff1f
	s_mov_b32 s12, 0
	v_and_or_b32 v0, v0, s10, 32
	v_mov_b32_e32 v2, v29
	v_mov_b32_e32 v3, v29
	v_readfirstlane_b32 s10, v6
	v_readfirstlane_b32 s11, v7
	s_mov_b32 s13, s12
	s_mov_b32 s14, s12
	;; [unrolled: 1-line block ×3, first 2 shown]
	s_nop 1
	global_store_dwordx4 v28, v[0:3], s[10:11]
	s_nop 1
	v_mov_b64_e32 v[0:1], s[12:13]
	v_mov_b64_e32 v[2:3], s[14:15]
	global_store_dwordx4 v28, v[0:3], s[10:11] offset:16
	global_store_dwordx4 v28, v[0:3], s[10:11] offset:32
	;; [unrolled: 1-line block ×3, first 2 shown]
	s_and_saveexec_b64 s[10:11], s[0:1]
	s_cbranch_execz .LBB12_1003
; %bb.996:
	v_mov_b32_e32 v10, 0
	global_load_dwordx2 v[14:15], v10, s[2:3] offset:32 sc0 sc1
	global_load_dwordx2 v[0:1], v10, s[2:3] offset:40
	v_mov_b32_e32 v12, s8
	v_mov_b32_e32 v13, s9
	s_waitcnt vmcnt(0)
	v_readfirstlane_b32 s12, v0
	v_readfirstlane_b32 s13, v1
	s_and_b64 s[12:13], s[12:13], s[8:9]
	s_mul_i32 s13, s13, 24
	s_mul_hi_u32 s14, s12, 24
	s_mul_i32 s12, s12, 24
	s_add_i32 s13, s14, s13
	v_lshl_add_u64 v[4:5], v[4:5], 0, s[12:13]
	global_store_dwordx2 v[4:5], v[14:15], off
	buffer_wbl2 sc0 sc1
	s_waitcnt vmcnt(0)
	global_atomic_cmpswap_x2 v[2:3], v10, v[12:15], s[2:3] offset:32 sc0 sc1
	s_waitcnt vmcnt(0)
	v_cmp_ne_u64_e32 vcc, v[2:3], v[14:15]
	s_and_saveexec_b64 s[12:13], vcc
	s_cbranch_execz .LBB12_999
; %bb.997:
	s_mov_b64 s[14:15], 0
.LBB12_998:                             ; =>This Inner Loop Header: Depth=1
	s_sleep 1
	global_store_dwordx2 v[4:5], v[2:3], off
	v_mov_b32_e32 v0, s8
	v_mov_b32_e32 v1, s9
	buffer_wbl2 sc0 sc1
	s_waitcnt vmcnt(0)
	global_atomic_cmpswap_x2 v[0:1], v10, v[0:3], s[2:3] offset:32 sc0 sc1
	s_waitcnt vmcnt(0)
	v_cmp_eq_u64_e32 vcc, v[0:1], v[2:3]
	s_or_b64 s[14:15], vcc, s[14:15]
	v_mov_b64_e32 v[2:3], v[0:1]
	s_andn2_b64 exec, exec, s[14:15]
	s_cbranch_execnz .LBB12_998
.LBB12_999:
	s_or_b64 exec, exec, s[12:13]
	v_mov_b32_e32 v3, 0
	global_load_dwordx2 v[0:1], v3, s[2:3] offset:16
	s_mov_b64 s[12:13], exec
	v_mbcnt_lo_u32_b32 v2, s12, 0
	v_mbcnt_hi_u32_b32 v2, s13, v2
	v_cmp_eq_u32_e32 vcc, 0, v2
	s_and_saveexec_b64 s[14:15], vcc
	s_cbranch_execz .LBB12_1001
; %bb.1000:
	s_bcnt1_i32_b64 s12, s[12:13]
	v_mov_b32_e32 v2, s12
	buffer_wbl2 sc0 sc1
	s_waitcnt vmcnt(0)
	global_atomic_add_x2 v[0:1], v[2:3], off offset:8 sc1
.LBB12_1001:
	s_or_b64 exec, exec, s[14:15]
	s_waitcnt vmcnt(0)
	global_load_dwordx2 v[2:3], v[0:1], off offset:16
	s_waitcnt vmcnt(0)
	v_cmp_eq_u64_e32 vcc, 0, v[2:3]
	s_cbranch_vccnz .LBB12_1003
; %bb.1002:
	global_load_dword v0, v[0:1], off offset:24
	v_mov_b32_e32 v1, 0
	buffer_wbl2 sc0 sc1
	s_waitcnt vmcnt(0)
	global_store_dwordx2 v[2:3], v[0:1], off sc0 sc1
	v_and_b32_e32 v0, 0xffffff, v0
	s_nop 0
	v_readfirstlane_b32 m0, v0
	s_sendmsg sendmsg(MSG_INTERRUPT)
.LBB12_1003:
	s_or_b64 exec, exec, s[10:11]
	v_lshl_add_u64 v[0:1], v[6:7], 0, v[28:29]
	s_branch .LBB12_1007
.LBB12_1004:                            ;   in Loop: Header=BB12_1007 Depth=1
	s_or_b64 exec, exec, s[10:11]
	v_readfirstlane_b32 s10, v2
	s_cmp_eq_u32 s10, 0
	s_cbranch_scc1 .LBB12_1006
; %bb.1005:                             ;   in Loop: Header=BB12_1007 Depth=1
	s_sleep 1
	s_cbranch_execnz .LBB12_1007
	s_branch .LBB12_1009
.LBB12_1006:
	s_branch .LBB12_1009
.LBB12_1007:                            ; =>This Inner Loop Header: Depth=1
	v_mov_b32_e32 v2, 1
	s_and_saveexec_b64 s[10:11], s[0:1]
	s_cbranch_execz .LBB12_1004
; %bb.1008:                             ;   in Loop: Header=BB12_1007 Depth=1
	global_load_dword v2, v[8:9], off offset:20 sc0 sc1
	s_waitcnt vmcnt(0)
	buffer_inv sc0 sc1
	v_and_b32_e32 v2, 1, v2
	s_branch .LBB12_1004
.LBB12_1009:
	global_load_dwordx2 v[2:3], v[0:1], off
	s_and_saveexec_b64 s[10:11], s[0:1]
	s_cbranch_execz .LBB12_1012
; %bb.1010:
	v_mov_b32_e32 v8, 0
	global_load_dwordx2 v[0:1], v8, s[2:3] offset:40
	global_load_dwordx2 v[10:11], v8, s[2:3] offset:24 sc0 sc1
	global_load_dwordx2 v[12:13], v8, s[2:3]
	s_mov_b64 s[0:1], 0
	s_waitcnt vmcnt(2)
	v_lshl_add_u64 v[4:5], v[0:1], 0, 1
	v_lshl_add_u64 v[14:15], v[4:5], 0, s[8:9]
	v_cmp_eq_u64_e32 vcc, 0, v[14:15]
	s_waitcnt vmcnt(1)
	v_mov_b32_e32 v6, v10
	v_cndmask_b32_e32 v5, v15, v5, vcc
	v_cndmask_b32_e32 v4, v14, v4, vcc
	v_and_b32_e32 v1, v5, v1
	v_and_b32_e32 v0, v4, v0
	v_mul_lo_u32 v1, v1, 24
	v_mul_hi_u32 v7, v0, 24
	v_mul_lo_u32 v0, v0, 24
	v_add_u32_e32 v1, v7, v1
	s_waitcnt vmcnt(0)
	v_lshl_add_u64 v[0:1], v[12:13], 0, v[0:1]
	global_store_dwordx2 v[0:1], v[10:11], off
	v_mov_b32_e32 v7, v11
	buffer_wbl2 sc0 sc1
	s_waitcnt vmcnt(0)
	global_atomic_cmpswap_x2 v[6:7], v8, v[4:7], s[2:3] offset:24 sc0 sc1
	s_waitcnt vmcnt(0)
	v_cmp_ne_u64_e32 vcc, v[6:7], v[10:11]
	s_and_b64 exec, exec, vcc
	s_cbranch_execz .LBB12_1012
.LBB12_1011:                            ; =>This Inner Loop Header: Depth=1
	s_sleep 1
	global_store_dwordx2 v[0:1], v[6:7], off
	buffer_wbl2 sc0 sc1
	s_waitcnt vmcnt(0)
	global_atomic_cmpswap_x2 v[10:11], v8, v[4:7], s[2:3] offset:24 sc0 sc1
	s_waitcnt vmcnt(0)
	v_cmp_eq_u64_e32 vcc, v[10:11], v[6:7]
	s_or_b64 s[0:1], vcc, s[0:1]
	v_mov_b64_e32 v[6:7], v[10:11]
	s_andn2_b64 exec, exec, s[0:1]
	s_cbranch_execnz .LBB12_1011
.LBB12_1012:
	s_or_b64 exec, exec, s[10:11]
.LBB12_1013:
	v_readfirstlane_b32 s0, v36
	s_waitcnt vmcnt(0)
	v_mov_b64_e32 v[0:1], 0
	v_cmp_eq_u32_e64 s[0:1], s0, v36
	s_and_saveexec_b64 s[8:9], s[0:1]
	s_cbranch_execz .LBB12_1019
; %bb.1014:
	v_mov_b32_e32 v4, 0
	global_load_dwordx2 v[8:9], v4, s[2:3] offset:24 sc0 sc1
	s_waitcnt vmcnt(0)
	buffer_inv sc0 sc1
	global_load_dwordx2 v[0:1], v4, s[2:3] offset:40
	global_load_dwordx2 v[6:7], v4, s[2:3]
	s_waitcnt vmcnt(1)
	v_and_b32_e32 v0, v0, v8
	v_and_b32_e32 v1, v1, v9
	v_mul_lo_u32 v1, v1, 24
	v_mul_hi_u32 v5, v0, 24
	v_add_u32_e32 v1, v5, v1
	v_mul_lo_u32 v0, v0, 24
	s_waitcnt vmcnt(0)
	v_lshl_add_u64 v[0:1], v[6:7], 0, v[0:1]
	global_load_dwordx2 v[6:7], v[0:1], off sc0 sc1
	s_waitcnt vmcnt(0)
	global_atomic_cmpswap_x2 v[0:1], v4, v[6:9], s[2:3] offset:24 sc0 sc1
	s_waitcnt vmcnt(0)
	buffer_inv sc0 sc1
	v_cmp_ne_u64_e32 vcc, v[0:1], v[8:9]
	s_and_saveexec_b64 s[10:11], vcc
	s_cbranch_execz .LBB12_1018
; %bb.1015:
	s_mov_b64 s[12:13], 0
.LBB12_1016:                            ; =>This Inner Loop Header: Depth=1
	s_sleep 1
	global_load_dwordx2 v[6:7], v4, s[2:3] offset:40
	global_load_dwordx2 v[10:11], v4, s[2:3]
	v_mov_b64_e32 v[8:9], v[0:1]
	s_waitcnt vmcnt(1)
	v_and_b32_e32 v0, v6, v8
	s_waitcnt vmcnt(0)
	v_mad_u64_u32 v[0:1], s[14:15], v0, 24, v[10:11]
	v_and_b32_e32 v5, v7, v9
	v_mov_b32_e32 v6, v1
	v_mad_u64_u32 v[6:7], s[14:15], v5, 24, v[6:7]
	v_mov_b32_e32 v1, v6
	global_load_dwordx2 v[6:7], v[0:1], off sc0 sc1
	s_waitcnt vmcnt(0)
	global_atomic_cmpswap_x2 v[0:1], v4, v[6:9], s[2:3] offset:24 sc0 sc1
	s_waitcnt vmcnt(0)
	buffer_inv sc0 sc1
	v_cmp_eq_u64_e32 vcc, v[0:1], v[8:9]
	s_or_b64 s[12:13], vcc, s[12:13]
	s_andn2_b64 exec, exec, s[12:13]
	s_cbranch_execnz .LBB12_1016
; %bb.1017:
	s_or_b64 exec, exec, s[12:13]
.LBB12_1018:
	s_or_b64 exec, exec, s[10:11]
.LBB12_1019:
	s_or_b64 exec, exec, s[8:9]
	v_mov_b32_e32 v5, 0
	global_load_dwordx2 v[10:11], v5, s[2:3] offset:40
	global_load_dwordx4 v[6:9], v5, s[2:3]
	v_readfirstlane_b32 s8, v0
	v_readfirstlane_b32 s9, v1
	s_mov_b64 s[10:11], exec
	s_waitcnt vmcnt(1)
	v_readfirstlane_b32 s12, v10
	v_readfirstlane_b32 s13, v11
	s_and_b64 s[12:13], s[8:9], s[12:13]
	s_mul_i32 s14, s13, 24
	s_mul_hi_u32 s15, s12, 24
	s_add_i32 s15, s15, s14
	s_mul_i32 s14, s12, 24
	s_waitcnt vmcnt(0)
	v_lshl_add_u64 v[10:11], v[6:7], 0, s[14:15]
	s_and_saveexec_b64 s[14:15], s[0:1]
	s_cbranch_execz .LBB12_1021
; %bb.1020:
	v_mov_b64_e32 v[12:13], s[10:11]
	v_mov_b32_e32 v14, 2
	v_mov_b32_e32 v15, 1
	global_store_dwordx4 v[10:11], v[12:15], off offset:8
.LBB12_1021:
	s_or_b64 exec, exec, s[14:15]
	s_lshl_b64 s[10:11], s[12:13], 12
	v_lshl_add_u64 v[0:1], v[8:9], 0, s[10:11]
	s_movk_i32 s10, 0xff1d
	s_mov_b32 s12, 0
	v_and_or_b32 v2, v2, s10, 34
	v_mov_b32_e32 v4, 0x40a
	v_readfirstlane_b32 s10, v0
	v_readfirstlane_b32 s11, v1
	s_mov_b32 s13, s12
	s_mov_b32 s14, s12
	;; [unrolled: 1-line block ×3, first 2 shown]
	s_nop 1
	global_store_dwordx4 v28, v[2:5], s[10:11]
	v_mov_b64_e32 v[0:1], s[12:13]
	s_nop 0
	v_mov_b64_e32 v[2:3], s[14:15]
	global_store_dwordx4 v28, v[0:3], s[10:11] offset:16
	global_store_dwordx4 v28, v[0:3], s[10:11] offset:32
	;; [unrolled: 1-line block ×3, first 2 shown]
	s_and_saveexec_b64 s[10:11], s[0:1]
	s_cbranch_execz .LBB12_1029
; %bb.1022:
	v_mov_b32_e32 v8, 0
	global_load_dwordx2 v[14:15], v8, s[2:3] offset:32 sc0 sc1
	global_load_dwordx2 v[0:1], v8, s[2:3] offset:40
	v_mov_b32_e32 v12, s8
	v_mov_b32_e32 v13, s9
	s_waitcnt vmcnt(0)
	v_readfirstlane_b32 s12, v0
	v_readfirstlane_b32 s13, v1
	s_and_b64 s[12:13], s[12:13], s[8:9]
	s_mul_i32 s13, s13, 24
	s_mul_hi_u32 s14, s12, 24
	s_mul_i32 s12, s12, 24
	s_add_i32 s13, s14, s13
	v_lshl_add_u64 v[4:5], v[6:7], 0, s[12:13]
	global_store_dwordx2 v[4:5], v[14:15], off
	buffer_wbl2 sc0 sc1
	s_waitcnt vmcnt(0)
	global_atomic_cmpswap_x2 v[2:3], v8, v[12:15], s[2:3] offset:32 sc0 sc1
	s_waitcnt vmcnt(0)
	v_cmp_ne_u64_e32 vcc, v[2:3], v[14:15]
	s_and_saveexec_b64 s[12:13], vcc
	s_cbranch_execz .LBB12_1025
; %bb.1023:
	s_mov_b64 s[14:15], 0
.LBB12_1024:                            ; =>This Inner Loop Header: Depth=1
	s_sleep 1
	global_store_dwordx2 v[4:5], v[2:3], off
	v_mov_b32_e32 v0, s8
	v_mov_b32_e32 v1, s9
	buffer_wbl2 sc0 sc1
	s_waitcnt vmcnt(0)
	global_atomic_cmpswap_x2 v[0:1], v8, v[0:3], s[2:3] offset:32 sc0 sc1
	s_waitcnt vmcnt(0)
	v_cmp_eq_u64_e32 vcc, v[0:1], v[2:3]
	s_or_b64 s[14:15], vcc, s[14:15]
	v_mov_b64_e32 v[2:3], v[0:1]
	s_andn2_b64 exec, exec, s[14:15]
	s_cbranch_execnz .LBB12_1024
.LBB12_1025:
	s_or_b64 exec, exec, s[12:13]
	v_mov_b32_e32 v3, 0
	global_load_dwordx2 v[0:1], v3, s[2:3] offset:16
	s_mov_b64 s[12:13], exec
	v_mbcnt_lo_u32_b32 v2, s12, 0
	v_mbcnt_hi_u32_b32 v2, s13, v2
	v_cmp_eq_u32_e32 vcc, 0, v2
	s_and_saveexec_b64 s[14:15], vcc
	s_cbranch_execz .LBB12_1027
; %bb.1026:
	s_bcnt1_i32_b64 s12, s[12:13]
	v_mov_b32_e32 v2, s12
	buffer_wbl2 sc0 sc1
	s_waitcnt vmcnt(0)
	global_atomic_add_x2 v[0:1], v[2:3], off offset:8 sc1
.LBB12_1027:
	s_or_b64 exec, exec, s[14:15]
	s_waitcnt vmcnt(0)
	global_load_dwordx2 v[2:3], v[0:1], off offset:16
	s_waitcnt vmcnt(0)
	v_cmp_eq_u64_e32 vcc, 0, v[2:3]
	s_cbranch_vccnz .LBB12_1029
; %bb.1028:
	global_load_dword v0, v[0:1], off offset:24
	v_mov_b32_e32 v1, 0
	buffer_wbl2 sc0 sc1
	s_waitcnt vmcnt(0)
	global_store_dwordx2 v[2:3], v[0:1], off sc0 sc1
	v_and_b32_e32 v0, 0xffffff, v0
	s_nop 0
	v_readfirstlane_b32 m0, v0
	s_sendmsg sendmsg(MSG_INTERRUPT)
.LBB12_1029:
	s_or_b64 exec, exec, s[10:11]
	s_branch .LBB12_1033
.LBB12_1030:                            ;   in Loop: Header=BB12_1033 Depth=1
	s_or_b64 exec, exec, s[10:11]
	v_readfirstlane_b32 s10, v0
	s_cmp_eq_u32 s10, 0
	s_cbranch_scc1 .LBB12_1032
; %bb.1031:                             ;   in Loop: Header=BB12_1033 Depth=1
	s_sleep 1
	s_cbranch_execnz .LBB12_1033
	s_branch .LBB12_1035
.LBB12_1032:
	s_branch .LBB12_1035
.LBB12_1033:                            ; =>This Inner Loop Header: Depth=1
	v_mov_b32_e32 v0, 1
	s_and_saveexec_b64 s[10:11], s[0:1]
	s_cbranch_execz .LBB12_1030
; %bb.1034:                             ;   in Loop: Header=BB12_1033 Depth=1
	global_load_dword v0, v[10:11], off offset:20 sc0 sc1
	s_waitcnt vmcnt(0)
	buffer_inv sc0 sc1
	v_and_b32_e32 v0, 1, v0
	s_branch .LBB12_1030
.LBB12_1035:
	s_and_saveexec_b64 s[10:11], s[0:1]
	s_cbranch_execz .LBB12_1038
; %bb.1036:
	v_mov_b32_e32 v6, 0
	global_load_dwordx2 v[4:5], v6, s[2:3] offset:40
	global_load_dwordx2 v[8:9], v6, s[2:3] offset:24 sc0 sc1
	global_load_dwordx2 v[10:11], v6, s[2:3]
	s_mov_b64 s[0:1], 0
	s_waitcnt vmcnt(2)
	v_lshl_add_u64 v[0:1], v[4:5], 0, 1
	v_lshl_add_u64 v[12:13], v[0:1], 0, s[8:9]
	v_cmp_eq_u64_e32 vcc, 0, v[12:13]
	s_waitcnt vmcnt(1)
	v_mov_b32_e32 v2, v8
	v_cndmask_b32_e32 v1, v13, v1, vcc
	v_cndmask_b32_e32 v0, v12, v0, vcc
	v_and_b32_e32 v3, v1, v5
	v_and_b32_e32 v4, v0, v4
	v_mul_lo_u32 v3, v3, 24
	v_mul_hi_u32 v5, v4, 24
	v_mul_lo_u32 v4, v4, 24
	v_add_u32_e32 v5, v5, v3
	s_waitcnt vmcnt(0)
	v_lshl_add_u64 v[4:5], v[10:11], 0, v[4:5]
	global_store_dwordx2 v[4:5], v[8:9], off
	v_mov_b32_e32 v3, v9
	buffer_wbl2 sc0 sc1
	s_waitcnt vmcnt(0)
	global_atomic_cmpswap_x2 v[2:3], v6, v[0:3], s[2:3] offset:24 sc0 sc1
	s_waitcnt vmcnt(0)
	v_cmp_ne_u64_e32 vcc, v[2:3], v[8:9]
	s_and_b64 exec, exec, vcc
	s_cbranch_execz .LBB12_1038
.LBB12_1037:                            ; =>This Inner Loop Header: Depth=1
	s_sleep 1
	global_store_dwordx2 v[4:5], v[2:3], off
	buffer_wbl2 sc0 sc1
	s_waitcnt vmcnt(0)
	global_atomic_cmpswap_x2 v[8:9], v6, v[0:3], s[2:3] offset:24 sc0 sc1
	s_waitcnt vmcnt(0)
	v_cmp_eq_u64_e32 vcc, v[8:9], v[2:3]
	s_or_b64 s[0:1], vcc, s[0:1]
	v_mov_b64_e32 v[2:3], v[8:9]
	s_andn2_b64 exec, exec, s[0:1]
	s_cbranch_execnz .LBB12_1037
.LBB12_1038:
	s_or_b64 exec, exec, s[10:11]
	v_readfirstlane_b32 s0, v36
	v_mov_b64_e32 v[4:5], 0
	s_nop 0
	v_cmp_eq_u32_e64 s[0:1], s0, v36
	s_and_saveexec_b64 s[8:9], s[0:1]
	s_cbranch_execz .LBB12_1044
; %bb.1039:
	v_mov_b32_e32 v0, 0
	global_load_dwordx2 v[6:7], v0, s[2:3] offset:24 sc0 sc1
	s_waitcnt vmcnt(0)
	buffer_inv sc0 sc1
	global_load_dwordx2 v[2:3], v0, s[2:3] offset:40
	global_load_dwordx2 v[4:5], v0, s[2:3]
	s_waitcnt vmcnt(1)
	v_and_b32_e32 v1, v2, v6
	v_and_b32_e32 v2, v3, v7
	v_mul_lo_u32 v2, v2, 24
	v_mul_hi_u32 v3, v1, 24
	v_add_u32_e32 v3, v3, v2
	v_mul_lo_u32 v2, v1, 24
	s_waitcnt vmcnt(0)
	v_lshl_add_u64 v[2:3], v[4:5], 0, v[2:3]
	global_load_dwordx2 v[4:5], v[2:3], off sc0 sc1
	s_waitcnt vmcnt(0)
	global_atomic_cmpswap_x2 v[4:5], v0, v[4:7], s[2:3] offset:24 sc0 sc1
	s_waitcnt vmcnt(0)
	buffer_inv sc0 sc1
	v_cmp_ne_u64_e32 vcc, v[4:5], v[6:7]
	s_and_saveexec_b64 s[10:11], vcc
	s_cbranch_execz .LBB12_1043
; %bb.1040:
	s_mov_b64 s[12:13], 0
.LBB12_1041:                            ; =>This Inner Loop Header: Depth=1
	s_sleep 1
	global_load_dwordx2 v[2:3], v0, s[2:3] offset:40
	global_load_dwordx2 v[8:9], v0, s[2:3]
	v_mov_b64_e32 v[6:7], v[4:5]
	s_waitcnt vmcnt(1)
	v_and_b32_e32 v2, v2, v6
	v_and_b32_e32 v1, v3, v7
	s_waitcnt vmcnt(0)
	v_mad_u64_u32 v[2:3], s[14:15], v2, 24, v[8:9]
	v_mov_b32_e32 v4, v3
	v_mad_u64_u32 v[4:5], s[14:15], v1, 24, v[4:5]
	v_mov_b32_e32 v3, v4
	global_load_dwordx2 v[4:5], v[2:3], off sc0 sc1
	s_waitcnt vmcnt(0)
	global_atomic_cmpswap_x2 v[4:5], v0, v[4:7], s[2:3] offset:24 sc0 sc1
	s_waitcnt vmcnt(0)
	buffer_inv sc0 sc1
	v_cmp_eq_u64_e32 vcc, v[4:5], v[6:7]
	s_or_b64 s[12:13], vcc, s[12:13]
	s_andn2_b64 exec, exec, s[12:13]
	s_cbranch_execnz .LBB12_1041
; %bb.1042:
	s_or_b64 exec, exec, s[12:13]
.LBB12_1043:
	s_or_b64 exec, exec, s[10:11]
.LBB12_1044:
	s_or_b64 exec, exec, s[8:9]
	v_mov_b32_e32 v29, 0
	global_load_dwordx2 v[6:7], v29, s[2:3] offset:40
	global_load_dwordx4 v[0:3], v29, s[2:3]
	v_readfirstlane_b32 s8, v4
	v_readfirstlane_b32 s9, v5
	s_mov_b64 s[10:11], exec
	s_waitcnt vmcnt(1)
	v_readfirstlane_b32 s12, v6
	v_readfirstlane_b32 s13, v7
	s_and_b64 s[12:13], s[8:9], s[12:13]
	s_mul_i32 s14, s13, 24
	s_mul_hi_u32 s15, s12, 24
	s_add_i32 s15, s15, s14
	s_mul_i32 s14, s12, 24
	s_waitcnt vmcnt(0)
	v_lshl_add_u64 v[4:5], v[0:1], 0, s[14:15]
	s_and_saveexec_b64 s[14:15], s[0:1]
	s_cbranch_execz .LBB12_1046
; %bb.1045:
	v_mov_b64_e32 v[6:7], s[10:11]
	v_mov_b32_e32 v8, 2
	v_mov_b32_e32 v9, 1
	global_store_dwordx4 v[4:5], v[6:9], off offset:8
.LBB12_1046:
	s_or_b64 exec, exec, s[14:15]
	s_lshl_b64 s[10:11], s[12:13], 12
	v_lshl_add_u64 v[6:7], v[2:3], 0, s[10:11]
	s_mov_b32 s12, 0
	v_mov_b32_e32 v8, 33
	v_mov_b32_e32 v9, v29
	;; [unrolled: 1-line block ×4, first 2 shown]
	v_readfirstlane_b32 s10, v6
	v_readfirstlane_b32 s11, v7
	s_mov_b32 s13, s12
	s_mov_b32 s14, s12
	;; [unrolled: 1-line block ×3, first 2 shown]
	s_nop 1
	global_store_dwordx4 v28, v[8:11], s[10:11]
	s_nop 1
	v_mov_b64_e32 v[8:9], s[12:13]
	v_mov_b64_e32 v[10:11], s[14:15]
	global_store_dwordx4 v28, v[8:11], s[10:11] offset:16
	global_store_dwordx4 v28, v[8:11], s[10:11] offset:32
	;; [unrolled: 1-line block ×3, first 2 shown]
	s_and_saveexec_b64 s[10:11], s[0:1]
	s_cbranch_execz .LBB12_1054
; %bb.1047:
	v_mov_b32_e32 v10, 0
	global_load_dwordx2 v[14:15], v10, s[2:3] offset:32 sc0 sc1
	global_load_dwordx2 v[2:3], v10, s[2:3] offset:40
	v_mov_b32_e32 v12, s8
	v_mov_b32_e32 v13, s9
	s_waitcnt vmcnt(0)
	v_readfirstlane_b32 s12, v2
	v_readfirstlane_b32 s13, v3
	s_and_b64 s[12:13], s[12:13], s[8:9]
	s_mul_i32 s13, s13, 24
	s_mul_hi_u32 s14, s12, 24
	s_mul_i32 s12, s12, 24
	s_add_i32 s13, s14, s13
	v_lshl_add_u64 v[8:9], v[0:1], 0, s[12:13]
	global_store_dwordx2 v[8:9], v[14:15], off
	buffer_wbl2 sc0 sc1
	s_waitcnt vmcnt(0)
	global_atomic_cmpswap_x2 v[2:3], v10, v[12:15], s[2:3] offset:32 sc0 sc1
	s_waitcnt vmcnt(0)
	v_cmp_ne_u64_e32 vcc, v[2:3], v[14:15]
	s_and_saveexec_b64 s[12:13], vcc
	s_cbranch_execz .LBB12_1050
; %bb.1048:
	s_mov_b64 s[14:15], 0
.LBB12_1049:                            ; =>This Inner Loop Header: Depth=1
	s_sleep 1
	global_store_dwordx2 v[8:9], v[2:3], off
	v_mov_b32_e32 v0, s8
	v_mov_b32_e32 v1, s9
	buffer_wbl2 sc0 sc1
	s_waitcnt vmcnt(0)
	global_atomic_cmpswap_x2 v[0:1], v10, v[0:3], s[2:3] offset:32 sc0 sc1
	s_waitcnt vmcnt(0)
	v_cmp_eq_u64_e32 vcc, v[0:1], v[2:3]
	s_or_b64 s[14:15], vcc, s[14:15]
	v_mov_b64_e32 v[2:3], v[0:1]
	s_andn2_b64 exec, exec, s[14:15]
	s_cbranch_execnz .LBB12_1049
.LBB12_1050:
	s_or_b64 exec, exec, s[12:13]
	v_mov_b32_e32 v3, 0
	global_load_dwordx2 v[0:1], v3, s[2:3] offset:16
	s_mov_b64 s[12:13], exec
	v_mbcnt_lo_u32_b32 v2, s12, 0
	v_mbcnt_hi_u32_b32 v2, s13, v2
	v_cmp_eq_u32_e32 vcc, 0, v2
	s_and_saveexec_b64 s[14:15], vcc
	s_cbranch_execz .LBB12_1052
; %bb.1051:
	s_bcnt1_i32_b64 s12, s[12:13]
	v_mov_b32_e32 v2, s12
	buffer_wbl2 sc0 sc1
	s_waitcnt vmcnt(0)
	global_atomic_add_x2 v[0:1], v[2:3], off offset:8 sc1
.LBB12_1052:
	s_or_b64 exec, exec, s[14:15]
	s_waitcnt vmcnt(0)
	global_load_dwordx2 v[2:3], v[0:1], off offset:16
	s_waitcnt vmcnt(0)
	v_cmp_eq_u64_e32 vcc, 0, v[2:3]
	s_cbranch_vccnz .LBB12_1054
; %bb.1053:
	global_load_dword v0, v[0:1], off offset:24
	v_mov_b32_e32 v1, 0
	buffer_wbl2 sc0 sc1
	s_waitcnt vmcnt(0)
	global_store_dwordx2 v[2:3], v[0:1], off sc0 sc1
	v_and_b32_e32 v0, 0xffffff, v0
	s_nop 0
	v_readfirstlane_b32 m0, v0
	s_sendmsg sendmsg(MSG_INTERRUPT)
.LBB12_1054:
	s_or_b64 exec, exec, s[10:11]
	v_lshl_add_u64 v[0:1], v[6:7], 0, v[28:29]
	s_branch .LBB12_1058
.LBB12_1055:                            ;   in Loop: Header=BB12_1058 Depth=1
	s_or_b64 exec, exec, s[10:11]
	v_readfirstlane_b32 s10, v2
	s_cmp_eq_u32 s10, 0
	s_cbranch_scc1 .LBB12_1057
; %bb.1056:                             ;   in Loop: Header=BB12_1058 Depth=1
	s_sleep 1
	s_cbranch_execnz .LBB12_1058
	s_branch .LBB12_1060
.LBB12_1057:
	s_branch .LBB12_1060
.LBB12_1058:                            ; =>This Inner Loop Header: Depth=1
	v_mov_b32_e32 v2, 1
	s_and_saveexec_b64 s[10:11], s[0:1]
	s_cbranch_execz .LBB12_1055
; %bb.1059:                             ;   in Loop: Header=BB12_1058 Depth=1
	global_load_dword v2, v[4:5], off offset:20 sc0 sc1
	s_waitcnt vmcnt(0)
	buffer_inv sc0 sc1
	v_and_b32_e32 v2, 1, v2
	s_branch .LBB12_1055
.LBB12_1060:
	global_load_dwordx2 v[0:1], v[0:1], off
	s_and_saveexec_b64 s[10:11], s[0:1]
	s_cbranch_execz .LBB12_1063
; %bb.1061:
	v_mov_b32_e32 v8, 0
	global_load_dwordx2 v[6:7], v8, s[2:3] offset:40
	global_load_dwordx2 v[10:11], v8, s[2:3] offset:24 sc0 sc1
	global_load_dwordx2 v[12:13], v8, s[2:3]
	s_mov_b64 s[0:1], 0
	s_waitcnt vmcnt(2)
	v_lshl_add_u64 v[2:3], v[6:7], 0, 1
	v_lshl_add_u64 v[14:15], v[2:3], 0, s[8:9]
	v_cmp_eq_u64_e32 vcc, 0, v[14:15]
	s_waitcnt vmcnt(1)
	v_mov_b32_e32 v4, v10
	v_cndmask_b32_e32 v3, v15, v3, vcc
	v_cndmask_b32_e32 v2, v14, v2, vcc
	v_and_b32_e32 v5, v3, v7
	v_and_b32_e32 v6, v2, v6
	v_mul_lo_u32 v5, v5, 24
	v_mul_hi_u32 v7, v6, 24
	v_mul_lo_u32 v6, v6, 24
	v_add_u32_e32 v7, v7, v5
	s_waitcnt vmcnt(0)
	v_lshl_add_u64 v[6:7], v[12:13], 0, v[6:7]
	global_store_dwordx2 v[6:7], v[10:11], off
	v_mov_b32_e32 v5, v11
	buffer_wbl2 sc0 sc1
	s_waitcnt vmcnt(0)
	global_atomic_cmpswap_x2 v[4:5], v8, v[2:5], s[2:3] offset:24 sc0 sc1
	s_waitcnt vmcnt(0)
	v_cmp_ne_u64_e32 vcc, v[4:5], v[10:11]
	s_and_b64 exec, exec, vcc
	s_cbranch_execz .LBB12_1063
.LBB12_1062:                            ; =>This Inner Loop Header: Depth=1
	s_sleep 1
	global_store_dwordx2 v[6:7], v[4:5], off
	buffer_wbl2 sc0 sc1
	s_waitcnt vmcnt(0)
	global_atomic_cmpswap_x2 v[10:11], v8, v[2:5], s[2:3] offset:24 sc0 sc1
	s_waitcnt vmcnt(0)
	v_cmp_eq_u64_e32 vcc, v[10:11], v[4:5]
	s_or_b64 s[0:1], vcc, s[0:1]
	v_mov_b64_e32 v[4:5], v[10:11]
	s_andn2_b64 exec, exec, s[0:1]
	s_cbranch_execnz .LBB12_1062
.LBB12_1063:
	s_or_b64 exec, exec, s[10:11]
	s_and_b64 vcc, exec, s[6:7]
	s_cbranch_vccz .LBB12_1148
; %bb.1064:
	s_waitcnt vmcnt(0)
	v_and_b32_e32 v30, 2, v0
	v_mov_b32_e32 v33, 0
	v_and_b32_e32 v2, -3, v0
	v_mov_b32_e32 v3, v1
	s_mov_b64 s[10:11], 3
	v_mov_b32_e32 v6, 2
	v_mov_b32_e32 v7, 1
	s_getpc_b64 s[8:9]
	s_add_u32 s8, s8, .str.6@rel32@lo+4
	s_addc_u32 s9, s9, .str.6@rel32@hi+12
	s_branch .LBB12_1066
.LBB12_1065:                            ;   in Loop: Header=BB12_1066 Depth=1
	s_or_b64 exec, exec, s[16:17]
	s_sub_u32 s10, s10, s12
	s_subb_u32 s11, s11, s13
	s_add_u32 s8, s8, s12
	s_addc_u32 s9, s9, s13
	s_cmp_lg_u64 s[10:11], 0
	s_cbranch_scc0 .LBB12_1147
.LBB12_1066:                            ; =>This Loop Header: Depth=1
                                        ;     Child Loop BB12_1069 Depth 2
                                        ;     Child Loop BB12_1076 Depth 2
	;; [unrolled: 1-line block ×11, first 2 shown]
	v_cmp_lt_u64_e64 s[0:1], s[10:11], 56
	s_and_b64 s[0:1], s[0:1], exec
	v_cmp_gt_u64_e64 s[0:1], s[10:11], 7
	s_cselect_b32 s13, s11, 0
	s_cselect_b32 s12, s10, 56
	s_and_b64 vcc, exec, s[0:1]
	s_cbranch_vccnz .LBB12_1071
; %bb.1067:                             ;   in Loop: Header=BB12_1066 Depth=1
	s_mov_b64 s[0:1], 0
	s_cmp_eq_u64 s[10:11], 0
	v_mov_b64_e32 v[10:11], 0
	s_cbranch_scc1 .LBB12_1070
; %bb.1068:                             ;   in Loop: Header=BB12_1066 Depth=1
	s_lshl_b64 s[14:15], s[12:13], 3
	s_mov_b64 s[16:17], 0
	v_mov_b64_e32 v[10:11], 0
	s_mov_b64 s[18:19], s[8:9]
.LBB12_1069:                            ;   Parent Loop BB12_1066 Depth=1
                                        ; =>  This Inner Loop Header: Depth=2
	global_load_ubyte v4, v33, s[18:19]
	s_waitcnt vmcnt(0)
	v_and_b32_e32 v32, 0xffff, v4
	v_lshlrev_b64 v[4:5], s16, v[32:33]
	s_add_u32 s16, s16, 8
	s_addc_u32 s17, s17, 0
	s_add_u32 s18, s18, 1
	s_addc_u32 s19, s19, 0
	v_or_b32_e32 v10, v4, v10
	s_cmp_lg_u32 s14, s16
	v_or_b32_e32 v11, v5, v11
	s_cbranch_scc1 .LBB12_1069
.LBB12_1070:                            ;   in Loop: Header=BB12_1066 Depth=1
	s_mov_b32 s18, 0
	s_andn2_b64 vcc, exec, s[0:1]
	s_mov_b64 s[0:1], s[8:9]
	s_cbranch_vccz .LBB12_1072
	s_branch .LBB12_1073
.LBB12_1071:                            ;   in Loop: Header=BB12_1066 Depth=1
                                        ; implicit-def: $vgpr10_vgpr11
                                        ; implicit-def: $sgpr18
	s_mov_b64 s[0:1], s[8:9]
.LBB12_1072:                            ;   in Loop: Header=BB12_1066 Depth=1
	global_load_dwordx2 v[10:11], v33, s[8:9]
	s_add_i32 s18, s12, -8
	s_add_u32 s0, s8, 8
	s_addc_u32 s1, s9, 0
.LBB12_1073:                            ;   in Loop: Header=BB12_1066 Depth=1
	s_cmp_gt_u32 s18, 7
	s_cbranch_scc1 .LBB12_1077
; %bb.1074:                             ;   in Loop: Header=BB12_1066 Depth=1
	s_cmp_eq_u32 s18, 0
	s_cbranch_scc1 .LBB12_1078
; %bb.1075:                             ;   in Loop: Header=BB12_1066 Depth=1
	s_mov_b64 s[14:15], 0
	v_mov_b64_e32 v[12:13], 0
	s_mov_b64 s[16:17], 0
.LBB12_1076:                            ;   Parent Loop BB12_1066 Depth=1
                                        ; =>  This Inner Loop Header: Depth=2
	s_add_u32 s20, s0, s16
	s_addc_u32 s21, s1, s17
	global_load_ubyte v4, v33, s[20:21]
	s_add_u32 s16, s16, 1
	s_addc_u32 s17, s17, 0
	s_waitcnt vmcnt(0)
	v_and_b32_e32 v32, 0xffff, v4
	v_lshlrev_b64 v[4:5], s14, v[32:33]
	s_add_u32 s14, s14, 8
	s_addc_u32 s15, s15, 0
	v_or_b32_e32 v12, v4, v12
	s_cmp_lg_u32 s18, s16
	v_or_b32_e32 v13, v5, v13
	s_cbranch_scc1 .LBB12_1076
	s_branch .LBB12_1079
.LBB12_1077:                            ;   in Loop: Header=BB12_1066 Depth=1
                                        ; implicit-def: $vgpr12_vgpr13
                                        ; implicit-def: $sgpr19
	s_branch .LBB12_1080
.LBB12_1078:                            ;   in Loop: Header=BB12_1066 Depth=1
	v_mov_b64_e32 v[12:13], 0
.LBB12_1079:                            ;   in Loop: Header=BB12_1066 Depth=1
	s_mov_b32 s19, 0
	s_cbranch_execnz .LBB12_1081
.LBB12_1080:                            ;   in Loop: Header=BB12_1066 Depth=1
	global_load_dwordx2 v[12:13], v33, s[0:1]
	s_add_i32 s19, s18, -8
	s_add_u32 s0, s0, 8
	s_addc_u32 s1, s1, 0
.LBB12_1081:                            ;   in Loop: Header=BB12_1066 Depth=1
	s_cmp_gt_u32 s19, 7
	s_cbranch_scc1 .LBB12_1085
; %bb.1082:                             ;   in Loop: Header=BB12_1066 Depth=1
	s_cmp_eq_u32 s19, 0
	s_cbranch_scc1 .LBB12_1086
; %bb.1083:                             ;   in Loop: Header=BB12_1066 Depth=1
	s_mov_b64 s[14:15], 0
	v_mov_b64_e32 v[14:15], 0
	s_mov_b64 s[16:17], 0
.LBB12_1084:                            ;   Parent Loop BB12_1066 Depth=1
                                        ; =>  This Inner Loop Header: Depth=2
	s_add_u32 s20, s0, s16
	s_addc_u32 s21, s1, s17
	global_load_ubyte v4, v33, s[20:21]
	s_add_u32 s16, s16, 1
	s_addc_u32 s17, s17, 0
	s_waitcnt vmcnt(0)
	v_and_b32_e32 v32, 0xffff, v4
	v_lshlrev_b64 v[4:5], s14, v[32:33]
	s_add_u32 s14, s14, 8
	s_addc_u32 s15, s15, 0
	v_or_b32_e32 v14, v4, v14
	s_cmp_lg_u32 s19, s16
	v_or_b32_e32 v15, v5, v15
	s_cbranch_scc1 .LBB12_1084
	s_branch .LBB12_1087
.LBB12_1085:                            ;   in Loop: Header=BB12_1066 Depth=1
                                        ; implicit-def: $sgpr18
	s_branch .LBB12_1088
.LBB12_1086:                            ;   in Loop: Header=BB12_1066 Depth=1
	v_mov_b64_e32 v[14:15], 0
.LBB12_1087:                            ;   in Loop: Header=BB12_1066 Depth=1
	s_mov_b32 s18, 0
	s_cbranch_execnz .LBB12_1089
.LBB12_1088:                            ;   in Loop: Header=BB12_1066 Depth=1
	global_load_dwordx2 v[14:15], v33, s[0:1]
	s_add_i32 s18, s19, -8
	s_add_u32 s0, s0, 8
	s_addc_u32 s1, s1, 0
.LBB12_1089:                            ;   in Loop: Header=BB12_1066 Depth=1
	s_cmp_gt_u32 s18, 7
	s_cbranch_scc1 .LBB12_1093
; %bb.1090:                             ;   in Loop: Header=BB12_1066 Depth=1
	s_cmp_eq_u32 s18, 0
	s_cbranch_scc1 .LBB12_1094
; %bb.1091:                             ;   in Loop: Header=BB12_1066 Depth=1
	s_mov_b64 s[14:15], 0
	v_mov_b64_e32 v[16:17], 0
	s_mov_b64 s[16:17], 0
.LBB12_1092:                            ;   Parent Loop BB12_1066 Depth=1
                                        ; =>  This Inner Loop Header: Depth=2
	s_add_u32 s20, s0, s16
	s_addc_u32 s21, s1, s17
	global_load_ubyte v4, v33, s[20:21]
	s_add_u32 s16, s16, 1
	s_addc_u32 s17, s17, 0
	s_waitcnt vmcnt(0)
	v_and_b32_e32 v32, 0xffff, v4
	v_lshlrev_b64 v[4:5], s14, v[32:33]
	s_add_u32 s14, s14, 8
	s_addc_u32 s15, s15, 0
	v_or_b32_e32 v16, v4, v16
	s_cmp_lg_u32 s18, s16
	v_or_b32_e32 v17, v5, v17
	s_cbranch_scc1 .LBB12_1092
	s_branch .LBB12_1095
.LBB12_1093:                            ;   in Loop: Header=BB12_1066 Depth=1
                                        ; implicit-def: $vgpr16_vgpr17
                                        ; implicit-def: $sgpr19
	s_branch .LBB12_1096
.LBB12_1094:                            ;   in Loop: Header=BB12_1066 Depth=1
	v_mov_b64_e32 v[16:17], 0
.LBB12_1095:                            ;   in Loop: Header=BB12_1066 Depth=1
	s_mov_b32 s19, 0
	s_cbranch_execnz .LBB12_1097
.LBB12_1096:                            ;   in Loop: Header=BB12_1066 Depth=1
	global_load_dwordx2 v[16:17], v33, s[0:1]
	s_add_i32 s19, s18, -8
	s_add_u32 s0, s0, 8
	s_addc_u32 s1, s1, 0
.LBB12_1097:                            ;   in Loop: Header=BB12_1066 Depth=1
	s_cmp_gt_u32 s19, 7
	s_cbranch_scc1 .LBB12_1101
; %bb.1098:                             ;   in Loop: Header=BB12_1066 Depth=1
	s_cmp_eq_u32 s19, 0
	s_cbranch_scc1 .LBB12_1102
; %bb.1099:                             ;   in Loop: Header=BB12_1066 Depth=1
	s_mov_b64 s[14:15], 0
	v_mov_b64_e32 v[18:19], 0
	s_mov_b64 s[16:17], 0
.LBB12_1100:                            ;   Parent Loop BB12_1066 Depth=1
                                        ; =>  This Inner Loop Header: Depth=2
	s_add_u32 s20, s0, s16
	s_addc_u32 s21, s1, s17
	global_load_ubyte v4, v33, s[20:21]
	s_add_u32 s16, s16, 1
	s_addc_u32 s17, s17, 0
	s_waitcnt vmcnt(0)
	v_and_b32_e32 v32, 0xffff, v4
	v_lshlrev_b64 v[4:5], s14, v[32:33]
	s_add_u32 s14, s14, 8
	s_addc_u32 s15, s15, 0
	v_or_b32_e32 v18, v4, v18
	s_cmp_lg_u32 s19, s16
	v_or_b32_e32 v19, v5, v19
	s_cbranch_scc1 .LBB12_1100
	s_branch .LBB12_1103
.LBB12_1101:                            ;   in Loop: Header=BB12_1066 Depth=1
                                        ; implicit-def: $sgpr18
	s_branch .LBB12_1104
.LBB12_1102:                            ;   in Loop: Header=BB12_1066 Depth=1
	v_mov_b64_e32 v[18:19], 0
.LBB12_1103:                            ;   in Loop: Header=BB12_1066 Depth=1
	s_mov_b32 s18, 0
	s_cbranch_execnz .LBB12_1105
.LBB12_1104:                            ;   in Loop: Header=BB12_1066 Depth=1
	global_load_dwordx2 v[18:19], v33, s[0:1]
	s_add_i32 s18, s19, -8
	s_add_u32 s0, s0, 8
	s_addc_u32 s1, s1, 0
.LBB12_1105:                            ;   in Loop: Header=BB12_1066 Depth=1
	s_cmp_gt_u32 s18, 7
	s_cbranch_scc1 .LBB12_1109
; %bb.1106:                             ;   in Loop: Header=BB12_1066 Depth=1
	s_cmp_eq_u32 s18, 0
	s_cbranch_scc1 .LBB12_1110
; %bb.1107:                             ;   in Loop: Header=BB12_1066 Depth=1
	s_mov_b64 s[14:15], 0
	v_mov_b64_e32 v[20:21], 0
	s_mov_b64 s[16:17], 0
.LBB12_1108:                            ;   Parent Loop BB12_1066 Depth=1
                                        ; =>  This Inner Loop Header: Depth=2
	s_add_u32 s20, s0, s16
	s_addc_u32 s21, s1, s17
	global_load_ubyte v4, v33, s[20:21]
	s_add_u32 s16, s16, 1
	s_addc_u32 s17, s17, 0
	s_waitcnt vmcnt(0)
	v_and_b32_e32 v32, 0xffff, v4
	v_lshlrev_b64 v[4:5], s14, v[32:33]
	s_add_u32 s14, s14, 8
	s_addc_u32 s15, s15, 0
	v_or_b32_e32 v20, v4, v20
	s_cmp_lg_u32 s18, s16
	v_or_b32_e32 v21, v5, v21
	s_cbranch_scc1 .LBB12_1108
	s_branch .LBB12_1111
.LBB12_1109:                            ;   in Loop: Header=BB12_1066 Depth=1
                                        ; implicit-def: $vgpr20_vgpr21
                                        ; implicit-def: $sgpr19
	s_branch .LBB12_1112
.LBB12_1110:                            ;   in Loop: Header=BB12_1066 Depth=1
	v_mov_b64_e32 v[20:21], 0
.LBB12_1111:                            ;   in Loop: Header=BB12_1066 Depth=1
	s_mov_b32 s19, 0
	s_cbranch_execnz .LBB12_1113
.LBB12_1112:                            ;   in Loop: Header=BB12_1066 Depth=1
	global_load_dwordx2 v[20:21], v33, s[0:1]
	s_add_i32 s19, s18, -8
	s_add_u32 s0, s0, 8
	s_addc_u32 s1, s1, 0
.LBB12_1113:                            ;   in Loop: Header=BB12_1066 Depth=1
	s_cmp_gt_u32 s19, 7
	s_cbranch_scc1 .LBB12_1117
; %bb.1114:                             ;   in Loop: Header=BB12_1066 Depth=1
	s_cmp_eq_u32 s19, 0
	s_cbranch_scc1 .LBB12_1118
; %bb.1115:                             ;   in Loop: Header=BB12_1066 Depth=1
	s_mov_b64 s[14:15], 0
	v_mov_b64_e32 v[22:23], 0
	s_mov_b64 s[16:17], s[0:1]
.LBB12_1116:                            ;   Parent Loop BB12_1066 Depth=1
                                        ; =>  This Inner Loop Header: Depth=2
	global_load_ubyte v4, v33, s[16:17]
	s_add_i32 s19, s19, -1
	s_waitcnt vmcnt(0)
	v_and_b32_e32 v32, 0xffff, v4
	v_lshlrev_b64 v[4:5], s14, v[32:33]
	s_add_u32 s14, s14, 8
	s_addc_u32 s15, s15, 0
	s_add_u32 s16, s16, 1
	s_addc_u32 s17, s17, 0
	v_or_b32_e32 v22, v4, v22
	s_cmp_lg_u32 s19, 0
	v_or_b32_e32 v23, v5, v23
	s_cbranch_scc1 .LBB12_1116
	s_branch .LBB12_1119
.LBB12_1117:                            ;   in Loop: Header=BB12_1066 Depth=1
	s_branch .LBB12_1120
.LBB12_1118:                            ;   in Loop: Header=BB12_1066 Depth=1
	v_mov_b64_e32 v[22:23], 0
.LBB12_1119:                            ;   in Loop: Header=BB12_1066 Depth=1
	s_cbranch_execnz .LBB12_1121
.LBB12_1120:                            ;   in Loop: Header=BB12_1066 Depth=1
	global_load_dwordx2 v[22:23], v33, s[0:1]
.LBB12_1121:                            ;   in Loop: Header=BB12_1066 Depth=1
	v_readfirstlane_b32 s0, v36
	s_waitcnt vmcnt(0)
	v_mov_b64_e32 v[4:5], 0
	v_cmp_eq_u32_e64 s[0:1], s0, v36
	s_and_saveexec_b64 s[14:15], s[0:1]
	s_cbranch_execz .LBB12_1127
; %bb.1122:                             ;   in Loop: Header=BB12_1066 Depth=1
	global_load_dwordx2 v[26:27], v33, s[2:3] offset:24 sc0 sc1
	s_waitcnt vmcnt(0)
	buffer_inv sc0 sc1
	global_load_dwordx2 v[4:5], v33, s[2:3] offset:40
	global_load_dwordx2 v[8:9], v33, s[2:3]
	s_waitcnt vmcnt(1)
	v_and_b32_e32 v4, v4, v26
	v_and_b32_e32 v5, v5, v27
	v_mul_lo_u32 v5, v5, 24
	v_mul_hi_u32 v24, v4, 24
	v_add_u32_e32 v5, v24, v5
	v_mul_lo_u32 v4, v4, 24
	s_waitcnt vmcnt(0)
	v_lshl_add_u64 v[4:5], v[8:9], 0, v[4:5]
	global_load_dwordx2 v[24:25], v[4:5], off sc0 sc1
	s_waitcnt vmcnt(0)
	global_atomic_cmpswap_x2 v[4:5], v33, v[24:27], s[2:3] offset:24 sc0 sc1
	s_waitcnt vmcnt(0)
	buffer_inv sc0 sc1
	v_cmp_ne_u64_e32 vcc, v[4:5], v[26:27]
	s_and_saveexec_b64 s[16:17], vcc
	s_cbranch_execz .LBB12_1126
; %bb.1123:                             ;   in Loop: Header=BB12_1066 Depth=1
	s_mov_b64 s[18:19], 0
.LBB12_1124:                            ;   Parent Loop BB12_1066 Depth=1
                                        ; =>  This Inner Loop Header: Depth=2
	s_sleep 1
	global_load_dwordx2 v[8:9], v33, s[2:3] offset:40
	global_load_dwordx2 v[24:25], v33, s[2:3]
	v_mov_b64_e32 v[26:27], v[4:5]
	s_waitcnt vmcnt(1)
	v_and_b32_e32 v4, v8, v26
	s_waitcnt vmcnt(0)
	v_mad_u64_u32 v[4:5], s[20:21], v4, 24, v[24:25]
	v_and_b32_e32 v9, v9, v27
	v_mov_b32_e32 v8, v5
	v_mad_u64_u32 v[8:9], s[20:21], v9, 24, v[8:9]
	v_mov_b32_e32 v5, v8
	global_load_dwordx2 v[24:25], v[4:5], off sc0 sc1
	s_waitcnt vmcnt(0)
	global_atomic_cmpswap_x2 v[4:5], v33, v[24:27], s[2:3] offset:24 sc0 sc1
	s_waitcnt vmcnt(0)
	buffer_inv sc0 sc1
	v_cmp_eq_u64_e32 vcc, v[4:5], v[26:27]
	s_or_b64 s[18:19], vcc, s[18:19]
	s_andn2_b64 exec, exec, s[18:19]
	s_cbranch_execnz .LBB12_1124
; %bb.1125:                             ;   in Loop: Header=BB12_1066 Depth=1
	s_or_b64 exec, exec, s[18:19]
.LBB12_1126:                            ;   in Loop: Header=BB12_1066 Depth=1
	s_or_b64 exec, exec, s[16:17]
.LBB12_1127:                            ;   in Loop: Header=BB12_1066 Depth=1
	s_or_b64 exec, exec, s[14:15]
	global_load_dwordx2 v[8:9], v33, s[2:3] offset:40
	global_load_dwordx4 v[24:27], v33, s[2:3]
	v_readfirstlane_b32 s14, v4
	v_readfirstlane_b32 s15, v5
	s_mov_b64 s[16:17], exec
	s_waitcnt vmcnt(1)
	v_readfirstlane_b32 s18, v8
	v_readfirstlane_b32 s19, v9
	s_and_b64 s[18:19], s[14:15], s[18:19]
	s_mul_i32 s20, s19, 24
	s_mul_hi_u32 s21, s18, 24
	s_add_i32 s21, s21, s20
	s_mul_i32 s20, s18, 24
	s_waitcnt vmcnt(0)
	v_lshl_add_u64 v[34:35], v[24:25], 0, s[20:21]
	s_and_saveexec_b64 s[20:21], s[0:1]
	s_cbranch_execz .LBB12_1129
; %bb.1128:                             ;   in Loop: Header=BB12_1066 Depth=1
	v_mov_b64_e32 v[4:5], s[16:17]
	global_store_dwordx4 v[34:35], v[4:7], off offset:8
.LBB12_1129:                            ;   in Loop: Header=BB12_1066 Depth=1
	s_or_b64 exec, exec, s[20:21]
	s_lshl_b64 s[16:17], s[18:19], 12
	v_lshl_add_u64 v[26:27], v[26:27], 0, s[16:17]
	v_or_b32_e32 v5, v2, v30
	v_cmp_gt_u64_e64 vcc, s[10:11], 56
	s_lshl_b32 s16, s12, 2
	s_add_i32 s16, s16, 28
	v_cndmask_b32_e32 v2, v5, v2, vcc
	v_or_b32_e32 v4, 0, v3
	s_and_b32 s16, s16, 0x1e0
	v_and_b32_e32 v2, 0xffffff1f, v2
	v_cndmask_b32_e32 v9, v4, v3, vcc
	v_or_b32_e32 v8, s16, v2
	v_readfirstlane_b32 s16, v26
	v_readfirstlane_b32 s17, v27
	s_nop 4
	global_store_dwordx4 v28, v[8:11], s[16:17]
	global_store_dwordx4 v28, v[12:15], s[16:17] offset:16
	global_store_dwordx4 v28, v[16:19], s[16:17] offset:32
	;; [unrolled: 1-line block ×3, first 2 shown]
	s_and_saveexec_b64 s[16:17], s[0:1]
	s_cbranch_execz .LBB12_1137
; %bb.1130:                             ;   in Loop: Header=BB12_1066 Depth=1
	global_load_dwordx2 v[12:13], v33, s[2:3] offset:32 sc0 sc1
	global_load_dwordx2 v[2:3], v33, s[2:3] offset:40
	v_mov_b32_e32 v10, s14
	v_mov_b32_e32 v11, s15
	s_waitcnt vmcnt(0)
	v_readfirstlane_b32 s18, v2
	v_readfirstlane_b32 s19, v3
	s_and_b64 s[18:19], s[18:19], s[14:15]
	s_mul_i32 s19, s19, 24
	s_mul_hi_u32 s20, s18, 24
	s_mul_i32 s18, s18, 24
	s_add_i32 s19, s20, s19
	v_lshl_add_u64 v[8:9], v[24:25], 0, s[18:19]
	global_store_dwordx2 v[8:9], v[12:13], off
	buffer_wbl2 sc0 sc1
	s_waitcnt vmcnt(0)
	global_atomic_cmpswap_x2 v[4:5], v33, v[10:13], s[2:3] offset:32 sc0 sc1
	s_waitcnt vmcnt(0)
	v_cmp_ne_u64_e32 vcc, v[4:5], v[12:13]
	s_and_saveexec_b64 s[18:19], vcc
	s_cbranch_execz .LBB12_1133
; %bb.1131:                             ;   in Loop: Header=BB12_1066 Depth=1
	s_mov_b64 s[20:21], 0
.LBB12_1132:                            ;   Parent Loop BB12_1066 Depth=1
                                        ; =>  This Inner Loop Header: Depth=2
	s_sleep 1
	global_store_dwordx2 v[8:9], v[4:5], off
	v_mov_b32_e32 v2, s14
	v_mov_b32_e32 v3, s15
	buffer_wbl2 sc0 sc1
	s_waitcnt vmcnt(0)
	global_atomic_cmpswap_x2 v[2:3], v33, v[2:5], s[2:3] offset:32 sc0 sc1
	s_waitcnt vmcnt(0)
	v_cmp_eq_u64_e32 vcc, v[2:3], v[4:5]
	s_or_b64 s[20:21], vcc, s[20:21]
	v_mov_b64_e32 v[4:5], v[2:3]
	s_andn2_b64 exec, exec, s[20:21]
	s_cbranch_execnz .LBB12_1132
.LBB12_1133:                            ;   in Loop: Header=BB12_1066 Depth=1
	s_or_b64 exec, exec, s[18:19]
	global_load_dwordx2 v[2:3], v33, s[2:3] offset:16
	s_mov_b64 s[20:21], exec
	v_mbcnt_lo_u32_b32 v4, s20, 0
	v_mbcnt_hi_u32_b32 v4, s21, v4
	v_cmp_eq_u32_e32 vcc, 0, v4
	s_and_saveexec_b64 s[18:19], vcc
	s_cbranch_execz .LBB12_1135
; %bb.1134:                             ;   in Loop: Header=BB12_1066 Depth=1
	s_bcnt1_i32_b64 s20, s[20:21]
	v_mov_b32_e32 v32, s20
	buffer_wbl2 sc0 sc1
	s_waitcnt vmcnt(0)
	global_atomic_add_x2 v[2:3], v[32:33], off offset:8 sc1
.LBB12_1135:                            ;   in Loop: Header=BB12_1066 Depth=1
	s_or_b64 exec, exec, s[18:19]
	s_waitcnt vmcnt(0)
	global_load_dwordx2 v[4:5], v[2:3], off offset:16
	s_waitcnt vmcnt(0)
	v_cmp_eq_u64_e32 vcc, 0, v[4:5]
	s_cbranch_vccnz .LBB12_1137
; %bb.1136:                             ;   in Loop: Header=BB12_1066 Depth=1
	global_load_dword v32, v[2:3], off offset:24
	s_waitcnt vmcnt(0)
	v_and_b32_e32 v2, 0xffffff, v32
	s_nop 0
	v_readfirstlane_b32 m0, v2
	buffer_wbl2 sc0 sc1
	global_store_dwordx2 v[4:5], v[32:33], off sc0 sc1
	s_sendmsg sendmsg(MSG_INTERRUPT)
.LBB12_1137:                            ;   in Loop: Header=BB12_1066 Depth=1
	s_or_b64 exec, exec, s[16:17]
	v_mov_b32_e32 v29, v33
	v_lshl_add_u64 v[2:3], v[26:27], 0, v[28:29]
	s_branch .LBB12_1141
.LBB12_1138:                            ;   in Loop: Header=BB12_1141 Depth=2
	s_or_b64 exec, exec, s[16:17]
	v_readfirstlane_b32 s16, v4
	s_cmp_eq_u32 s16, 0
	s_cbranch_scc1 .LBB12_1140
; %bb.1139:                             ;   in Loop: Header=BB12_1141 Depth=2
	s_sleep 1
	s_cbranch_execnz .LBB12_1141
	s_branch .LBB12_1143
.LBB12_1140:                            ;   in Loop: Header=BB12_1066 Depth=1
	s_branch .LBB12_1143
.LBB12_1141:                            ;   Parent Loop BB12_1066 Depth=1
                                        ; =>  This Inner Loop Header: Depth=2
	v_mov_b32_e32 v4, 1
	s_and_saveexec_b64 s[16:17], s[0:1]
	s_cbranch_execz .LBB12_1138
; %bb.1142:                             ;   in Loop: Header=BB12_1141 Depth=2
	global_load_dword v4, v[34:35], off offset:20 sc0 sc1
	s_waitcnt vmcnt(0)
	buffer_inv sc0 sc1
	v_and_b32_e32 v4, 1, v4
	s_branch .LBB12_1138
.LBB12_1143:                            ;   in Loop: Header=BB12_1066 Depth=1
	global_load_dwordx4 v[2:5], v[2:3], off
	s_and_saveexec_b64 s[16:17], s[0:1]
	s_cbranch_execz .LBB12_1065
; %bb.1144:                             ;   in Loop: Header=BB12_1066 Depth=1
	global_load_dwordx2 v[4:5], v33, s[2:3] offset:40
	global_load_dwordx2 v[12:13], v33, s[2:3] offset:24 sc0 sc1
	global_load_dwordx2 v[14:15], v33, s[2:3]
	s_waitcnt vmcnt(2)
	v_lshl_add_u64 v[8:9], v[4:5], 0, 1
	v_lshl_add_u64 v[16:17], v[8:9], 0, s[14:15]
	v_cmp_eq_u64_e32 vcc, 0, v[16:17]
	s_waitcnt vmcnt(1)
	v_mov_b32_e32 v10, v12
	v_cndmask_b32_e32 v9, v17, v9, vcc
	v_cndmask_b32_e32 v8, v16, v8, vcc
	v_and_b32_e32 v5, v9, v5
	v_and_b32_e32 v4, v8, v4
	v_mul_lo_u32 v5, v5, 24
	v_mul_hi_u32 v11, v4, 24
	v_mul_lo_u32 v4, v4, 24
	v_add_u32_e32 v5, v11, v5
	s_waitcnt vmcnt(0)
	v_lshl_add_u64 v[4:5], v[14:15], 0, v[4:5]
	global_store_dwordx2 v[4:5], v[12:13], off
	v_mov_b32_e32 v11, v13
	buffer_wbl2 sc0 sc1
	s_waitcnt vmcnt(0)
	global_atomic_cmpswap_x2 v[10:11], v33, v[8:11], s[2:3] offset:24 sc0 sc1
	s_waitcnt vmcnt(0)
	v_cmp_ne_u64_e32 vcc, v[10:11], v[12:13]
	s_and_b64 exec, exec, vcc
	s_cbranch_execz .LBB12_1065
; %bb.1145:                             ;   in Loop: Header=BB12_1066 Depth=1
	s_mov_b64 s[0:1], 0
.LBB12_1146:                            ;   Parent Loop BB12_1066 Depth=1
                                        ; =>  This Inner Loop Header: Depth=2
	s_sleep 1
	global_store_dwordx2 v[4:5], v[10:11], off
	buffer_wbl2 sc0 sc1
	s_waitcnt vmcnt(0)
	global_atomic_cmpswap_x2 v[12:13], v33, v[8:11], s[2:3] offset:24 sc0 sc1
	s_waitcnt vmcnt(0)
	v_cmp_eq_u64_e32 vcc, v[12:13], v[10:11]
	s_or_b64 s[0:1], vcc, s[0:1]
	v_mov_b64_e32 v[10:11], v[12:13]
	s_andn2_b64 exec, exec, s[0:1]
	s_cbranch_execnz .LBB12_1146
	s_branch .LBB12_1065
.LBB12_1147:
	s_mov_b64 s[0:1], 0
	s_branch .LBB12_1149
.LBB12_1148:
	s_mov_b64 s[0:1], -1
                                        ; implicit-def: $vgpr2_vgpr3
.LBB12_1149:
	s_and_b64 vcc, exec, s[0:1]
	s_cbranch_vccz .LBB12_1176
; %bb.1150:
	v_readfirstlane_b32 s0, v36
	s_waitcnt vmcnt(0)
	v_mov_b64_e32 v[2:3], 0
	v_cmp_eq_u32_e64 s[0:1], s0, v36
	s_and_saveexec_b64 s[8:9], s[0:1]
	s_cbranch_execz .LBB12_1156
; %bb.1151:
	v_mov_b32_e32 v4, 0
	global_load_dwordx2 v[8:9], v4, s[2:3] offset:24 sc0 sc1
	s_waitcnt vmcnt(0)
	buffer_inv sc0 sc1
	global_load_dwordx2 v[2:3], v4, s[2:3] offset:40
	global_load_dwordx2 v[6:7], v4, s[2:3]
	s_waitcnt vmcnt(1)
	v_and_b32_e32 v2, v2, v8
	v_and_b32_e32 v3, v3, v9
	v_mul_lo_u32 v3, v3, 24
	v_mul_hi_u32 v5, v2, 24
	v_add_u32_e32 v3, v5, v3
	v_mul_lo_u32 v2, v2, 24
	s_waitcnt vmcnt(0)
	v_lshl_add_u64 v[2:3], v[6:7], 0, v[2:3]
	global_load_dwordx2 v[6:7], v[2:3], off sc0 sc1
	s_waitcnt vmcnt(0)
	global_atomic_cmpswap_x2 v[2:3], v4, v[6:9], s[2:3] offset:24 sc0 sc1
	s_waitcnt vmcnt(0)
	buffer_inv sc0 sc1
	v_cmp_ne_u64_e32 vcc, v[2:3], v[8:9]
	s_and_saveexec_b64 s[10:11], vcc
	s_cbranch_execz .LBB12_1155
; %bb.1152:
	s_mov_b64 s[12:13], 0
.LBB12_1153:                            ; =>This Inner Loop Header: Depth=1
	s_sleep 1
	global_load_dwordx2 v[6:7], v4, s[2:3] offset:40
	global_load_dwordx2 v[10:11], v4, s[2:3]
	v_mov_b64_e32 v[8:9], v[2:3]
	s_waitcnt vmcnt(1)
	v_and_b32_e32 v2, v6, v8
	s_waitcnt vmcnt(0)
	v_mad_u64_u32 v[2:3], s[14:15], v2, 24, v[10:11]
	v_and_b32_e32 v5, v7, v9
	v_mov_b32_e32 v6, v3
	v_mad_u64_u32 v[6:7], s[14:15], v5, 24, v[6:7]
	v_mov_b32_e32 v3, v6
	global_load_dwordx2 v[6:7], v[2:3], off sc0 sc1
	s_waitcnt vmcnt(0)
	global_atomic_cmpswap_x2 v[2:3], v4, v[6:9], s[2:3] offset:24 sc0 sc1
	s_waitcnt vmcnt(0)
	buffer_inv sc0 sc1
	v_cmp_eq_u64_e32 vcc, v[2:3], v[8:9]
	s_or_b64 s[12:13], vcc, s[12:13]
	s_andn2_b64 exec, exec, s[12:13]
	s_cbranch_execnz .LBB12_1153
; %bb.1154:
	s_or_b64 exec, exec, s[12:13]
.LBB12_1155:
	s_or_b64 exec, exec, s[10:11]
.LBB12_1156:
	s_or_b64 exec, exec, s[8:9]
	v_mov_b32_e32 v29, 0
	global_load_dwordx2 v[8:9], v29, s[2:3] offset:40
	global_load_dwordx4 v[4:7], v29, s[2:3]
	v_readfirstlane_b32 s8, v2
	v_readfirstlane_b32 s9, v3
	s_mov_b64 s[10:11], exec
	s_waitcnt vmcnt(1)
	v_readfirstlane_b32 s12, v8
	v_readfirstlane_b32 s13, v9
	s_and_b64 s[12:13], s[8:9], s[12:13]
	s_mul_i32 s14, s13, 24
	s_mul_hi_u32 s15, s12, 24
	s_add_i32 s15, s15, s14
	s_mul_i32 s14, s12, 24
	s_waitcnt vmcnt(0)
	v_lshl_add_u64 v[8:9], v[4:5], 0, s[14:15]
	s_and_saveexec_b64 s[14:15], s[0:1]
	s_cbranch_execz .LBB12_1158
; %bb.1157:
	v_mov_b64_e32 v[10:11], s[10:11]
	v_mov_b32_e32 v12, 2
	v_mov_b32_e32 v13, 1
	global_store_dwordx4 v[8:9], v[10:13], off offset:8
.LBB12_1158:
	s_or_b64 exec, exec, s[14:15]
	s_lshl_b64 s[10:11], s[12:13], 12
	v_lshl_add_u64 v[6:7], v[6:7], 0, s[10:11]
	s_movk_i32 s10, 0xff1f
	s_mov_b32 s12, 0
	v_and_or_b32 v0, v0, s10, 32
	v_mov_b32_e32 v2, v29
	v_mov_b32_e32 v3, v29
	v_readfirstlane_b32 s10, v6
	v_readfirstlane_b32 s11, v7
	s_mov_b32 s13, s12
	s_mov_b32 s14, s12
	;; [unrolled: 1-line block ×3, first 2 shown]
	s_nop 1
	global_store_dwordx4 v28, v[0:3], s[10:11]
	s_nop 1
	v_mov_b64_e32 v[0:1], s[12:13]
	v_mov_b64_e32 v[2:3], s[14:15]
	global_store_dwordx4 v28, v[0:3], s[10:11] offset:16
	global_store_dwordx4 v28, v[0:3], s[10:11] offset:32
	;; [unrolled: 1-line block ×3, first 2 shown]
	s_and_saveexec_b64 s[10:11], s[0:1]
	s_cbranch_execz .LBB12_1166
; %bb.1159:
	v_mov_b32_e32 v10, 0
	global_load_dwordx2 v[14:15], v10, s[2:3] offset:32 sc0 sc1
	global_load_dwordx2 v[0:1], v10, s[2:3] offset:40
	v_mov_b32_e32 v12, s8
	v_mov_b32_e32 v13, s9
	s_waitcnt vmcnt(0)
	v_readfirstlane_b32 s12, v0
	v_readfirstlane_b32 s13, v1
	s_and_b64 s[12:13], s[12:13], s[8:9]
	s_mul_i32 s13, s13, 24
	s_mul_hi_u32 s14, s12, 24
	s_mul_i32 s12, s12, 24
	s_add_i32 s13, s14, s13
	v_lshl_add_u64 v[4:5], v[4:5], 0, s[12:13]
	global_store_dwordx2 v[4:5], v[14:15], off
	buffer_wbl2 sc0 sc1
	s_waitcnt vmcnt(0)
	global_atomic_cmpswap_x2 v[2:3], v10, v[12:15], s[2:3] offset:32 sc0 sc1
	s_waitcnt vmcnt(0)
	v_cmp_ne_u64_e32 vcc, v[2:3], v[14:15]
	s_and_saveexec_b64 s[12:13], vcc
	s_cbranch_execz .LBB12_1162
; %bb.1160:
	s_mov_b64 s[14:15], 0
.LBB12_1161:                            ; =>This Inner Loop Header: Depth=1
	s_sleep 1
	global_store_dwordx2 v[4:5], v[2:3], off
	v_mov_b32_e32 v0, s8
	v_mov_b32_e32 v1, s9
	buffer_wbl2 sc0 sc1
	s_waitcnt vmcnt(0)
	global_atomic_cmpswap_x2 v[0:1], v10, v[0:3], s[2:3] offset:32 sc0 sc1
	s_waitcnt vmcnt(0)
	v_cmp_eq_u64_e32 vcc, v[0:1], v[2:3]
	s_or_b64 s[14:15], vcc, s[14:15]
	v_mov_b64_e32 v[2:3], v[0:1]
	s_andn2_b64 exec, exec, s[14:15]
	s_cbranch_execnz .LBB12_1161
.LBB12_1162:
	s_or_b64 exec, exec, s[12:13]
	v_mov_b32_e32 v3, 0
	global_load_dwordx2 v[0:1], v3, s[2:3] offset:16
	s_mov_b64 s[12:13], exec
	v_mbcnt_lo_u32_b32 v2, s12, 0
	v_mbcnt_hi_u32_b32 v2, s13, v2
	v_cmp_eq_u32_e32 vcc, 0, v2
	s_and_saveexec_b64 s[14:15], vcc
	s_cbranch_execz .LBB12_1164
; %bb.1163:
	s_bcnt1_i32_b64 s12, s[12:13]
	v_mov_b32_e32 v2, s12
	buffer_wbl2 sc0 sc1
	s_waitcnt vmcnt(0)
	global_atomic_add_x2 v[0:1], v[2:3], off offset:8 sc1
.LBB12_1164:
	s_or_b64 exec, exec, s[14:15]
	s_waitcnt vmcnt(0)
	global_load_dwordx2 v[2:3], v[0:1], off offset:16
	s_waitcnt vmcnt(0)
	v_cmp_eq_u64_e32 vcc, 0, v[2:3]
	s_cbranch_vccnz .LBB12_1166
; %bb.1165:
	global_load_dword v0, v[0:1], off offset:24
	v_mov_b32_e32 v1, 0
	buffer_wbl2 sc0 sc1
	s_waitcnt vmcnt(0)
	global_store_dwordx2 v[2:3], v[0:1], off sc0 sc1
	v_and_b32_e32 v0, 0xffffff, v0
	s_nop 0
	v_readfirstlane_b32 m0, v0
	s_sendmsg sendmsg(MSG_INTERRUPT)
.LBB12_1166:
	s_or_b64 exec, exec, s[10:11]
	v_lshl_add_u64 v[0:1], v[6:7], 0, v[28:29]
	s_branch .LBB12_1170
.LBB12_1167:                            ;   in Loop: Header=BB12_1170 Depth=1
	s_or_b64 exec, exec, s[10:11]
	v_readfirstlane_b32 s10, v2
	s_cmp_eq_u32 s10, 0
	s_cbranch_scc1 .LBB12_1169
; %bb.1168:                             ;   in Loop: Header=BB12_1170 Depth=1
	s_sleep 1
	s_cbranch_execnz .LBB12_1170
	s_branch .LBB12_1172
.LBB12_1169:
	s_branch .LBB12_1172
.LBB12_1170:                            ; =>This Inner Loop Header: Depth=1
	v_mov_b32_e32 v2, 1
	s_and_saveexec_b64 s[10:11], s[0:1]
	s_cbranch_execz .LBB12_1167
; %bb.1171:                             ;   in Loop: Header=BB12_1170 Depth=1
	global_load_dword v2, v[8:9], off offset:20 sc0 sc1
	s_waitcnt vmcnt(0)
	buffer_inv sc0 sc1
	v_and_b32_e32 v2, 1, v2
	s_branch .LBB12_1167
.LBB12_1172:
	global_load_dwordx2 v[2:3], v[0:1], off
	s_and_saveexec_b64 s[10:11], s[0:1]
	s_cbranch_execz .LBB12_1175
; %bb.1173:
	v_mov_b32_e32 v8, 0
	global_load_dwordx2 v[0:1], v8, s[2:3] offset:40
	global_load_dwordx2 v[10:11], v8, s[2:3] offset:24 sc0 sc1
	global_load_dwordx2 v[12:13], v8, s[2:3]
	s_mov_b64 s[0:1], 0
	s_waitcnt vmcnt(2)
	v_lshl_add_u64 v[4:5], v[0:1], 0, 1
	v_lshl_add_u64 v[14:15], v[4:5], 0, s[8:9]
	v_cmp_eq_u64_e32 vcc, 0, v[14:15]
	s_waitcnt vmcnt(1)
	v_mov_b32_e32 v6, v10
	v_cndmask_b32_e32 v5, v15, v5, vcc
	v_cndmask_b32_e32 v4, v14, v4, vcc
	v_and_b32_e32 v1, v5, v1
	v_and_b32_e32 v0, v4, v0
	v_mul_lo_u32 v1, v1, 24
	v_mul_hi_u32 v7, v0, 24
	v_mul_lo_u32 v0, v0, 24
	v_add_u32_e32 v1, v7, v1
	s_waitcnt vmcnt(0)
	v_lshl_add_u64 v[0:1], v[12:13], 0, v[0:1]
	global_store_dwordx2 v[0:1], v[10:11], off
	v_mov_b32_e32 v7, v11
	buffer_wbl2 sc0 sc1
	s_waitcnt vmcnt(0)
	global_atomic_cmpswap_x2 v[6:7], v8, v[4:7], s[2:3] offset:24 sc0 sc1
	s_waitcnt vmcnt(0)
	v_cmp_ne_u64_e32 vcc, v[6:7], v[10:11]
	s_and_b64 exec, exec, vcc
	s_cbranch_execz .LBB12_1175
.LBB12_1174:                            ; =>This Inner Loop Header: Depth=1
	s_sleep 1
	global_store_dwordx2 v[0:1], v[6:7], off
	buffer_wbl2 sc0 sc1
	s_waitcnt vmcnt(0)
	global_atomic_cmpswap_x2 v[10:11], v8, v[4:7], s[2:3] offset:24 sc0 sc1
	s_waitcnt vmcnt(0)
	v_cmp_eq_u64_e32 vcc, v[10:11], v[6:7]
	s_or_b64 s[0:1], vcc, s[0:1]
	v_mov_b64_e32 v[6:7], v[10:11]
	s_andn2_b64 exec, exec, s[0:1]
	s_cbranch_execnz .LBB12_1174
.LBB12_1175:
	s_or_b64 exec, exec, s[10:11]
.LBB12_1176:
	v_readfirstlane_b32 s0, v36
	s_waitcnt vmcnt(0)
	v_mov_b64_e32 v[0:1], 0
	v_cmp_eq_u32_e64 s[0:1], s0, v36
	s_and_saveexec_b64 s[8:9], s[0:1]
	s_cbranch_execz .LBB12_1182
; %bb.1177:
	v_mov_b32_e32 v4, 0
	global_load_dwordx2 v[8:9], v4, s[2:3] offset:24 sc0 sc1
	s_waitcnt vmcnt(0)
	buffer_inv sc0 sc1
	global_load_dwordx2 v[0:1], v4, s[2:3] offset:40
	global_load_dwordx2 v[6:7], v4, s[2:3]
	s_waitcnt vmcnt(1)
	v_and_b32_e32 v0, v0, v8
	v_and_b32_e32 v1, v1, v9
	v_mul_lo_u32 v1, v1, 24
	v_mul_hi_u32 v5, v0, 24
	v_add_u32_e32 v1, v5, v1
	v_mul_lo_u32 v0, v0, 24
	s_waitcnt vmcnt(0)
	v_lshl_add_u64 v[0:1], v[6:7], 0, v[0:1]
	global_load_dwordx2 v[6:7], v[0:1], off sc0 sc1
	s_waitcnt vmcnt(0)
	global_atomic_cmpswap_x2 v[0:1], v4, v[6:9], s[2:3] offset:24 sc0 sc1
	s_waitcnt vmcnt(0)
	buffer_inv sc0 sc1
	v_cmp_ne_u64_e32 vcc, v[0:1], v[8:9]
	s_and_saveexec_b64 s[10:11], vcc
	s_cbranch_execz .LBB12_1181
; %bb.1178:
	s_mov_b64 s[12:13], 0
.LBB12_1179:                            ; =>This Inner Loop Header: Depth=1
	s_sleep 1
	global_load_dwordx2 v[6:7], v4, s[2:3] offset:40
	global_load_dwordx2 v[10:11], v4, s[2:3]
	v_mov_b64_e32 v[8:9], v[0:1]
	s_waitcnt vmcnt(1)
	v_and_b32_e32 v0, v6, v8
	s_waitcnt vmcnt(0)
	v_mad_u64_u32 v[0:1], s[14:15], v0, 24, v[10:11]
	v_and_b32_e32 v5, v7, v9
	v_mov_b32_e32 v6, v1
	v_mad_u64_u32 v[6:7], s[14:15], v5, 24, v[6:7]
	v_mov_b32_e32 v1, v6
	global_load_dwordx2 v[6:7], v[0:1], off sc0 sc1
	s_waitcnt vmcnt(0)
	global_atomic_cmpswap_x2 v[0:1], v4, v[6:9], s[2:3] offset:24 sc0 sc1
	s_waitcnt vmcnt(0)
	buffer_inv sc0 sc1
	v_cmp_eq_u64_e32 vcc, v[0:1], v[8:9]
	s_or_b64 s[12:13], vcc, s[12:13]
	s_andn2_b64 exec, exec, s[12:13]
	s_cbranch_execnz .LBB12_1179
; %bb.1180:
	s_or_b64 exec, exec, s[12:13]
.LBB12_1181:
	s_or_b64 exec, exec, s[10:11]
.LBB12_1182:
	s_or_b64 exec, exec, s[8:9]
	v_mov_b32_e32 v5, 0
	global_load_dwordx2 v[10:11], v5, s[2:3] offset:40
	global_load_dwordx4 v[6:9], v5, s[2:3]
	v_readfirstlane_b32 s8, v0
	v_readfirstlane_b32 s9, v1
	s_mov_b64 s[10:11], exec
	s_waitcnt vmcnt(1)
	v_readfirstlane_b32 s12, v10
	v_readfirstlane_b32 s13, v11
	s_and_b64 s[12:13], s[8:9], s[12:13]
	s_mul_i32 s14, s13, 24
	s_mul_hi_u32 s15, s12, 24
	s_add_i32 s15, s15, s14
	s_mul_i32 s14, s12, 24
	s_waitcnt vmcnt(0)
	v_lshl_add_u64 v[10:11], v[6:7], 0, s[14:15]
	s_and_saveexec_b64 s[14:15], s[0:1]
	s_cbranch_execz .LBB12_1184
; %bb.1183:
	v_mov_b64_e32 v[12:13], s[10:11]
	v_mov_b32_e32 v14, 2
	v_mov_b32_e32 v15, 1
	global_store_dwordx4 v[10:11], v[12:15], off offset:8
.LBB12_1184:
	s_or_b64 exec, exec, s[14:15]
	s_lshl_b64 s[10:11], s[12:13], 12
	v_lshl_add_u64 v[0:1], v[8:9], 0, s[10:11]
	s_movk_i32 s10, 0xff1d
	s_mov_b32 s12, 0
	v_and_or_b32 v2, v2, s10, 34
	v_mov_b32_e32 v4, 58
	v_readfirstlane_b32 s10, v0
	v_readfirstlane_b32 s11, v1
	s_mov_b32 s13, s12
	s_mov_b32 s14, s12
	;; [unrolled: 1-line block ×3, first 2 shown]
	s_nop 1
	global_store_dwordx4 v28, v[2:5], s[10:11]
	v_mov_b64_e32 v[0:1], s[12:13]
	s_nop 0
	v_mov_b64_e32 v[2:3], s[14:15]
	global_store_dwordx4 v28, v[0:3], s[10:11] offset:16
	global_store_dwordx4 v28, v[0:3], s[10:11] offset:32
	;; [unrolled: 1-line block ×3, first 2 shown]
	s_and_saveexec_b64 s[10:11], s[0:1]
	s_cbranch_execz .LBB12_1192
; %bb.1185:
	v_mov_b32_e32 v8, 0
	global_load_dwordx2 v[14:15], v8, s[2:3] offset:32 sc0 sc1
	global_load_dwordx2 v[0:1], v8, s[2:3] offset:40
	v_mov_b32_e32 v12, s8
	v_mov_b32_e32 v13, s9
	s_waitcnt vmcnt(0)
	v_readfirstlane_b32 s12, v0
	v_readfirstlane_b32 s13, v1
	s_and_b64 s[12:13], s[12:13], s[8:9]
	s_mul_i32 s13, s13, 24
	s_mul_hi_u32 s14, s12, 24
	s_mul_i32 s12, s12, 24
	s_add_i32 s13, s14, s13
	v_lshl_add_u64 v[4:5], v[6:7], 0, s[12:13]
	global_store_dwordx2 v[4:5], v[14:15], off
	buffer_wbl2 sc0 sc1
	s_waitcnt vmcnt(0)
	global_atomic_cmpswap_x2 v[2:3], v8, v[12:15], s[2:3] offset:32 sc0 sc1
	s_waitcnt vmcnt(0)
	v_cmp_ne_u64_e32 vcc, v[2:3], v[14:15]
	s_and_saveexec_b64 s[12:13], vcc
	s_cbranch_execz .LBB12_1188
; %bb.1186:
	s_mov_b64 s[14:15], 0
.LBB12_1187:                            ; =>This Inner Loop Header: Depth=1
	s_sleep 1
	global_store_dwordx2 v[4:5], v[2:3], off
	v_mov_b32_e32 v0, s8
	v_mov_b32_e32 v1, s9
	buffer_wbl2 sc0 sc1
	s_waitcnt vmcnt(0)
	global_atomic_cmpswap_x2 v[0:1], v8, v[0:3], s[2:3] offset:32 sc0 sc1
	s_waitcnt vmcnt(0)
	v_cmp_eq_u64_e32 vcc, v[0:1], v[2:3]
	s_or_b64 s[14:15], vcc, s[14:15]
	v_mov_b64_e32 v[2:3], v[0:1]
	s_andn2_b64 exec, exec, s[14:15]
	s_cbranch_execnz .LBB12_1187
.LBB12_1188:
	s_or_b64 exec, exec, s[12:13]
	v_mov_b32_e32 v3, 0
	global_load_dwordx2 v[0:1], v3, s[2:3] offset:16
	s_mov_b64 s[12:13], exec
	v_mbcnt_lo_u32_b32 v2, s12, 0
	v_mbcnt_hi_u32_b32 v2, s13, v2
	v_cmp_eq_u32_e32 vcc, 0, v2
	s_and_saveexec_b64 s[14:15], vcc
	s_cbranch_execz .LBB12_1190
; %bb.1189:
	s_bcnt1_i32_b64 s12, s[12:13]
	v_mov_b32_e32 v2, s12
	buffer_wbl2 sc0 sc1
	s_waitcnt vmcnt(0)
	global_atomic_add_x2 v[0:1], v[2:3], off offset:8 sc1
.LBB12_1190:
	s_or_b64 exec, exec, s[14:15]
	s_waitcnt vmcnt(0)
	global_load_dwordx2 v[2:3], v[0:1], off offset:16
	s_waitcnt vmcnt(0)
	v_cmp_eq_u64_e32 vcc, 0, v[2:3]
	s_cbranch_vccnz .LBB12_1192
; %bb.1191:
	global_load_dword v0, v[0:1], off offset:24
	v_mov_b32_e32 v1, 0
	buffer_wbl2 sc0 sc1
	s_waitcnt vmcnt(0)
	global_store_dwordx2 v[2:3], v[0:1], off sc0 sc1
	v_and_b32_e32 v0, 0xffffff, v0
	s_nop 0
	v_readfirstlane_b32 m0, v0
	s_sendmsg sendmsg(MSG_INTERRUPT)
.LBB12_1192:
	s_or_b64 exec, exec, s[10:11]
	s_branch .LBB12_1196
.LBB12_1193:                            ;   in Loop: Header=BB12_1196 Depth=1
	s_or_b64 exec, exec, s[10:11]
	v_readfirstlane_b32 s10, v0
	s_cmp_eq_u32 s10, 0
	s_cbranch_scc1 .LBB12_1195
; %bb.1194:                             ;   in Loop: Header=BB12_1196 Depth=1
	s_sleep 1
	s_cbranch_execnz .LBB12_1196
	s_branch .LBB12_1198
.LBB12_1195:
	s_branch .LBB12_1198
.LBB12_1196:                            ; =>This Inner Loop Header: Depth=1
	v_mov_b32_e32 v0, 1
	s_and_saveexec_b64 s[10:11], s[0:1]
	s_cbranch_execz .LBB12_1193
; %bb.1197:                             ;   in Loop: Header=BB12_1196 Depth=1
	global_load_dword v0, v[10:11], off offset:20 sc0 sc1
	s_waitcnt vmcnt(0)
	buffer_inv sc0 sc1
	v_and_b32_e32 v0, 1, v0
	s_branch .LBB12_1193
.LBB12_1198:
	s_and_saveexec_b64 s[10:11], s[0:1]
	s_cbranch_execz .LBB12_1201
; %bb.1199:
	v_mov_b32_e32 v6, 0
	global_load_dwordx2 v[4:5], v6, s[2:3] offset:40
	global_load_dwordx2 v[8:9], v6, s[2:3] offset:24 sc0 sc1
	global_load_dwordx2 v[10:11], v6, s[2:3]
	s_mov_b64 s[0:1], 0
	s_waitcnt vmcnt(2)
	v_lshl_add_u64 v[0:1], v[4:5], 0, 1
	v_lshl_add_u64 v[12:13], v[0:1], 0, s[8:9]
	v_cmp_eq_u64_e32 vcc, 0, v[12:13]
	s_waitcnt vmcnt(1)
	v_mov_b32_e32 v2, v8
	v_cndmask_b32_e32 v1, v13, v1, vcc
	v_cndmask_b32_e32 v0, v12, v0, vcc
	v_and_b32_e32 v3, v1, v5
	v_and_b32_e32 v4, v0, v4
	v_mul_lo_u32 v3, v3, 24
	v_mul_hi_u32 v5, v4, 24
	v_mul_lo_u32 v4, v4, 24
	v_add_u32_e32 v5, v5, v3
	s_waitcnt vmcnt(0)
	v_lshl_add_u64 v[4:5], v[10:11], 0, v[4:5]
	global_store_dwordx2 v[4:5], v[8:9], off
	v_mov_b32_e32 v3, v9
	buffer_wbl2 sc0 sc1
	s_waitcnt vmcnt(0)
	global_atomic_cmpswap_x2 v[2:3], v6, v[0:3], s[2:3] offset:24 sc0 sc1
	s_waitcnt vmcnt(0)
	v_cmp_ne_u64_e32 vcc, v[2:3], v[8:9]
	s_and_b64 exec, exec, vcc
	s_cbranch_execz .LBB12_1201
.LBB12_1200:                            ; =>This Inner Loop Header: Depth=1
	s_sleep 1
	global_store_dwordx2 v[4:5], v[2:3], off
	buffer_wbl2 sc0 sc1
	s_waitcnt vmcnt(0)
	global_atomic_cmpswap_x2 v[8:9], v6, v[0:3], s[2:3] offset:24 sc0 sc1
	s_waitcnt vmcnt(0)
	v_cmp_eq_u64_e32 vcc, v[8:9], v[2:3]
	s_or_b64 s[0:1], vcc, s[0:1]
	v_mov_b64_e32 v[2:3], v[8:9]
	s_andn2_b64 exec, exec, s[0:1]
	s_cbranch_execnz .LBB12_1200
.LBB12_1201:
	s_or_b64 exec, exec, s[10:11]
	v_readfirstlane_b32 s0, v36
	v_mov_b64_e32 v[4:5], 0
	s_nop 0
	v_cmp_eq_u32_e64 s[0:1], s0, v36
	s_and_saveexec_b64 s[8:9], s[0:1]
	s_cbranch_execz .LBB12_1207
; %bb.1202:
	v_mov_b32_e32 v0, 0
	global_load_dwordx2 v[6:7], v0, s[2:3] offset:24 sc0 sc1
	s_waitcnt vmcnt(0)
	buffer_inv sc0 sc1
	global_load_dwordx2 v[2:3], v0, s[2:3] offset:40
	global_load_dwordx2 v[4:5], v0, s[2:3]
	s_waitcnt vmcnt(1)
	v_and_b32_e32 v1, v2, v6
	v_and_b32_e32 v2, v3, v7
	v_mul_lo_u32 v2, v2, 24
	v_mul_hi_u32 v3, v1, 24
	v_add_u32_e32 v3, v3, v2
	v_mul_lo_u32 v2, v1, 24
	s_waitcnt vmcnt(0)
	v_lshl_add_u64 v[2:3], v[4:5], 0, v[2:3]
	global_load_dwordx2 v[4:5], v[2:3], off sc0 sc1
	s_waitcnt vmcnt(0)
	global_atomic_cmpswap_x2 v[4:5], v0, v[4:7], s[2:3] offset:24 sc0 sc1
	s_waitcnt vmcnt(0)
	buffer_inv sc0 sc1
	v_cmp_ne_u64_e32 vcc, v[4:5], v[6:7]
	s_and_saveexec_b64 s[10:11], vcc
	s_cbranch_execz .LBB12_1206
; %bb.1203:
	s_mov_b64 s[12:13], 0
.LBB12_1204:                            ; =>This Inner Loop Header: Depth=1
	s_sleep 1
	global_load_dwordx2 v[2:3], v0, s[2:3] offset:40
	global_load_dwordx2 v[8:9], v0, s[2:3]
	v_mov_b64_e32 v[6:7], v[4:5]
	s_waitcnt vmcnt(1)
	v_and_b32_e32 v2, v2, v6
	v_and_b32_e32 v1, v3, v7
	s_waitcnt vmcnt(0)
	v_mad_u64_u32 v[2:3], s[14:15], v2, 24, v[8:9]
	v_mov_b32_e32 v4, v3
	v_mad_u64_u32 v[4:5], s[14:15], v1, 24, v[4:5]
	v_mov_b32_e32 v3, v4
	global_load_dwordx2 v[4:5], v[2:3], off sc0 sc1
	s_waitcnt vmcnt(0)
	global_atomic_cmpswap_x2 v[4:5], v0, v[4:7], s[2:3] offset:24 sc0 sc1
	s_waitcnt vmcnt(0)
	buffer_inv sc0 sc1
	v_cmp_eq_u64_e32 vcc, v[4:5], v[6:7]
	s_or_b64 s[12:13], vcc, s[12:13]
	s_andn2_b64 exec, exec, s[12:13]
	s_cbranch_execnz .LBB12_1204
; %bb.1205:
	s_or_b64 exec, exec, s[12:13]
.LBB12_1206:
	s_or_b64 exec, exec, s[10:11]
.LBB12_1207:
	s_or_b64 exec, exec, s[8:9]
	v_mov_b32_e32 v29, 0
	global_load_dwordx2 v[6:7], v29, s[2:3] offset:40
	global_load_dwordx4 v[0:3], v29, s[2:3]
	v_readfirstlane_b32 s8, v4
	v_readfirstlane_b32 s9, v5
	s_mov_b64 s[10:11], exec
	s_waitcnt vmcnt(1)
	v_readfirstlane_b32 s12, v6
	v_readfirstlane_b32 s13, v7
	s_and_b64 s[12:13], s[8:9], s[12:13]
	s_mul_i32 s14, s13, 24
	s_mul_hi_u32 s15, s12, 24
	s_add_i32 s15, s15, s14
	s_mul_i32 s14, s12, 24
	s_waitcnt vmcnt(0)
	v_lshl_add_u64 v[4:5], v[0:1], 0, s[14:15]
	s_and_saveexec_b64 s[14:15], s[0:1]
	s_cbranch_execz .LBB12_1209
; %bb.1208:
	v_mov_b64_e32 v[6:7], s[10:11]
	v_mov_b32_e32 v8, 2
	v_mov_b32_e32 v9, 1
	global_store_dwordx4 v[4:5], v[6:9], off offset:8
.LBB12_1209:
	s_or_b64 exec, exec, s[14:15]
	s_lshl_b64 s[10:11], s[12:13], 12
	v_lshl_add_u64 v[6:7], v[2:3], 0, s[10:11]
	s_mov_b32 s12, 0
	v_mov_b32_e32 v8, 33
	v_mov_b32_e32 v9, v29
	;; [unrolled: 1-line block ×4, first 2 shown]
	v_readfirstlane_b32 s10, v6
	v_readfirstlane_b32 s11, v7
	s_mov_b32 s13, s12
	s_mov_b32 s14, s12
	;; [unrolled: 1-line block ×3, first 2 shown]
	s_nop 1
	global_store_dwordx4 v28, v[8:11], s[10:11]
	s_nop 1
	v_mov_b64_e32 v[8:9], s[12:13]
	v_mov_b64_e32 v[10:11], s[14:15]
	global_store_dwordx4 v28, v[8:11], s[10:11] offset:16
	global_store_dwordx4 v28, v[8:11], s[10:11] offset:32
	;; [unrolled: 1-line block ×3, first 2 shown]
	s_and_saveexec_b64 s[10:11], s[0:1]
	s_cbranch_execz .LBB12_1217
; %bb.1210:
	v_mov_b32_e32 v10, 0
	global_load_dwordx2 v[14:15], v10, s[2:3] offset:32 sc0 sc1
	global_load_dwordx2 v[2:3], v10, s[2:3] offset:40
	v_mov_b32_e32 v12, s8
	v_mov_b32_e32 v13, s9
	s_waitcnt vmcnt(0)
	v_readfirstlane_b32 s12, v2
	v_readfirstlane_b32 s13, v3
	s_and_b64 s[12:13], s[12:13], s[8:9]
	s_mul_i32 s13, s13, 24
	s_mul_hi_u32 s14, s12, 24
	s_mul_i32 s12, s12, 24
	s_add_i32 s13, s14, s13
	v_lshl_add_u64 v[8:9], v[0:1], 0, s[12:13]
	global_store_dwordx2 v[8:9], v[14:15], off
	buffer_wbl2 sc0 sc1
	s_waitcnt vmcnt(0)
	global_atomic_cmpswap_x2 v[2:3], v10, v[12:15], s[2:3] offset:32 sc0 sc1
	s_waitcnt vmcnt(0)
	v_cmp_ne_u64_e32 vcc, v[2:3], v[14:15]
	s_and_saveexec_b64 s[12:13], vcc
	s_cbranch_execz .LBB12_1213
; %bb.1211:
	s_mov_b64 s[14:15], 0
.LBB12_1212:                            ; =>This Inner Loop Header: Depth=1
	s_sleep 1
	global_store_dwordx2 v[8:9], v[2:3], off
	v_mov_b32_e32 v0, s8
	v_mov_b32_e32 v1, s9
	buffer_wbl2 sc0 sc1
	s_waitcnt vmcnt(0)
	global_atomic_cmpswap_x2 v[0:1], v10, v[0:3], s[2:3] offset:32 sc0 sc1
	s_waitcnt vmcnt(0)
	v_cmp_eq_u64_e32 vcc, v[0:1], v[2:3]
	s_or_b64 s[14:15], vcc, s[14:15]
	v_mov_b64_e32 v[2:3], v[0:1]
	s_andn2_b64 exec, exec, s[14:15]
	s_cbranch_execnz .LBB12_1212
.LBB12_1213:
	s_or_b64 exec, exec, s[12:13]
	v_mov_b32_e32 v3, 0
	global_load_dwordx2 v[0:1], v3, s[2:3] offset:16
	s_mov_b64 s[12:13], exec
	v_mbcnt_lo_u32_b32 v2, s12, 0
	v_mbcnt_hi_u32_b32 v2, s13, v2
	v_cmp_eq_u32_e32 vcc, 0, v2
	s_and_saveexec_b64 s[14:15], vcc
	s_cbranch_execz .LBB12_1215
; %bb.1214:
	s_bcnt1_i32_b64 s12, s[12:13]
	v_mov_b32_e32 v2, s12
	buffer_wbl2 sc0 sc1
	s_waitcnt vmcnt(0)
	global_atomic_add_x2 v[0:1], v[2:3], off offset:8 sc1
.LBB12_1215:
	s_or_b64 exec, exec, s[14:15]
	s_waitcnt vmcnt(0)
	global_load_dwordx2 v[2:3], v[0:1], off offset:16
	s_waitcnt vmcnt(0)
	v_cmp_eq_u64_e32 vcc, 0, v[2:3]
	s_cbranch_vccnz .LBB12_1217
; %bb.1216:
	global_load_dword v0, v[0:1], off offset:24
	v_mov_b32_e32 v1, 0
	buffer_wbl2 sc0 sc1
	s_waitcnt vmcnt(0)
	global_store_dwordx2 v[2:3], v[0:1], off sc0 sc1
	v_and_b32_e32 v0, 0xffffff, v0
	s_nop 0
	v_readfirstlane_b32 m0, v0
	s_sendmsg sendmsg(MSG_INTERRUPT)
.LBB12_1217:
	s_or_b64 exec, exec, s[10:11]
	v_lshl_add_u64 v[0:1], v[6:7], 0, v[28:29]
	s_branch .LBB12_1221
.LBB12_1218:                            ;   in Loop: Header=BB12_1221 Depth=1
	s_or_b64 exec, exec, s[10:11]
	v_readfirstlane_b32 s10, v2
	s_cmp_eq_u32 s10, 0
	s_cbranch_scc1 .LBB12_1220
; %bb.1219:                             ;   in Loop: Header=BB12_1221 Depth=1
	s_sleep 1
	s_cbranch_execnz .LBB12_1221
	s_branch .LBB12_1223
.LBB12_1220:
	s_branch .LBB12_1223
.LBB12_1221:                            ; =>This Inner Loop Header: Depth=1
	v_mov_b32_e32 v2, 1
	s_and_saveexec_b64 s[10:11], s[0:1]
	s_cbranch_execz .LBB12_1218
; %bb.1222:                             ;   in Loop: Header=BB12_1221 Depth=1
	global_load_dword v2, v[4:5], off offset:20 sc0 sc1
	s_waitcnt vmcnt(0)
	buffer_inv sc0 sc1
	v_and_b32_e32 v2, 1, v2
	s_branch .LBB12_1218
.LBB12_1223:
	global_load_dwordx2 v[0:1], v[0:1], off
	s_and_saveexec_b64 s[10:11], s[0:1]
	s_cbranch_execz .LBB12_1226
; %bb.1224:
	v_mov_b32_e32 v8, 0
	global_load_dwordx2 v[6:7], v8, s[2:3] offset:40
	global_load_dwordx2 v[10:11], v8, s[2:3] offset:24 sc0 sc1
	global_load_dwordx2 v[12:13], v8, s[2:3]
	s_mov_b64 s[0:1], 0
	s_waitcnt vmcnt(2)
	v_lshl_add_u64 v[2:3], v[6:7], 0, 1
	v_lshl_add_u64 v[14:15], v[2:3], 0, s[8:9]
	v_cmp_eq_u64_e32 vcc, 0, v[14:15]
	s_waitcnt vmcnt(1)
	v_mov_b32_e32 v4, v10
	v_cndmask_b32_e32 v3, v15, v3, vcc
	v_cndmask_b32_e32 v2, v14, v2, vcc
	v_and_b32_e32 v5, v3, v7
	v_and_b32_e32 v6, v2, v6
	v_mul_lo_u32 v5, v5, 24
	v_mul_hi_u32 v7, v6, 24
	v_mul_lo_u32 v6, v6, 24
	v_add_u32_e32 v7, v7, v5
	s_waitcnt vmcnt(0)
	v_lshl_add_u64 v[6:7], v[12:13], 0, v[6:7]
	global_store_dwordx2 v[6:7], v[10:11], off
	v_mov_b32_e32 v5, v11
	buffer_wbl2 sc0 sc1
	s_waitcnt vmcnt(0)
	global_atomic_cmpswap_x2 v[4:5], v8, v[2:5], s[2:3] offset:24 sc0 sc1
	s_waitcnt vmcnt(0)
	v_cmp_ne_u64_e32 vcc, v[4:5], v[10:11]
	s_and_b64 exec, exec, vcc
	s_cbranch_execz .LBB12_1226
.LBB12_1225:                            ; =>This Inner Loop Header: Depth=1
	s_sleep 1
	global_store_dwordx2 v[6:7], v[4:5], off
	buffer_wbl2 sc0 sc1
	s_waitcnt vmcnt(0)
	global_atomic_cmpswap_x2 v[10:11], v8, v[2:5], s[2:3] offset:24 sc0 sc1
	s_waitcnt vmcnt(0)
	v_cmp_eq_u64_e32 vcc, v[10:11], v[4:5]
	s_or_b64 s[0:1], vcc, s[0:1]
	v_mov_b64_e32 v[4:5], v[10:11]
	s_andn2_b64 exec, exec, s[0:1]
	s_cbranch_execnz .LBB12_1225
.LBB12_1226:
	s_or_b64 exec, exec, s[10:11]
	s_and_b64 vcc, exec, s[6:7]
	s_cbranch_vccz .LBB12_1311
; %bb.1227:
	s_waitcnt vmcnt(0)
	v_and_b32_e32 v30, 2, v0
	v_mov_b32_e32 v33, 0
	v_and_b32_e32 v2, -3, v0
	v_mov_b32_e32 v3, v1
	s_mov_b64 s[8:9], 3
	v_mov_b32_e32 v6, 2
	v_mov_b32_e32 v7, 1
	s_getpc_b64 s[6:7]
	s_add_u32 s6, s6, .str.6@rel32@lo+4
	s_addc_u32 s7, s7, .str.6@rel32@hi+12
	s_branch .LBB12_1229
.LBB12_1228:                            ;   in Loop: Header=BB12_1229 Depth=1
	s_or_b64 exec, exec, s[14:15]
	s_sub_u32 s8, s8, s10
	s_subb_u32 s9, s9, s11
	s_add_u32 s6, s6, s10
	s_addc_u32 s7, s7, s11
	s_cmp_lg_u64 s[8:9], 0
	s_cbranch_scc0 .LBB12_1310
.LBB12_1229:                            ; =>This Loop Header: Depth=1
                                        ;     Child Loop BB12_1232 Depth 2
                                        ;     Child Loop BB12_1239 Depth 2
	;; [unrolled: 1-line block ×11, first 2 shown]
	v_cmp_lt_u64_e64 s[0:1], s[8:9], 56
	s_and_b64 s[0:1], s[0:1], exec
	v_cmp_gt_u64_e64 s[0:1], s[8:9], 7
	s_cselect_b32 s11, s9, 0
	s_cselect_b32 s10, s8, 56
	s_and_b64 vcc, exec, s[0:1]
	s_cbranch_vccnz .LBB12_1234
; %bb.1230:                             ;   in Loop: Header=BB12_1229 Depth=1
	s_mov_b64 s[0:1], 0
	s_cmp_eq_u64 s[8:9], 0
	v_mov_b64_e32 v[10:11], 0
	s_cbranch_scc1 .LBB12_1233
; %bb.1231:                             ;   in Loop: Header=BB12_1229 Depth=1
	s_lshl_b64 s[12:13], s[10:11], 3
	s_mov_b64 s[14:15], 0
	v_mov_b64_e32 v[10:11], 0
	s_mov_b64 s[16:17], s[6:7]
.LBB12_1232:                            ;   Parent Loop BB12_1229 Depth=1
                                        ; =>  This Inner Loop Header: Depth=2
	global_load_ubyte v4, v33, s[16:17]
	s_waitcnt vmcnt(0)
	v_and_b32_e32 v32, 0xffff, v4
	v_lshlrev_b64 v[4:5], s14, v[32:33]
	s_add_u32 s14, s14, 8
	s_addc_u32 s15, s15, 0
	s_add_u32 s16, s16, 1
	s_addc_u32 s17, s17, 0
	v_or_b32_e32 v10, v4, v10
	s_cmp_lg_u32 s12, s14
	v_or_b32_e32 v11, v5, v11
	s_cbranch_scc1 .LBB12_1232
.LBB12_1233:                            ;   in Loop: Header=BB12_1229 Depth=1
	s_mov_b32 s16, 0
	s_andn2_b64 vcc, exec, s[0:1]
	s_mov_b64 s[0:1], s[6:7]
	s_cbranch_vccz .LBB12_1235
	s_branch .LBB12_1236
.LBB12_1234:                            ;   in Loop: Header=BB12_1229 Depth=1
                                        ; implicit-def: $vgpr10_vgpr11
                                        ; implicit-def: $sgpr16
	s_mov_b64 s[0:1], s[6:7]
.LBB12_1235:                            ;   in Loop: Header=BB12_1229 Depth=1
	global_load_dwordx2 v[10:11], v33, s[6:7]
	s_add_i32 s16, s10, -8
	s_add_u32 s0, s6, 8
	s_addc_u32 s1, s7, 0
.LBB12_1236:                            ;   in Loop: Header=BB12_1229 Depth=1
	s_cmp_gt_u32 s16, 7
	s_cbranch_scc1 .LBB12_1240
; %bb.1237:                             ;   in Loop: Header=BB12_1229 Depth=1
	s_cmp_eq_u32 s16, 0
	s_cbranch_scc1 .LBB12_1241
; %bb.1238:                             ;   in Loop: Header=BB12_1229 Depth=1
	s_mov_b64 s[12:13], 0
	v_mov_b64_e32 v[12:13], 0
	s_mov_b64 s[14:15], 0
.LBB12_1239:                            ;   Parent Loop BB12_1229 Depth=1
                                        ; =>  This Inner Loop Header: Depth=2
	s_add_u32 s18, s0, s14
	s_addc_u32 s19, s1, s15
	global_load_ubyte v4, v33, s[18:19]
	s_add_u32 s14, s14, 1
	s_addc_u32 s15, s15, 0
	s_waitcnt vmcnt(0)
	v_and_b32_e32 v32, 0xffff, v4
	v_lshlrev_b64 v[4:5], s12, v[32:33]
	s_add_u32 s12, s12, 8
	s_addc_u32 s13, s13, 0
	v_or_b32_e32 v12, v4, v12
	s_cmp_lg_u32 s16, s14
	v_or_b32_e32 v13, v5, v13
	s_cbranch_scc1 .LBB12_1239
	s_branch .LBB12_1242
.LBB12_1240:                            ;   in Loop: Header=BB12_1229 Depth=1
                                        ; implicit-def: $vgpr12_vgpr13
                                        ; implicit-def: $sgpr17
	s_branch .LBB12_1243
.LBB12_1241:                            ;   in Loop: Header=BB12_1229 Depth=1
	v_mov_b64_e32 v[12:13], 0
.LBB12_1242:                            ;   in Loop: Header=BB12_1229 Depth=1
	s_mov_b32 s17, 0
	s_cbranch_execnz .LBB12_1244
.LBB12_1243:                            ;   in Loop: Header=BB12_1229 Depth=1
	global_load_dwordx2 v[12:13], v33, s[0:1]
	s_add_i32 s17, s16, -8
	s_add_u32 s0, s0, 8
	s_addc_u32 s1, s1, 0
.LBB12_1244:                            ;   in Loop: Header=BB12_1229 Depth=1
	s_cmp_gt_u32 s17, 7
	s_cbranch_scc1 .LBB12_1248
; %bb.1245:                             ;   in Loop: Header=BB12_1229 Depth=1
	s_cmp_eq_u32 s17, 0
	s_cbranch_scc1 .LBB12_1249
; %bb.1246:                             ;   in Loop: Header=BB12_1229 Depth=1
	s_mov_b64 s[12:13], 0
	v_mov_b64_e32 v[14:15], 0
	s_mov_b64 s[14:15], 0
.LBB12_1247:                            ;   Parent Loop BB12_1229 Depth=1
                                        ; =>  This Inner Loop Header: Depth=2
	s_add_u32 s18, s0, s14
	s_addc_u32 s19, s1, s15
	global_load_ubyte v4, v33, s[18:19]
	s_add_u32 s14, s14, 1
	s_addc_u32 s15, s15, 0
	s_waitcnt vmcnt(0)
	v_and_b32_e32 v32, 0xffff, v4
	v_lshlrev_b64 v[4:5], s12, v[32:33]
	s_add_u32 s12, s12, 8
	s_addc_u32 s13, s13, 0
	v_or_b32_e32 v14, v4, v14
	s_cmp_lg_u32 s17, s14
	v_or_b32_e32 v15, v5, v15
	s_cbranch_scc1 .LBB12_1247
	s_branch .LBB12_1250
.LBB12_1248:                            ;   in Loop: Header=BB12_1229 Depth=1
                                        ; implicit-def: $sgpr16
	s_branch .LBB12_1251
.LBB12_1249:                            ;   in Loop: Header=BB12_1229 Depth=1
	v_mov_b64_e32 v[14:15], 0
.LBB12_1250:                            ;   in Loop: Header=BB12_1229 Depth=1
	s_mov_b32 s16, 0
	s_cbranch_execnz .LBB12_1252
.LBB12_1251:                            ;   in Loop: Header=BB12_1229 Depth=1
	global_load_dwordx2 v[14:15], v33, s[0:1]
	s_add_i32 s16, s17, -8
	s_add_u32 s0, s0, 8
	s_addc_u32 s1, s1, 0
.LBB12_1252:                            ;   in Loop: Header=BB12_1229 Depth=1
	s_cmp_gt_u32 s16, 7
	s_cbranch_scc1 .LBB12_1256
; %bb.1253:                             ;   in Loop: Header=BB12_1229 Depth=1
	s_cmp_eq_u32 s16, 0
	s_cbranch_scc1 .LBB12_1257
; %bb.1254:                             ;   in Loop: Header=BB12_1229 Depth=1
	s_mov_b64 s[12:13], 0
	v_mov_b64_e32 v[16:17], 0
	s_mov_b64 s[14:15], 0
.LBB12_1255:                            ;   Parent Loop BB12_1229 Depth=1
                                        ; =>  This Inner Loop Header: Depth=2
	s_add_u32 s18, s0, s14
	s_addc_u32 s19, s1, s15
	global_load_ubyte v4, v33, s[18:19]
	s_add_u32 s14, s14, 1
	s_addc_u32 s15, s15, 0
	s_waitcnt vmcnt(0)
	v_and_b32_e32 v32, 0xffff, v4
	v_lshlrev_b64 v[4:5], s12, v[32:33]
	s_add_u32 s12, s12, 8
	s_addc_u32 s13, s13, 0
	v_or_b32_e32 v16, v4, v16
	s_cmp_lg_u32 s16, s14
	v_or_b32_e32 v17, v5, v17
	s_cbranch_scc1 .LBB12_1255
	s_branch .LBB12_1258
.LBB12_1256:                            ;   in Loop: Header=BB12_1229 Depth=1
                                        ; implicit-def: $vgpr16_vgpr17
                                        ; implicit-def: $sgpr17
	s_branch .LBB12_1259
.LBB12_1257:                            ;   in Loop: Header=BB12_1229 Depth=1
	v_mov_b64_e32 v[16:17], 0
.LBB12_1258:                            ;   in Loop: Header=BB12_1229 Depth=1
	s_mov_b32 s17, 0
	s_cbranch_execnz .LBB12_1260
.LBB12_1259:                            ;   in Loop: Header=BB12_1229 Depth=1
	global_load_dwordx2 v[16:17], v33, s[0:1]
	s_add_i32 s17, s16, -8
	s_add_u32 s0, s0, 8
	s_addc_u32 s1, s1, 0
.LBB12_1260:                            ;   in Loop: Header=BB12_1229 Depth=1
	s_cmp_gt_u32 s17, 7
	s_cbranch_scc1 .LBB12_1264
; %bb.1261:                             ;   in Loop: Header=BB12_1229 Depth=1
	s_cmp_eq_u32 s17, 0
	s_cbranch_scc1 .LBB12_1265
; %bb.1262:                             ;   in Loop: Header=BB12_1229 Depth=1
	s_mov_b64 s[12:13], 0
	v_mov_b64_e32 v[18:19], 0
	s_mov_b64 s[14:15], 0
.LBB12_1263:                            ;   Parent Loop BB12_1229 Depth=1
                                        ; =>  This Inner Loop Header: Depth=2
	s_add_u32 s18, s0, s14
	s_addc_u32 s19, s1, s15
	global_load_ubyte v4, v33, s[18:19]
	s_add_u32 s14, s14, 1
	s_addc_u32 s15, s15, 0
	s_waitcnt vmcnt(0)
	v_and_b32_e32 v32, 0xffff, v4
	v_lshlrev_b64 v[4:5], s12, v[32:33]
	s_add_u32 s12, s12, 8
	s_addc_u32 s13, s13, 0
	v_or_b32_e32 v18, v4, v18
	s_cmp_lg_u32 s17, s14
	v_or_b32_e32 v19, v5, v19
	s_cbranch_scc1 .LBB12_1263
	s_branch .LBB12_1266
.LBB12_1264:                            ;   in Loop: Header=BB12_1229 Depth=1
                                        ; implicit-def: $sgpr16
	s_branch .LBB12_1267
.LBB12_1265:                            ;   in Loop: Header=BB12_1229 Depth=1
	v_mov_b64_e32 v[18:19], 0
.LBB12_1266:                            ;   in Loop: Header=BB12_1229 Depth=1
	s_mov_b32 s16, 0
	s_cbranch_execnz .LBB12_1268
.LBB12_1267:                            ;   in Loop: Header=BB12_1229 Depth=1
	global_load_dwordx2 v[18:19], v33, s[0:1]
	s_add_i32 s16, s17, -8
	s_add_u32 s0, s0, 8
	s_addc_u32 s1, s1, 0
.LBB12_1268:                            ;   in Loop: Header=BB12_1229 Depth=1
	s_cmp_gt_u32 s16, 7
	s_cbranch_scc1 .LBB12_1272
; %bb.1269:                             ;   in Loop: Header=BB12_1229 Depth=1
	s_cmp_eq_u32 s16, 0
	s_cbranch_scc1 .LBB12_1273
; %bb.1270:                             ;   in Loop: Header=BB12_1229 Depth=1
	s_mov_b64 s[12:13], 0
	v_mov_b64_e32 v[20:21], 0
	s_mov_b64 s[14:15], 0
.LBB12_1271:                            ;   Parent Loop BB12_1229 Depth=1
                                        ; =>  This Inner Loop Header: Depth=2
	s_add_u32 s18, s0, s14
	s_addc_u32 s19, s1, s15
	global_load_ubyte v4, v33, s[18:19]
	s_add_u32 s14, s14, 1
	s_addc_u32 s15, s15, 0
	s_waitcnt vmcnt(0)
	v_and_b32_e32 v32, 0xffff, v4
	v_lshlrev_b64 v[4:5], s12, v[32:33]
	s_add_u32 s12, s12, 8
	s_addc_u32 s13, s13, 0
	v_or_b32_e32 v20, v4, v20
	s_cmp_lg_u32 s16, s14
	v_or_b32_e32 v21, v5, v21
	s_cbranch_scc1 .LBB12_1271
	s_branch .LBB12_1274
.LBB12_1272:                            ;   in Loop: Header=BB12_1229 Depth=1
                                        ; implicit-def: $vgpr20_vgpr21
                                        ; implicit-def: $sgpr17
	s_branch .LBB12_1275
.LBB12_1273:                            ;   in Loop: Header=BB12_1229 Depth=1
	v_mov_b64_e32 v[20:21], 0
.LBB12_1274:                            ;   in Loop: Header=BB12_1229 Depth=1
	s_mov_b32 s17, 0
	s_cbranch_execnz .LBB12_1276
.LBB12_1275:                            ;   in Loop: Header=BB12_1229 Depth=1
	global_load_dwordx2 v[20:21], v33, s[0:1]
	s_add_i32 s17, s16, -8
	s_add_u32 s0, s0, 8
	s_addc_u32 s1, s1, 0
.LBB12_1276:                            ;   in Loop: Header=BB12_1229 Depth=1
	s_cmp_gt_u32 s17, 7
	s_cbranch_scc1 .LBB12_1280
; %bb.1277:                             ;   in Loop: Header=BB12_1229 Depth=1
	s_cmp_eq_u32 s17, 0
	s_cbranch_scc1 .LBB12_1281
; %bb.1278:                             ;   in Loop: Header=BB12_1229 Depth=1
	s_mov_b64 s[12:13], 0
	v_mov_b64_e32 v[22:23], 0
	s_mov_b64 s[14:15], s[0:1]
.LBB12_1279:                            ;   Parent Loop BB12_1229 Depth=1
                                        ; =>  This Inner Loop Header: Depth=2
	global_load_ubyte v4, v33, s[14:15]
	s_add_i32 s17, s17, -1
	s_waitcnt vmcnt(0)
	v_and_b32_e32 v32, 0xffff, v4
	v_lshlrev_b64 v[4:5], s12, v[32:33]
	s_add_u32 s12, s12, 8
	s_addc_u32 s13, s13, 0
	s_add_u32 s14, s14, 1
	s_addc_u32 s15, s15, 0
	v_or_b32_e32 v22, v4, v22
	s_cmp_lg_u32 s17, 0
	v_or_b32_e32 v23, v5, v23
	s_cbranch_scc1 .LBB12_1279
	s_branch .LBB12_1282
.LBB12_1280:                            ;   in Loop: Header=BB12_1229 Depth=1
	s_branch .LBB12_1283
.LBB12_1281:                            ;   in Loop: Header=BB12_1229 Depth=1
	v_mov_b64_e32 v[22:23], 0
.LBB12_1282:                            ;   in Loop: Header=BB12_1229 Depth=1
	s_cbranch_execnz .LBB12_1284
.LBB12_1283:                            ;   in Loop: Header=BB12_1229 Depth=1
	global_load_dwordx2 v[22:23], v33, s[0:1]
.LBB12_1284:                            ;   in Loop: Header=BB12_1229 Depth=1
	v_readfirstlane_b32 s0, v36
	s_waitcnt vmcnt(0)
	v_mov_b64_e32 v[4:5], 0
	v_cmp_eq_u32_e64 s[0:1], s0, v36
	s_and_saveexec_b64 s[12:13], s[0:1]
	s_cbranch_execz .LBB12_1290
; %bb.1285:                             ;   in Loop: Header=BB12_1229 Depth=1
	global_load_dwordx2 v[26:27], v33, s[2:3] offset:24 sc0 sc1
	s_waitcnt vmcnt(0)
	buffer_inv sc0 sc1
	global_load_dwordx2 v[4:5], v33, s[2:3] offset:40
	global_load_dwordx2 v[8:9], v33, s[2:3]
	s_waitcnt vmcnt(1)
	v_and_b32_e32 v4, v4, v26
	v_and_b32_e32 v5, v5, v27
	v_mul_lo_u32 v5, v5, 24
	v_mul_hi_u32 v24, v4, 24
	v_add_u32_e32 v5, v24, v5
	v_mul_lo_u32 v4, v4, 24
	s_waitcnt vmcnt(0)
	v_lshl_add_u64 v[4:5], v[8:9], 0, v[4:5]
	global_load_dwordx2 v[24:25], v[4:5], off sc0 sc1
	s_waitcnt vmcnt(0)
	global_atomic_cmpswap_x2 v[4:5], v33, v[24:27], s[2:3] offset:24 sc0 sc1
	s_waitcnt vmcnt(0)
	buffer_inv sc0 sc1
	v_cmp_ne_u64_e32 vcc, v[4:5], v[26:27]
	s_and_saveexec_b64 s[14:15], vcc
	s_cbranch_execz .LBB12_1289
; %bb.1286:                             ;   in Loop: Header=BB12_1229 Depth=1
	s_mov_b64 s[16:17], 0
.LBB12_1287:                            ;   Parent Loop BB12_1229 Depth=1
                                        ; =>  This Inner Loop Header: Depth=2
	s_sleep 1
	global_load_dwordx2 v[8:9], v33, s[2:3] offset:40
	global_load_dwordx2 v[24:25], v33, s[2:3]
	v_mov_b64_e32 v[26:27], v[4:5]
	s_waitcnt vmcnt(1)
	v_and_b32_e32 v4, v8, v26
	s_waitcnt vmcnt(0)
	v_mad_u64_u32 v[4:5], s[18:19], v4, 24, v[24:25]
	v_and_b32_e32 v9, v9, v27
	v_mov_b32_e32 v8, v5
	v_mad_u64_u32 v[8:9], s[18:19], v9, 24, v[8:9]
	v_mov_b32_e32 v5, v8
	global_load_dwordx2 v[24:25], v[4:5], off sc0 sc1
	s_waitcnt vmcnt(0)
	global_atomic_cmpswap_x2 v[4:5], v33, v[24:27], s[2:3] offset:24 sc0 sc1
	s_waitcnt vmcnt(0)
	buffer_inv sc0 sc1
	v_cmp_eq_u64_e32 vcc, v[4:5], v[26:27]
	s_or_b64 s[16:17], vcc, s[16:17]
	s_andn2_b64 exec, exec, s[16:17]
	s_cbranch_execnz .LBB12_1287
; %bb.1288:                             ;   in Loop: Header=BB12_1229 Depth=1
	s_or_b64 exec, exec, s[16:17]
.LBB12_1289:                            ;   in Loop: Header=BB12_1229 Depth=1
	s_or_b64 exec, exec, s[14:15]
.LBB12_1290:                            ;   in Loop: Header=BB12_1229 Depth=1
	s_or_b64 exec, exec, s[12:13]
	global_load_dwordx2 v[8:9], v33, s[2:3] offset:40
	global_load_dwordx4 v[24:27], v33, s[2:3]
	v_readfirstlane_b32 s12, v4
	v_readfirstlane_b32 s13, v5
	s_mov_b64 s[14:15], exec
	s_waitcnt vmcnt(1)
	v_readfirstlane_b32 s16, v8
	v_readfirstlane_b32 s17, v9
	s_and_b64 s[16:17], s[12:13], s[16:17]
	s_mul_i32 s18, s17, 24
	s_mul_hi_u32 s19, s16, 24
	s_add_i32 s19, s19, s18
	s_mul_i32 s18, s16, 24
	s_waitcnt vmcnt(0)
	v_lshl_add_u64 v[34:35], v[24:25], 0, s[18:19]
	s_and_saveexec_b64 s[18:19], s[0:1]
	s_cbranch_execz .LBB12_1292
; %bb.1291:                             ;   in Loop: Header=BB12_1229 Depth=1
	v_mov_b64_e32 v[4:5], s[14:15]
	global_store_dwordx4 v[34:35], v[4:7], off offset:8
.LBB12_1292:                            ;   in Loop: Header=BB12_1229 Depth=1
	s_or_b64 exec, exec, s[18:19]
	s_lshl_b64 s[14:15], s[16:17], 12
	v_lshl_add_u64 v[26:27], v[26:27], 0, s[14:15]
	v_or_b32_e32 v5, v2, v30
	v_cmp_gt_u64_e64 vcc, s[8:9], 56
	s_lshl_b32 s14, s10, 2
	s_add_i32 s14, s14, 28
	v_cndmask_b32_e32 v2, v5, v2, vcc
	v_or_b32_e32 v4, 0, v3
	s_and_b32 s14, s14, 0x1e0
	v_and_b32_e32 v2, 0xffffff1f, v2
	v_cndmask_b32_e32 v9, v4, v3, vcc
	v_or_b32_e32 v8, s14, v2
	v_readfirstlane_b32 s14, v26
	v_readfirstlane_b32 s15, v27
	s_nop 4
	global_store_dwordx4 v28, v[8:11], s[14:15]
	global_store_dwordx4 v28, v[12:15], s[14:15] offset:16
	global_store_dwordx4 v28, v[16:19], s[14:15] offset:32
	;; [unrolled: 1-line block ×3, first 2 shown]
	s_and_saveexec_b64 s[14:15], s[0:1]
	s_cbranch_execz .LBB12_1300
; %bb.1293:                             ;   in Loop: Header=BB12_1229 Depth=1
	global_load_dwordx2 v[12:13], v33, s[2:3] offset:32 sc0 sc1
	global_load_dwordx2 v[2:3], v33, s[2:3] offset:40
	v_mov_b32_e32 v10, s12
	v_mov_b32_e32 v11, s13
	s_waitcnt vmcnt(0)
	v_readfirstlane_b32 s16, v2
	v_readfirstlane_b32 s17, v3
	s_and_b64 s[16:17], s[16:17], s[12:13]
	s_mul_i32 s17, s17, 24
	s_mul_hi_u32 s18, s16, 24
	s_mul_i32 s16, s16, 24
	s_add_i32 s17, s18, s17
	v_lshl_add_u64 v[8:9], v[24:25], 0, s[16:17]
	global_store_dwordx2 v[8:9], v[12:13], off
	buffer_wbl2 sc0 sc1
	s_waitcnt vmcnt(0)
	global_atomic_cmpswap_x2 v[4:5], v33, v[10:13], s[2:3] offset:32 sc0 sc1
	s_waitcnt vmcnt(0)
	v_cmp_ne_u64_e32 vcc, v[4:5], v[12:13]
	s_and_saveexec_b64 s[16:17], vcc
	s_cbranch_execz .LBB12_1296
; %bb.1294:                             ;   in Loop: Header=BB12_1229 Depth=1
	s_mov_b64 s[18:19], 0
.LBB12_1295:                            ;   Parent Loop BB12_1229 Depth=1
                                        ; =>  This Inner Loop Header: Depth=2
	s_sleep 1
	global_store_dwordx2 v[8:9], v[4:5], off
	v_mov_b32_e32 v2, s12
	v_mov_b32_e32 v3, s13
	buffer_wbl2 sc0 sc1
	s_waitcnt vmcnt(0)
	global_atomic_cmpswap_x2 v[2:3], v33, v[2:5], s[2:3] offset:32 sc0 sc1
	s_waitcnt vmcnt(0)
	v_cmp_eq_u64_e32 vcc, v[2:3], v[4:5]
	s_or_b64 s[18:19], vcc, s[18:19]
	v_mov_b64_e32 v[4:5], v[2:3]
	s_andn2_b64 exec, exec, s[18:19]
	s_cbranch_execnz .LBB12_1295
.LBB12_1296:                            ;   in Loop: Header=BB12_1229 Depth=1
	s_or_b64 exec, exec, s[16:17]
	global_load_dwordx2 v[2:3], v33, s[2:3] offset:16
	s_mov_b64 s[18:19], exec
	v_mbcnt_lo_u32_b32 v4, s18, 0
	v_mbcnt_hi_u32_b32 v4, s19, v4
	v_cmp_eq_u32_e32 vcc, 0, v4
	s_and_saveexec_b64 s[16:17], vcc
	s_cbranch_execz .LBB12_1298
; %bb.1297:                             ;   in Loop: Header=BB12_1229 Depth=1
	s_bcnt1_i32_b64 s18, s[18:19]
	v_mov_b32_e32 v32, s18
	buffer_wbl2 sc0 sc1
	s_waitcnt vmcnt(0)
	global_atomic_add_x2 v[2:3], v[32:33], off offset:8 sc1
.LBB12_1298:                            ;   in Loop: Header=BB12_1229 Depth=1
	s_or_b64 exec, exec, s[16:17]
	s_waitcnt vmcnt(0)
	global_load_dwordx2 v[4:5], v[2:3], off offset:16
	s_waitcnt vmcnt(0)
	v_cmp_eq_u64_e32 vcc, 0, v[4:5]
	s_cbranch_vccnz .LBB12_1300
; %bb.1299:                             ;   in Loop: Header=BB12_1229 Depth=1
	global_load_dword v32, v[2:3], off offset:24
	s_waitcnt vmcnt(0)
	v_and_b32_e32 v2, 0xffffff, v32
	s_nop 0
	v_readfirstlane_b32 m0, v2
	buffer_wbl2 sc0 sc1
	global_store_dwordx2 v[4:5], v[32:33], off sc0 sc1
	s_sendmsg sendmsg(MSG_INTERRUPT)
.LBB12_1300:                            ;   in Loop: Header=BB12_1229 Depth=1
	s_or_b64 exec, exec, s[14:15]
	v_mov_b32_e32 v29, v33
	v_lshl_add_u64 v[2:3], v[26:27], 0, v[28:29]
	s_branch .LBB12_1304
.LBB12_1301:                            ;   in Loop: Header=BB12_1304 Depth=2
	s_or_b64 exec, exec, s[14:15]
	v_readfirstlane_b32 s14, v4
	s_cmp_eq_u32 s14, 0
	s_cbranch_scc1 .LBB12_1303
; %bb.1302:                             ;   in Loop: Header=BB12_1304 Depth=2
	s_sleep 1
	s_cbranch_execnz .LBB12_1304
	s_branch .LBB12_1306
.LBB12_1303:                            ;   in Loop: Header=BB12_1229 Depth=1
	s_branch .LBB12_1306
.LBB12_1304:                            ;   Parent Loop BB12_1229 Depth=1
                                        ; =>  This Inner Loop Header: Depth=2
	v_mov_b32_e32 v4, 1
	s_and_saveexec_b64 s[14:15], s[0:1]
	s_cbranch_execz .LBB12_1301
; %bb.1305:                             ;   in Loop: Header=BB12_1304 Depth=2
	global_load_dword v4, v[34:35], off offset:20 sc0 sc1
	s_waitcnt vmcnt(0)
	buffer_inv sc0 sc1
	v_and_b32_e32 v4, 1, v4
	s_branch .LBB12_1301
.LBB12_1306:                            ;   in Loop: Header=BB12_1229 Depth=1
	global_load_dwordx4 v[2:5], v[2:3], off
	s_and_saveexec_b64 s[14:15], s[0:1]
	s_cbranch_execz .LBB12_1228
; %bb.1307:                             ;   in Loop: Header=BB12_1229 Depth=1
	global_load_dwordx2 v[4:5], v33, s[2:3] offset:40
	global_load_dwordx2 v[12:13], v33, s[2:3] offset:24 sc0 sc1
	global_load_dwordx2 v[14:15], v33, s[2:3]
	s_waitcnt vmcnt(2)
	v_lshl_add_u64 v[8:9], v[4:5], 0, 1
	v_lshl_add_u64 v[16:17], v[8:9], 0, s[12:13]
	v_cmp_eq_u64_e32 vcc, 0, v[16:17]
	s_waitcnt vmcnt(1)
	v_mov_b32_e32 v10, v12
	v_cndmask_b32_e32 v9, v17, v9, vcc
	v_cndmask_b32_e32 v8, v16, v8, vcc
	v_and_b32_e32 v5, v9, v5
	v_and_b32_e32 v4, v8, v4
	v_mul_lo_u32 v5, v5, 24
	v_mul_hi_u32 v11, v4, 24
	v_mul_lo_u32 v4, v4, 24
	v_add_u32_e32 v5, v11, v5
	s_waitcnt vmcnt(0)
	v_lshl_add_u64 v[4:5], v[14:15], 0, v[4:5]
	global_store_dwordx2 v[4:5], v[12:13], off
	v_mov_b32_e32 v11, v13
	buffer_wbl2 sc0 sc1
	s_waitcnt vmcnt(0)
	global_atomic_cmpswap_x2 v[10:11], v33, v[8:11], s[2:3] offset:24 sc0 sc1
	s_waitcnt vmcnt(0)
	v_cmp_ne_u64_e32 vcc, v[10:11], v[12:13]
	s_and_b64 exec, exec, vcc
	s_cbranch_execz .LBB12_1228
; %bb.1308:                             ;   in Loop: Header=BB12_1229 Depth=1
	s_mov_b64 s[0:1], 0
.LBB12_1309:                            ;   Parent Loop BB12_1229 Depth=1
                                        ; =>  This Inner Loop Header: Depth=2
	s_sleep 1
	global_store_dwordx2 v[4:5], v[10:11], off
	buffer_wbl2 sc0 sc1
	s_waitcnt vmcnt(0)
	global_atomic_cmpswap_x2 v[12:13], v33, v[8:11], s[2:3] offset:24 sc0 sc1
	s_waitcnt vmcnt(0)
	v_cmp_eq_u64_e32 vcc, v[12:13], v[10:11]
	s_or_b64 s[0:1], vcc, s[0:1]
	v_mov_b64_e32 v[10:11], v[12:13]
	s_andn2_b64 exec, exec, s[0:1]
	s_cbranch_execnz .LBB12_1309
	s_branch .LBB12_1228
.LBB12_1310:
	s_mov_b64 s[0:1], 0
	s_branch .LBB12_1312
.LBB12_1311:
	s_mov_b64 s[0:1], -1
                                        ; implicit-def: $vgpr2_vgpr3
.LBB12_1312:
	s_and_b64 vcc, exec, s[0:1]
	s_cbranch_vccz .LBB12_1339
; %bb.1313:
	v_readfirstlane_b32 s0, v36
	s_waitcnt vmcnt(0)
	v_mov_b64_e32 v[2:3], 0
	v_cmp_eq_u32_e64 s[0:1], s0, v36
	s_and_saveexec_b64 s[6:7], s[0:1]
	s_cbranch_execz .LBB12_1319
; %bb.1314:
	v_mov_b32_e32 v4, 0
	global_load_dwordx2 v[8:9], v4, s[2:3] offset:24 sc0 sc1
	s_waitcnt vmcnt(0)
	buffer_inv sc0 sc1
	global_load_dwordx2 v[2:3], v4, s[2:3] offset:40
	global_load_dwordx2 v[6:7], v4, s[2:3]
	s_waitcnt vmcnt(1)
	v_and_b32_e32 v2, v2, v8
	v_and_b32_e32 v3, v3, v9
	v_mul_lo_u32 v3, v3, 24
	v_mul_hi_u32 v5, v2, 24
	v_add_u32_e32 v3, v5, v3
	v_mul_lo_u32 v2, v2, 24
	s_waitcnt vmcnt(0)
	v_lshl_add_u64 v[2:3], v[6:7], 0, v[2:3]
	global_load_dwordx2 v[6:7], v[2:3], off sc0 sc1
	s_waitcnt vmcnt(0)
	global_atomic_cmpswap_x2 v[2:3], v4, v[6:9], s[2:3] offset:24 sc0 sc1
	s_waitcnt vmcnt(0)
	buffer_inv sc0 sc1
	v_cmp_ne_u64_e32 vcc, v[2:3], v[8:9]
	s_and_saveexec_b64 s[8:9], vcc
	s_cbranch_execz .LBB12_1318
; %bb.1315:
	s_mov_b64 s[10:11], 0
.LBB12_1316:                            ; =>This Inner Loop Header: Depth=1
	s_sleep 1
	global_load_dwordx2 v[6:7], v4, s[2:3] offset:40
	global_load_dwordx2 v[10:11], v4, s[2:3]
	v_mov_b64_e32 v[8:9], v[2:3]
	s_waitcnt vmcnt(1)
	v_and_b32_e32 v2, v6, v8
	s_waitcnt vmcnt(0)
	v_mad_u64_u32 v[2:3], s[12:13], v2, 24, v[10:11]
	v_and_b32_e32 v5, v7, v9
	v_mov_b32_e32 v6, v3
	v_mad_u64_u32 v[6:7], s[12:13], v5, 24, v[6:7]
	v_mov_b32_e32 v3, v6
	global_load_dwordx2 v[6:7], v[2:3], off sc0 sc1
	s_waitcnt vmcnt(0)
	global_atomic_cmpswap_x2 v[2:3], v4, v[6:9], s[2:3] offset:24 sc0 sc1
	s_waitcnt vmcnt(0)
	buffer_inv sc0 sc1
	v_cmp_eq_u64_e32 vcc, v[2:3], v[8:9]
	s_or_b64 s[10:11], vcc, s[10:11]
	s_andn2_b64 exec, exec, s[10:11]
	s_cbranch_execnz .LBB12_1316
; %bb.1317:
	s_or_b64 exec, exec, s[10:11]
.LBB12_1318:
	s_or_b64 exec, exec, s[8:9]
.LBB12_1319:
	s_or_b64 exec, exec, s[6:7]
	v_mov_b32_e32 v29, 0
	global_load_dwordx2 v[8:9], v29, s[2:3] offset:40
	global_load_dwordx4 v[4:7], v29, s[2:3]
	v_readfirstlane_b32 s6, v2
	v_readfirstlane_b32 s7, v3
	s_mov_b64 s[8:9], exec
	s_waitcnt vmcnt(1)
	v_readfirstlane_b32 s10, v8
	v_readfirstlane_b32 s11, v9
	s_and_b64 s[10:11], s[6:7], s[10:11]
	s_mul_i32 s12, s11, 24
	s_mul_hi_u32 s13, s10, 24
	s_add_i32 s13, s13, s12
	s_mul_i32 s12, s10, 24
	s_waitcnt vmcnt(0)
	v_lshl_add_u64 v[8:9], v[4:5], 0, s[12:13]
	s_and_saveexec_b64 s[12:13], s[0:1]
	s_cbranch_execz .LBB12_1321
; %bb.1320:
	v_mov_b64_e32 v[10:11], s[8:9]
	v_mov_b32_e32 v12, 2
	v_mov_b32_e32 v13, 1
	global_store_dwordx4 v[8:9], v[10:13], off offset:8
.LBB12_1321:
	s_or_b64 exec, exec, s[12:13]
	s_lshl_b64 s[8:9], s[10:11], 12
	v_lshl_add_u64 v[6:7], v[6:7], 0, s[8:9]
	s_movk_i32 s8, 0xff1f
	v_and_or_b32 v0, v0, s8, 32
	s_mov_b32 s8, 0
	v_mov_b32_e32 v2, v29
	v_mov_b32_e32 v3, v29
	v_readfirstlane_b32 s12, v6
	v_readfirstlane_b32 s13, v7
	s_mov_b32 s9, s8
	s_mov_b32 s10, s8
	;; [unrolled: 1-line block ×3, first 2 shown]
	s_nop 1
	global_store_dwordx4 v28, v[0:3], s[12:13]
	s_nop 1
	v_mov_b64_e32 v[0:1], s[8:9]
	v_mov_b64_e32 v[2:3], s[10:11]
	global_store_dwordx4 v28, v[0:3], s[12:13] offset:16
	global_store_dwordx4 v28, v[0:3], s[12:13] offset:32
	;; [unrolled: 1-line block ×3, first 2 shown]
	s_and_saveexec_b64 s[8:9], s[0:1]
	s_cbranch_execz .LBB12_1329
; %bb.1322:
	v_mov_b32_e32 v10, 0
	global_load_dwordx2 v[14:15], v10, s[2:3] offset:32 sc0 sc1
	global_load_dwordx2 v[0:1], v10, s[2:3] offset:40
	v_mov_b32_e32 v12, s6
	v_mov_b32_e32 v13, s7
	s_waitcnt vmcnt(0)
	v_readfirstlane_b32 s10, v0
	v_readfirstlane_b32 s11, v1
	s_and_b64 s[10:11], s[10:11], s[6:7]
	s_mul_i32 s11, s11, 24
	s_mul_hi_u32 s12, s10, 24
	s_mul_i32 s10, s10, 24
	s_add_i32 s11, s12, s11
	v_lshl_add_u64 v[4:5], v[4:5], 0, s[10:11]
	global_store_dwordx2 v[4:5], v[14:15], off
	buffer_wbl2 sc0 sc1
	s_waitcnt vmcnt(0)
	global_atomic_cmpswap_x2 v[2:3], v10, v[12:15], s[2:3] offset:32 sc0 sc1
	s_waitcnt vmcnt(0)
	v_cmp_ne_u64_e32 vcc, v[2:3], v[14:15]
	s_and_saveexec_b64 s[10:11], vcc
	s_cbranch_execz .LBB12_1325
; %bb.1323:
	s_mov_b64 s[12:13], 0
.LBB12_1324:                            ; =>This Inner Loop Header: Depth=1
	s_sleep 1
	global_store_dwordx2 v[4:5], v[2:3], off
	v_mov_b32_e32 v0, s6
	v_mov_b32_e32 v1, s7
	buffer_wbl2 sc0 sc1
	s_waitcnt vmcnt(0)
	global_atomic_cmpswap_x2 v[0:1], v10, v[0:3], s[2:3] offset:32 sc0 sc1
	s_waitcnt vmcnt(0)
	v_cmp_eq_u64_e32 vcc, v[0:1], v[2:3]
	s_or_b64 s[12:13], vcc, s[12:13]
	v_mov_b64_e32 v[2:3], v[0:1]
	s_andn2_b64 exec, exec, s[12:13]
	s_cbranch_execnz .LBB12_1324
.LBB12_1325:
	s_or_b64 exec, exec, s[10:11]
	v_mov_b32_e32 v3, 0
	global_load_dwordx2 v[0:1], v3, s[2:3] offset:16
	s_mov_b64 s[10:11], exec
	v_mbcnt_lo_u32_b32 v2, s10, 0
	v_mbcnt_hi_u32_b32 v2, s11, v2
	v_cmp_eq_u32_e32 vcc, 0, v2
	s_and_saveexec_b64 s[12:13], vcc
	s_cbranch_execz .LBB12_1327
; %bb.1326:
	s_bcnt1_i32_b64 s10, s[10:11]
	v_mov_b32_e32 v2, s10
	buffer_wbl2 sc0 sc1
	s_waitcnt vmcnt(0)
	global_atomic_add_x2 v[0:1], v[2:3], off offset:8 sc1
.LBB12_1327:
	s_or_b64 exec, exec, s[12:13]
	s_waitcnt vmcnt(0)
	global_load_dwordx2 v[2:3], v[0:1], off offset:16
	s_waitcnt vmcnt(0)
	v_cmp_eq_u64_e32 vcc, 0, v[2:3]
	s_cbranch_vccnz .LBB12_1329
; %bb.1328:
	global_load_dword v0, v[0:1], off offset:24
	v_mov_b32_e32 v1, 0
	buffer_wbl2 sc0 sc1
	s_waitcnt vmcnt(0)
	global_store_dwordx2 v[2:3], v[0:1], off sc0 sc1
	v_and_b32_e32 v0, 0xffffff, v0
	s_nop 0
	v_readfirstlane_b32 m0, v0
	s_sendmsg sendmsg(MSG_INTERRUPT)
.LBB12_1329:
	s_or_b64 exec, exec, s[8:9]
	v_lshl_add_u64 v[0:1], v[6:7], 0, v[28:29]
	s_branch .LBB12_1333
.LBB12_1330:                            ;   in Loop: Header=BB12_1333 Depth=1
	s_or_b64 exec, exec, s[8:9]
	v_readfirstlane_b32 s8, v2
	s_cmp_eq_u32 s8, 0
	s_cbranch_scc1 .LBB12_1332
; %bb.1331:                             ;   in Loop: Header=BB12_1333 Depth=1
	s_sleep 1
	s_cbranch_execnz .LBB12_1333
	s_branch .LBB12_1335
.LBB12_1332:
	s_branch .LBB12_1335
.LBB12_1333:                            ; =>This Inner Loop Header: Depth=1
	v_mov_b32_e32 v2, 1
	s_and_saveexec_b64 s[8:9], s[0:1]
	s_cbranch_execz .LBB12_1330
; %bb.1334:                             ;   in Loop: Header=BB12_1333 Depth=1
	global_load_dword v2, v[8:9], off offset:20 sc0 sc1
	s_waitcnt vmcnt(0)
	buffer_inv sc0 sc1
	v_and_b32_e32 v2, 1, v2
	s_branch .LBB12_1330
.LBB12_1335:
	global_load_dwordx2 v[2:3], v[0:1], off
	s_and_saveexec_b64 s[8:9], s[0:1]
	s_cbranch_execz .LBB12_1338
; %bb.1336:
	v_mov_b32_e32 v8, 0
	global_load_dwordx2 v[0:1], v8, s[2:3] offset:40
	global_load_dwordx2 v[10:11], v8, s[2:3] offset:24 sc0 sc1
	global_load_dwordx2 v[12:13], v8, s[2:3]
	s_mov_b64 s[0:1], 0
	s_waitcnt vmcnt(2)
	v_lshl_add_u64 v[4:5], v[0:1], 0, 1
	v_lshl_add_u64 v[14:15], v[4:5], 0, s[6:7]
	v_cmp_eq_u64_e32 vcc, 0, v[14:15]
	s_waitcnt vmcnt(1)
	v_mov_b32_e32 v6, v10
	v_cndmask_b32_e32 v5, v15, v5, vcc
	v_cndmask_b32_e32 v4, v14, v4, vcc
	v_and_b32_e32 v1, v5, v1
	v_and_b32_e32 v0, v4, v0
	v_mul_lo_u32 v1, v1, 24
	v_mul_hi_u32 v7, v0, 24
	v_mul_lo_u32 v0, v0, 24
	v_add_u32_e32 v1, v7, v1
	s_waitcnt vmcnt(0)
	v_lshl_add_u64 v[0:1], v[12:13], 0, v[0:1]
	global_store_dwordx2 v[0:1], v[10:11], off
	v_mov_b32_e32 v7, v11
	buffer_wbl2 sc0 sc1
	s_waitcnt vmcnt(0)
	global_atomic_cmpswap_x2 v[6:7], v8, v[4:7], s[2:3] offset:24 sc0 sc1
	s_waitcnt vmcnt(0)
	v_cmp_ne_u64_e32 vcc, v[6:7], v[10:11]
	s_and_b64 exec, exec, vcc
	s_cbranch_execz .LBB12_1338
.LBB12_1337:                            ; =>This Inner Loop Header: Depth=1
	s_sleep 1
	global_store_dwordx2 v[0:1], v[6:7], off
	buffer_wbl2 sc0 sc1
	s_waitcnt vmcnt(0)
	global_atomic_cmpswap_x2 v[10:11], v8, v[4:7], s[2:3] offset:24 sc0 sc1
	s_waitcnt vmcnt(0)
	v_cmp_eq_u64_e32 vcc, v[10:11], v[6:7]
	s_or_b64 s[0:1], vcc, s[0:1]
	v_mov_b64_e32 v[6:7], v[10:11]
	s_andn2_b64 exec, exec, s[0:1]
	s_cbranch_execnz .LBB12_1337
.LBB12_1338:
	s_or_b64 exec, exec, s[8:9]
.LBB12_1339:
	v_readfirstlane_b32 s0, v36
	s_waitcnt vmcnt(0)
	v_mov_b64_e32 v[0:1], 0
	v_cmp_eq_u32_e64 s[0:1], s0, v36
	s_and_saveexec_b64 s[6:7], s[0:1]
	s_cbranch_execz .LBB12_1345
; %bb.1340:
	v_mov_b32_e32 v4, 0
	global_load_dwordx2 v[8:9], v4, s[2:3] offset:24 sc0 sc1
	s_waitcnt vmcnt(0)
	buffer_inv sc0 sc1
	global_load_dwordx2 v[0:1], v4, s[2:3] offset:40
	global_load_dwordx2 v[6:7], v4, s[2:3]
	s_waitcnt vmcnt(1)
	v_and_b32_e32 v0, v0, v8
	v_and_b32_e32 v1, v1, v9
	v_mul_lo_u32 v1, v1, 24
	v_mul_hi_u32 v5, v0, 24
	v_add_u32_e32 v1, v5, v1
	v_mul_lo_u32 v0, v0, 24
	s_waitcnt vmcnt(0)
	v_lshl_add_u64 v[0:1], v[6:7], 0, v[0:1]
	global_load_dwordx2 v[6:7], v[0:1], off sc0 sc1
	s_waitcnt vmcnt(0)
	global_atomic_cmpswap_x2 v[0:1], v4, v[6:9], s[2:3] offset:24 sc0 sc1
	s_waitcnt vmcnt(0)
	buffer_inv sc0 sc1
	v_cmp_ne_u64_e32 vcc, v[0:1], v[8:9]
	s_and_saveexec_b64 s[8:9], vcc
	s_cbranch_execz .LBB12_1344
; %bb.1341:
	s_mov_b64 s[10:11], 0
.LBB12_1342:                            ; =>This Inner Loop Header: Depth=1
	s_sleep 1
	global_load_dwordx2 v[6:7], v4, s[2:3] offset:40
	global_load_dwordx2 v[10:11], v4, s[2:3]
	v_mov_b64_e32 v[8:9], v[0:1]
	s_waitcnt vmcnt(1)
	v_and_b32_e32 v0, v6, v8
	s_waitcnt vmcnt(0)
	v_mad_u64_u32 v[0:1], s[12:13], v0, 24, v[10:11]
	v_and_b32_e32 v5, v7, v9
	v_mov_b32_e32 v6, v1
	v_mad_u64_u32 v[6:7], s[12:13], v5, 24, v[6:7]
	v_mov_b32_e32 v1, v6
	global_load_dwordx2 v[6:7], v[0:1], off sc0 sc1
	s_waitcnt vmcnt(0)
	global_atomic_cmpswap_x2 v[0:1], v4, v[6:9], s[2:3] offset:24 sc0 sc1
	s_waitcnt vmcnt(0)
	buffer_inv sc0 sc1
	v_cmp_eq_u64_e32 vcc, v[0:1], v[8:9]
	s_or_b64 s[10:11], vcc, s[10:11]
	s_andn2_b64 exec, exec, s[10:11]
	s_cbranch_execnz .LBB12_1342
; %bb.1343:
	s_or_b64 exec, exec, s[10:11]
.LBB12_1344:
	s_or_b64 exec, exec, s[8:9]
.LBB12_1345:
	s_or_b64 exec, exec, s[6:7]
	v_mov_b32_e32 v5, 0
	global_load_dwordx2 v[10:11], v5, s[2:3] offset:40
	global_load_dwordx4 v[6:9], v5, s[2:3]
	v_readfirstlane_b32 s6, v0
	v_readfirstlane_b32 s7, v1
	s_mov_b64 s[8:9], exec
	s_waitcnt vmcnt(1)
	v_readfirstlane_b32 s10, v10
	v_readfirstlane_b32 s11, v11
	s_and_b64 s[10:11], s[6:7], s[10:11]
	s_mul_i32 s12, s11, 24
	s_mul_hi_u32 s13, s10, 24
	s_add_i32 s13, s13, s12
	s_mul_i32 s12, s10, 24
	s_waitcnt vmcnt(0)
	v_lshl_add_u64 v[10:11], v[6:7], 0, s[12:13]
	s_and_saveexec_b64 s[12:13], s[0:1]
	s_cbranch_execz .LBB12_1347
; %bb.1346:
	v_mov_b64_e32 v[12:13], s[8:9]
	v_mov_b32_e32 v14, 2
	v_mov_b32_e32 v15, 1
	global_store_dwordx4 v[10:11], v[12:15], off offset:8
.LBB12_1347:
	s_or_b64 exec, exec, s[12:13]
	s_lshl_b64 s[8:9], s[10:11], 12
	v_lshl_add_u64 v[0:1], v[8:9], 0, s[8:9]
	s_movk_i32 s8, 0xff1d
	v_and_or_b32 v2, v2, s8, 34
	s_mov_b32 s8, 0
	v_mov_b32_e32 v4, 10
	v_readfirstlane_b32 s12, v0
	v_readfirstlane_b32 s13, v1
	s_mov_b32 s9, s8
	s_mov_b32 s10, s8
	s_mov_b32 s11, s8
	s_nop 1
	global_store_dwordx4 v28, v[2:5], s[12:13]
	v_mov_b64_e32 v[0:1], s[8:9]
	s_nop 0
	v_mov_b64_e32 v[2:3], s[10:11]
	global_store_dwordx4 v28, v[0:3], s[12:13] offset:16
	global_store_dwordx4 v28, v[0:3], s[12:13] offset:32
	;; [unrolled: 1-line block ×3, first 2 shown]
	s_and_saveexec_b64 s[8:9], s[0:1]
	s_cbranch_execz .LBB12_1355
; %bb.1348:
	v_mov_b32_e32 v8, 0
	global_load_dwordx2 v[14:15], v8, s[2:3] offset:32 sc0 sc1
	global_load_dwordx2 v[0:1], v8, s[2:3] offset:40
	v_mov_b32_e32 v12, s6
	v_mov_b32_e32 v13, s7
	s_waitcnt vmcnt(0)
	v_readfirstlane_b32 s10, v0
	v_readfirstlane_b32 s11, v1
	s_and_b64 s[10:11], s[10:11], s[6:7]
	s_mul_i32 s11, s11, 24
	s_mul_hi_u32 s12, s10, 24
	s_mul_i32 s10, s10, 24
	s_add_i32 s11, s12, s11
	v_lshl_add_u64 v[4:5], v[6:7], 0, s[10:11]
	global_store_dwordx2 v[4:5], v[14:15], off
	buffer_wbl2 sc0 sc1
	s_waitcnt vmcnt(0)
	global_atomic_cmpswap_x2 v[2:3], v8, v[12:15], s[2:3] offset:32 sc0 sc1
	s_waitcnt vmcnt(0)
	v_cmp_ne_u64_e32 vcc, v[2:3], v[14:15]
	s_and_saveexec_b64 s[10:11], vcc
	s_cbranch_execz .LBB12_1351
; %bb.1349:
	s_mov_b64 s[12:13], 0
.LBB12_1350:                            ; =>This Inner Loop Header: Depth=1
	s_sleep 1
	global_store_dwordx2 v[4:5], v[2:3], off
	v_mov_b32_e32 v0, s6
	v_mov_b32_e32 v1, s7
	buffer_wbl2 sc0 sc1
	s_waitcnt vmcnt(0)
	global_atomic_cmpswap_x2 v[0:1], v8, v[0:3], s[2:3] offset:32 sc0 sc1
	s_waitcnt vmcnt(0)
	v_cmp_eq_u64_e32 vcc, v[0:1], v[2:3]
	s_or_b64 s[12:13], vcc, s[12:13]
	v_mov_b64_e32 v[2:3], v[0:1]
	s_andn2_b64 exec, exec, s[12:13]
	s_cbranch_execnz .LBB12_1350
.LBB12_1351:
	s_or_b64 exec, exec, s[10:11]
	v_mov_b32_e32 v3, 0
	global_load_dwordx2 v[0:1], v3, s[2:3] offset:16
	s_mov_b64 s[10:11], exec
	v_mbcnt_lo_u32_b32 v2, s10, 0
	v_mbcnt_hi_u32_b32 v2, s11, v2
	v_cmp_eq_u32_e32 vcc, 0, v2
	s_and_saveexec_b64 s[12:13], vcc
	s_cbranch_execz .LBB12_1353
; %bb.1352:
	s_bcnt1_i32_b64 s10, s[10:11]
	v_mov_b32_e32 v2, s10
	buffer_wbl2 sc0 sc1
	s_waitcnt vmcnt(0)
	global_atomic_add_x2 v[0:1], v[2:3], off offset:8 sc1
.LBB12_1353:
	s_or_b64 exec, exec, s[12:13]
	s_waitcnt vmcnt(0)
	global_load_dwordx2 v[2:3], v[0:1], off offset:16
	s_waitcnt vmcnt(0)
	v_cmp_eq_u64_e32 vcc, 0, v[2:3]
	s_cbranch_vccnz .LBB12_1355
; %bb.1354:
	global_load_dword v0, v[0:1], off offset:24
	v_mov_b32_e32 v1, 0
	buffer_wbl2 sc0 sc1
	s_waitcnt vmcnt(0)
	global_store_dwordx2 v[2:3], v[0:1], off sc0 sc1
	v_and_b32_e32 v0, 0xffffff, v0
	s_nop 0
	v_readfirstlane_b32 m0, v0
	s_sendmsg sendmsg(MSG_INTERRUPT)
.LBB12_1355:
	s_or_b64 exec, exec, s[8:9]
	s_branch .LBB12_1359
.LBB12_1356:                            ;   in Loop: Header=BB12_1359 Depth=1
	s_or_b64 exec, exec, s[8:9]
	v_readfirstlane_b32 s8, v0
	s_cmp_eq_u32 s8, 0
	s_cbranch_scc1 .LBB12_1358
; %bb.1357:                             ;   in Loop: Header=BB12_1359 Depth=1
	s_sleep 1
	s_cbranch_execnz .LBB12_1359
	s_branch .LBB12_1361
.LBB12_1358:
	s_branch .LBB12_1361
.LBB12_1359:                            ; =>This Inner Loop Header: Depth=1
	v_mov_b32_e32 v0, 1
	s_and_saveexec_b64 s[8:9], s[0:1]
	s_cbranch_execz .LBB12_1356
; %bb.1360:                             ;   in Loop: Header=BB12_1359 Depth=1
	global_load_dword v0, v[10:11], off offset:20 sc0 sc1
	s_waitcnt vmcnt(0)
	buffer_inv sc0 sc1
	v_and_b32_e32 v0, 1, v0
	s_branch .LBB12_1356
.LBB12_1361:
	s_and_saveexec_b64 s[8:9], s[0:1]
	s_cbranch_execz .LBB12_1364
; %bb.1362:
	v_mov_b32_e32 v6, 0
	global_load_dwordx2 v[4:5], v6, s[2:3] offset:40
	global_load_dwordx2 v[8:9], v6, s[2:3] offset:24 sc0 sc1
	global_load_dwordx2 v[10:11], v6, s[2:3]
	s_mov_b64 s[0:1], 0
	s_waitcnt vmcnt(2)
	v_lshl_add_u64 v[0:1], v[4:5], 0, 1
	v_lshl_add_u64 v[12:13], v[0:1], 0, s[6:7]
	v_cmp_eq_u64_e32 vcc, 0, v[12:13]
	s_waitcnt vmcnt(1)
	v_mov_b32_e32 v2, v8
	v_cndmask_b32_e32 v1, v13, v1, vcc
	v_cndmask_b32_e32 v0, v12, v0, vcc
	v_and_b32_e32 v3, v1, v5
	v_and_b32_e32 v4, v0, v4
	v_mul_lo_u32 v3, v3, 24
	v_mul_hi_u32 v5, v4, 24
	v_mul_lo_u32 v4, v4, 24
	v_add_u32_e32 v5, v5, v3
	s_waitcnt vmcnt(0)
	v_lshl_add_u64 v[4:5], v[10:11], 0, v[4:5]
	global_store_dwordx2 v[4:5], v[8:9], off
	v_mov_b32_e32 v3, v9
	buffer_wbl2 sc0 sc1
	s_waitcnt vmcnt(0)
	global_atomic_cmpswap_x2 v[2:3], v6, v[0:3], s[2:3] offset:24 sc0 sc1
	s_waitcnt vmcnt(0)
	v_cmp_ne_u64_e32 vcc, v[2:3], v[8:9]
	s_and_b64 exec, exec, vcc
	s_cbranch_execz .LBB12_1364
.LBB12_1363:                            ; =>This Inner Loop Header: Depth=1
	s_sleep 1
	global_store_dwordx2 v[4:5], v[2:3], off
	buffer_wbl2 sc0 sc1
	s_waitcnt vmcnt(0)
	global_atomic_cmpswap_x2 v[8:9], v6, v[0:3], s[2:3] offset:24 sc0 sc1
	s_waitcnt vmcnt(0)
	v_cmp_eq_u64_e32 vcc, v[8:9], v[2:3]
	s_or_b64 s[0:1], vcc, s[0:1]
	v_mov_b64_e32 v[2:3], v[8:9]
	s_andn2_b64 exec, exec, s[0:1]
	s_cbranch_execnz .LBB12_1363
.LBB12_1364:
	s_or_b64 exec, exec, s[8:9]
	v_readfirstlane_b32 s0, v36
	v_mov_b64_e32 v[4:5], 0
	s_nop 0
	v_cmp_eq_u32_e64 s[0:1], s0, v36
	s_and_saveexec_b64 s[6:7], s[0:1]
	s_cbranch_execz .LBB12_1370
; %bb.1365:
	v_mov_b32_e32 v0, 0
	global_load_dwordx2 v[6:7], v0, s[2:3] offset:24 sc0 sc1
	s_waitcnt vmcnt(0)
	buffer_inv sc0 sc1
	global_load_dwordx2 v[2:3], v0, s[2:3] offset:40
	global_load_dwordx2 v[4:5], v0, s[2:3]
	s_waitcnt vmcnt(1)
	v_and_b32_e32 v1, v2, v6
	v_and_b32_e32 v2, v3, v7
	v_mul_lo_u32 v2, v2, 24
	v_mul_hi_u32 v3, v1, 24
	v_add_u32_e32 v3, v3, v2
	v_mul_lo_u32 v2, v1, 24
	s_waitcnt vmcnt(0)
	v_lshl_add_u64 v[2:3], v[4:5], 0, v[2:3]
	global_load_dwordx2 v[4:5], v[2:3], off sc0 sc1
	s_waitcnt vmcnt(0)
	global_atomic_cmpswap_x2 v[4:5], v0, v[4:7], s[2:3] offset:24 sc0 sc1
	s_waitcnt vmcnt(0)
	buffer_inv sc0 sc1
	v_cmp_ne_u64_e32 vcc, v[4:5], v[6:7]
	s_and_saveexec_b64 s[8:9], vcc
	s_cbranch_execz .LBB12_1369
; %bb.1366:
	s_mov_b64 s[10:11], 0
.LBB12_1367:                            ; =>This Inner Loop Header: Depth=1
	s_sleep 1
	global_load_dwordx2 v[2:3], v0, s[2:3] offset:40
	global_load_dwordx2 v[8:9], v0, s[2:3]
	v_mov_b64_e32 v[6:7], v[4:5]
	s_waitcnt vmcnt(1)
	v_and_b32_e32 v2, v2, v6
	v_and_b32_e32 v1, v3, v7
	s_waitcnt vmcnt(0)
	v_mad_u64_u32 v[2:3], s[12:13], v2, 24, v[8:9]
	v_mov_b32_e32 v4, v3
	v_mad_u64_u32 v[4:5], s[12:13], v1, 24, v[4:5]
	v_mov_b32_e32 v3, v4
	global_load_dwordx2 v[4:5], v[2:3], off sc0 sc1
	s_waitcnt vmcnt(0)
	global_atomic_cmpswap_x2 v[4:5], v0, v[4:7], s[2:3] offset:24 sc0 sc1
	s_waitcnt vmcnt(0)
	buffer_inv sc0 sc1
	v_cmp_eq_u64_e32 vcc, v[4:5], v[6:7]
	s_or_b64 s[10:11], vcc, s[10:11]
	s_andn2_b64 exec, exec, s[10:11]
	s_cbranch_execnz .LBB12_1367
; %bb.1368:
	s_or_b64 exec, exec, s[10:11]
.LBB12_1369:
	s_or_b64 exec, exec, s[8:9]
.LBB12_1370:
	s_or_b64 exec, exec, s[6:7]
	v_mov_b32_e32 v29, 0
	global_load_dwordx2 v[6:7], v29, s[2:3] offset:40
	global_load_dwordx4 v[0:3], v29, s[2:3]
	v_readfirstlane_b32 s6, v4
	v_readfirstlane_b32 s7, v5
	s_mov_b64 s[8:9], exec
	s_waitcnt vmcnt(1)
	v_readfirstlane_b32 s10, v6
	v_readfirstlane_b32 s11, v7
	s_and_b64 s[10:11], s[6:7], s[10:11]
	s_mul_i32 s12, s11, 24
	s_mul_hi_u32 s13, s10, 24
	s_add_i32 s13, s13, s12
	s_mul_i32 s12, s10, 24
	s_waitcnt vmcnt(0)
	v_lshl_add_u64 v[4:5], v[0:1], 0, s[12:13]
	s_and_saveexec_b64 s[12:13], s[0:1]
	s_cbranch_execz .LBB12_1372
; %bb.1371:
	v_mov_b64_e32 v[6:7], s[8:9]
	v_mov_b32_e32 v8, 2
	v_mov_b32_e32 v9, 1
	global_store_dwordx4 v[4:5], v[6:9], off offset:8
.LBB12_1372:
	s_or_b64 exec, exec, s[12:13]
	s_lshl_b64 s[8:9], s[10:11], 12
	v_lshl_add_u64 v[6:7], v[2:3], 0, s[8:9]
	s_mov_b32 s8, 0
	v_mov_b32_e32 v8, 33
	v_mov_b32_e32 v9, v29
	v_mov_b32_e32 v10, v29
	v_mov_b32_e32 v11, v29
	v_readfirstlane_b32 s12, v6
	v_readfirstlane_b32 s13, v7
	s_mov_b32 s9, s8
	s_mov_b32 s10, s8
	;; [unrolled: 1-line block ×3, first 2 shown]
	s_nop 1
	global_store_dwordx4 v28, v[8:11], s[12:13]
	s_nop 1
	v_mov_b64_e32 v[8:9], s[8:9]
	v_mov_b64_e32 v[10:11], s[10:11]
	global_store_dwordx4 v28, v[8:11], s[12:13] offset:16
	global_store_dwordx4 v28, v[8:11], s[12:13] offset:32
	;; [unrolled: 1-line block ×3, first 2 shown]
	s_and_saveexec_b64 s[8:9], s[0:1]
	s_cbranch_execz .LBB12_1380
; %bb.1373:
	v_mov_b32_e32 v10, 0
	global_load_dwordx2 v[14:15], v10, s[2:3] offset:32 sc0 sc1
	global_load_dwordx2 v[2:3], v10, s[2:3] offset:40
	v_mov_b32_e32 v12, s6
	v_mov_b32_e32 v13, s7
	s_waitcnt vmcnt(0)
	v_readfirstlane_b32 s10, v2
	v_readfirstlane_b32 s11, v3
	s_and_b64 s[10:11], s[10:11], s[6:7]
	s_mul_i32 s11, s11, 24
	s_mul_hi_u32 s12, s10, 24
	s_mul_i32 s10, s10, 24
	s_add_i32 s11, s12, s11
	v_lshl_add_u64 v[8:9], v[0:1], 0, s[10:11]
	global_store_dwordx2 v[8:9], v[14:15], off
	buffer_wbl2 sc0 sc1
	s_waitcnt vmcnt(0)
	global_atomic_cmpswap_x2 v[2:3], v10, v[12:15], s[2:3] offset:32 sc0 sc1
	s_waitcnt vmcnt(0)
	v_cmp_ne_u64_e32 vcc, v[2:3], v[14:15]
	s_and_saveexec_b64 s[10:11], vcc
	s_cbranch_execz .LBB12_1376
; %bb.1374:
	s_mov_b64 s[12:13], 0
.LBB12_1375:                            ; =>This Inner Loop Header: Depth=1
	s_sleep 1
	global_store_dwordx2 v[8:9], v[2:3], off
	v_mov_b32_e32 v0, s6
	v_mov_b32_e32 v1, s7
	buffer_wbl2 sc0 sc1
	s_waitcnt vmcnt(0)
	global_atomic_cmpswap_x2 v[0:1], v10, v[0:3], s[2:3] offset:32 sc0 sc1
	s_waitcnt vmcnt(0)
	v_cmp_eq_u64_e32 vcc, v[0:1], v[2:3]
	s_or_b64 s[12:13], vcc, s[12:13]
	v_mov_b64_e32 v[2:3], v[0:1]
	s_andn2_b64 exec, exec, s[12:13]
	s_cbranch_execnz .LBB12_1375
.LBB12_1376:
	s_or_b64 exec, exec, s[10:11]
	v_mov_b32_e32 v3, 0
	global_load_dwordx2 v[0:1], v3, s[2:3] offset:16
	s_mov_b64 s[10:11], exec
	v_mbcnt_lo_u32_b32 v2, s10, 0
	v_mbcnt_hi_u32_b32 v2, s11, v2
	v_cmp_eq_u32_e32 vcc, 0, v2
	s_and_saveexec_b64 s[12:13], vcc
	s_cbranch_execz .LBB12_1378
; %bb.1377:
	s_bcnt1_i32_b64 s10, s[10:11]
	v_mov_b32_e32 v2, s10
	buffer_wbl2 sc0 sc1
	s_waitcnt vmcnt(0)
	global_atomic_add_x2 v[0:1], v[2:3], off offset:8 sc1
.LBB12_1378:
	s_or_b64 exec, exec, s[12:13]
	s_waitcnt vmcnt(0)
	global_load_dwordx2 v[2:3], v[0:1], off offset:16
	s_waitcnt vmcnt(0)
	v_cmp_eq_u64_e32 vcc, 0, v[2:3]
	s_cbranch_vccnz .LBB12_1380
; %bb.1379:
	global_load_dword v0, v[0:1], off offset:24
	v_mov_b32_e32 v1, 0
	buffer_wbl2 sc0 sc1
	s_waitcnt vmcnt(0)
	global_store_dwordx2 v[2:3], v[0:1], off sc0 sc1
	v_and_b32_e32 v0, 0xffffff, v0
	s_nop 0
	v_readfirstlane_b32 m0, v0
	s_sendmsg sendmsg(MSG_INTERRUPT)
.LBB12_1380:
	s_or_b64 exec, exec, s[8:9]
	v_lshl_add_u64 v[0:1], v[6:7], 0, v[28:29]
	s_branch .LBB12_1384
.LBB12_1381:                            ;   in Loop: Header=BB12_1384 Depth=1
	s_or_b64 exec, exec, s[8:9]
	v_readfirstlane_b32 s8, v2
	s_cmp_eq_u32 s8, 0
	s_cbranch_scc1 .LBB12_1383
; %bb.1382:                             ;   in Loop: Header=BB12_1384 Depth=1
	s_sleep 1
	s_cbranch_execnz .LBB12_1384
	s_branch .LBB12_1386
.LBB12_1383:
	s_branch .LBB12_1386
.LBB12_1384:                            ; =>This Inner Loop Header: Depth=1
	v_mov_b32_e32 v2, 1
	s_and_saveexec_b64 s[8:9], s[0:1]
	s_cbranch_execz .LBB12_1381
; %bb.1385:                             ;   in Loop: Header=BB12_1384 Depth=1
	global_load_dword v2, v[4:5], off offset:20 sc0 sc1
	s_waitcnt vmcnt(0)
	buffer_inv sc0 sc1
	v_and_b32_e32 v2, 1, v2
	s_branch .LBB12_1381
.LBB12_1386:
	global_load_dwordx2 v[4:5], v[0:1], off
	s_and_saveexec_b64 s[8:9], s[0:1]
	s_cbranch_execz .LBB12_1389
; %bb.1387:
	v_mov_b32_e32 v8, 0
	global_load_dwordx2 v[6:7], v8, s[2:3] offset:40
	global_load_dwordx2 v[10:11], v8, s[2:3] offset:24 sc0 sc1
	global_load_dwordx2 v[12:13], v8, s[2:3]
	s_mov_b64 s[0:1], 0
	s_waitcnt vmcnt(2)
	v_lshl_add_u64 v[0:1], v[6:7], 0, 1
	v_lshl_add_u64 v[14:15], v[0:1], 0, s[6:7]
	v_cmp_eq_u64_e32 vcc, 0, v[14:15]
	s_waitcnt vmcnt(1)
	v_mov_b32_e32 v2, v10
	v_cndmask_b32_e32 v1, v15, v1, vcc
	v_cndmask_b32_e32 v0, v14, v0, vcc
	v_and_b32_e32 v3, v1, v7
	v_and_b32_e32 v6, v0, v6
	v_mul_lo_u32 v3, v3, 24
	v_mul_hi_u32 v7, v6, 24
	v_mul_lo_u32 v6, v6, 24
	v_add_u32_e32 v7, v7, v3
	s_waitcnt vmcnt(0)
	v_lshl_add_u64 v[6:7], v[12:13], 0, v[6:7]
	global_store_dwordx2 v[6:7], v[10:11], off
	v_mov_b32_e32 v3, v11
	buffer_wbl2 sc0 sc1
	s_waitcnt vmcnt(0)
	global_atomic_cmpswap_x2 v[2:3], v8, v[0:3], s[2:3] offset:24 sc0 sc1
	s_waitcnt vmcnt(0)
	v_cmp_ne_u64_e32 vcc, v[2:3], v[10:11]
	s_and_b64 exec, exec, vcc
	s_cbranch_execz .LBB12_1389
.LBB12_1388:                            ; =>This Inner Loop Header: Depth=1
	s_sleep 1
	global_store_dwordx2 v[6:7], v[2:3], off
	buffer_wbl2 sc0 sc1
	s_waitcnt vmcnt(0)
	global_atomic_cmpswap_x2 v[10:11], v8, v[0:3], s[2:3] offset:24 sc0 sc1
	s_waitcnt vmcnt(0)
	v_cmp_eq_u64_e32 vcc, v[10:11], v[2:3]
	s_or_b64 s[0:1], vcc, s[0:1]
	v_mov_b64_e32 v[2:3], v[10:11]
	s_andn2_b64 exec, exec, s[0:1]
	s_cbranch_execnz .LBB12_1388
.LBB12_1389:
	s_or_b64 exec, exec, s[8:9]
	s_and_b64 vcc, exec, s[4:5]
	s_cbranch_vccz .LBB12_1474
; %bb.1390:
	s_waitcnt vmcnt(0)
	v_and_b32_e32 v26, 2, v4
	v_mov_b32_e32 v31, 0
	v_and_b32_e32 v0, -3, v4
	v_mov_b32_e32 v1, v5
	s_mov_b64 s[6:7], 3
	v_mov_b32_e32 v8, 2
	v_mov_b32_e32 v9, 1
	s_getpc_b64 s[4:5]
	s_add_u32 s4, s4, .str.5@rel32@lo+4
	s_addc_u32 s5, s5, .str.5@rel32@hi+12
	s_branch .LBB12_1392
.LBB12_1391:                            ;   in Loop: Header=BB12_1392 Depth=1
	s_or_b64 exec, exec, s[12:13]
	s_sub_u32 s6, s6, s8
	s_subb_u32 s7, s7, s9
	s_add_u32 s4, s4, s8
	s_addc_u32 s5, s5, s9
	s_cmp_lg_u64 s[6:7], 0
	s_cbranch_scc0 .LBB12_1473
.LBB12_1392:                            ; =>This Loop Header: Depth=1
                                        ;     Child Loop BB12_1395 Depth 2
                                        ;     Child Loop BB12_1402 Depth 2
	;; [unrolled: 1-line block ×11, first 2 shown]
	v_cmp_lt_u64_e64 s[0:1], s[6:7], 56
	s_and_b64 s[0:1], s[0:1], exec
	v_cmp_gt_u64_e64 s[0:1], s[6:7], 7
	s_cselect_b32 s9, s7, 0
	s_cselect_b32 s8, s6, 56
	s_and_b64 vcc, exec, s[0:1]
	s_cbranch_vccnz .LBB12_1397
; %bb.1393:                             ;   in Loop: Header=BB12_1392 Depth=1
	s_mov_b64 s[0:1], 0
	s_cmp_eq_u64 s[6:7], 0
	s_waitcnt vmcnt(0)
	v_mov_b64_e32 v[2:3], 0
	s_cbranch_scc1 .LBB12_1396
; %bb.1394:                             ;   in Loop: Header=BB12_1392 Depth=1
	s_lshl_b64 s[10:11], s[8:9], 3
	s_mov_b64 s[12:13], 0
	v_mov_b64_e32 v[2:3], 0
	s_mov_b64 s[14:15], s[4:5]
.LBB12_1395:                            ;   Parent Loop BB12_1392 Depth=1
                                        ; =>  This Inner Loop Header: Depth=2
	global_load_ubyte v6, v31, s[14:15]
	s_waitcnt vmcnt(0)
	v_and_b32_e32 v30, 0xffff, v6
	v_lshlrev_b64 v[6:7], s12, v[30:31]
	s_add_u32 s12, s12, 8
	s_addc_u32 s13, s13, 0
	s_add_u32 s14, s14, 1
	s_addc_u32 s15, s15, 0
	v_or_b32_e32 v2, v6, v2
	s_cmp_lg_u32 s10, s12
	v_or_b32_e32 v3, v7, v3
	s_cbranch_scc1 .LBB12_1395
.LBB12_1396:                            ;   in Loop: Header=BB12_1392 Depth=1
	s_mov_b32 s14, 0
	s_andn2_b64 vcc, exec, s[0:1]
	s_mov_b64 s[0:1], s[4:5]
	s_cbranch_vccz .LBB12_1398
	s_branch .LBB12_1399
.LBB12_1397:                            ;   in Loop: Header=BB12_1392 Depth=1
                                        ; implicit-def: $vgpr2_vgpr3
                                        ; implicit-def: $sgpr14
	s_mov_b64 s[0:1], s[4:5]
.LBB12_1398:                            ;   in Loop: Header=BB12_1392 Depth=1
	global_load_dwordx2 v[2:3], v31, s[4:5]
	s_add_i32 s14, s8, -8
	s_add_u32 s0, s4, 8
	s_addc_u32 s1, s5, 0
.LBB12_1399:                            ;   in Loop: Header=BB12_1392 Depth=1
	s_cmp_gt_u32 s14, 7
	s_cbranch_scc1 .LBB12_1403
; %bb.1400:                             ;   in Loop: Header=BB12_1392 Depth=1
	s_cmp_eq_u32 s14, 0
	s_cbranch_scc1 .LBB12_1404
; %bb.1401:                             ;   in Loop: Header=BB12_1392 Depth=1
	s_mov_b64 s[10:11], 0
	v_mov_b64_e32 v[10:11], 0
	s_mov_b64 s[12:13], 0
.LBB12_1402:                            ;   Parent Loop BB12_1392 Depth=1
                                        ; =>  This Inner Loop Header: Depth=2
	s_add_u32 s16, s0, s12
	s_addc_u32 s17, s1, s13
	global_load_ubyte v6, v31, s[16:17]
	s_add_u32 s12, s12, 1
	s_addc_u32 s13, s13, 0
	s_waitcnt vmcnt(0)
	v_and_b32_e32 v30, 0xffff, v6
	v_lshlrev_b64 v[6:7], s10, v[30:31]
	s_add_u32 s10, s10, 8
	s_addc_u32 s11, s11, 0
	v_or_b32_e32 v10, v6, v10
	s_cmp_lg_u32 s14, s12
	v_or_b32_e32 v11, v7, v11
	s_cbranch_scc1 .LBB12_1402
	s_branch .LBB12_1405
.LBB12_1403:                            ;   in Loop: Header=BB12_1392 Depth=1
                                        ; implicit-def: $vgpr10_vgpr11
                                        ; implicit-def: $sgpr15
	s_branch .LBB12_1406
.LBB12_1404:                            ;   in Loop: Header=BB12_1392 Depth=1
	v_mov_b64_e32 v[10:11], 0
.LBB12_1405:                            ;   in Loop: Header=BB12_1392 Depth=1
	s_mov_b32 s15, 0
	s_cbranch_execnz .LBB12_1407
.LBB12_1406:                            ;   in Loop: Header=BB12_1392 Depth=1
	global_load_dwordx2 v[10:11], v31, s[0:1]
	s_add_i32 s15, s14, -8
	s_add_u32 s0, s0, 8
	s_addc_u32 s1, s1, 0
.LBB12_1407:                            ;   in Loop: Header=BB12_1392 Depth=1
	s_cmp_gt_u32 s15, 7
	s_cbranch_scc1 .LBB12_1411
; %bb.1408:                             ;   in Loop: Header=BB12_1392 Depth=1
	s_cmp_eq_u32 s15, 0
	s_cbranch_scc1 .LBB12_1412
; %bb.1409:                             ;   in Loop: Header=BB12_1392 Depth=1
	s_mov_b64 s[10:11], 0
	v_mov_b64_e32 v[12:13], 0
	s_mov_b64 s[12:13], 0
.LBB12_1410:                            ;   Parent Loop BB12_1392 Depth=1
                                        ; =>  This Inner Loop Header: Depth=2
	s_add_u32 s16, s0, s12
	s_addc_u32 s17, s1, s13
	global_load_ubyte v6, v31, s[16:17]
	s_add_u32 s12, s12, 1
	s_addc_u32 s13, s13, 0
	s_waitcnt vmcnt(0)
	v_and_b32_e32 v30, 0xffff, v6
	v_lshlrev_b64 v[6:7], s10, v[30:31]
	s_add_u32 s10, s10, 8
	s_addc_u32 s11, s11, 0
	v_or_b32_e32 v12, v6, v12
	s_cmp_lg_u32 s15, s12
	v_or_b32_e32 v13, v7, v13
	s_cbranch_scc1 .LBB12_1410
	s_branch .LBB12_1413
.LBB12_1411:                            ;   in Loop: Header=BB12_1392 Depth=1
                                        ; implicit-def: $sgpr14
	s_branch .LBB12_1414
.LBB12_1412:                            ;   in Loop: Header=BB12_1392 Depth=1
	v_mov_b64_e32 v[12:13], 0
.LBB12_1413:                            ;   in Loop: Header=BB12_1392 Depth=1
	s_mov_b32 s14, 0
	s_cbranch_execnz .LBB12_1415
.LBB12_1414:                            ;   in Loop: Header=BB12_1392 Depth=1
	global_load_dwordx2 v[12:13], v31, s[0:1]
	s_add_i32 s14, s15, -8
	s_add_u32 s0, s0, 8
	s_addc_u32 s1, s1, 0
.LBB12_1415:                            ;   in Loop: Header=BB12_1392 Depth=1
	s_cmp_gt_u32 s14, 7
	s_cbranch_scc1 .LBB12_1419
; %bb.1416:                             ;   in Loop: Header=BB12_1392 Depth=1
	s_cmp_eq_u32 s14, 0
	s_cbranch_scc1 .LBB12_1420
; %bb.1417:                             ;   in Loop: Header=BB12_1392 Depth=1
	s_mov_b64 s[10:11], 0
	v_mov_b64_e32 v[14:15], 0
	s_mov_b64 s[12:13], 0
.LBB12_1418:                            ;   Parent Loop BB12_1392 Depth=1
                                        ; =>  This Inner Loop Header: Depth=2
	s_add_u32 s16, s0, s12
	s_addc_u32 s17, s1, s13
	global_load_ubyte v6, v31, s[16:17]
	s_add_u32 s12, s12, 1
	s_addc_u32 s13, s13, 0
	s_waitcnt vmcnt(0)
	v_and_b32_e32 v30, 0xffff, v6
	v_lshlrev_b64 v[6:7], s10, v[30:31]
	s_add_u32 s10, s10, 8
	s_addc_u32 s11, s11, 0
	v_or_b32_e32 v14, v6, v14
	s_cmp_lg_u32 s14, s12
	v_or_b32_e32 v15, v7, v15
	s_cbranch_scc1 .LBB12_1418
	s_branch .LBB12_1421
.LBB12_1419:                            ;   in Loop: Header=BB12_1392 Depth=1
                                        ; implicit-def: $vgpr14_vgpr15
                                        ; implicit-def: $sgpr15
	s_branch .LBB12_1422
.LBB12_1420:                            ;   in Loop: Header=BB12_1392 Depth=1
	v_mov_b64_e32 v[14:15], 0
.LBB12_1421:                            ;   in Loop: Header=BB12_1392 Depth=1
	s_mov_b32 s15, 0
	s_cbranch_execnz .LBB12_1423
.LBB12_1422:                            ;   in Loop: Header=BB12_1392 Depth=1
	global_load_dwordx2 v[14:15], v31, s[0:1]
	s_add_i32 s15, s14, -8
	s_add_u32 s0, s0, 8
	s_addc_u32 s1, s1, 0
.LBB12_1423:                            ;   in Loop: Header=BB12_1392 Depth=1
	s_cmp_gt_u32 s15, 7
	s_cbranch_scc1 .LBB12_1427
; %bb.1424:                             ;   in Loop: Header=BB12_1392 Depth=1
	s_cmp_eq_u32 s15, 0
	s_cbranch_scc1 .LBB12_1428
; %bb.1425:                             ;   in Loop: Header=BB12_1392 Depth=1
	s_mov_b64 s[10:11], 0
	v_mov_b64_e32 v[16:17], 0
	s_mov_b64 s[12:13], 0
.LBB12_1426:                            ;   Parent Loop BB12_1392 Depth=1
                                        ; =>  This Inner Loop Header: Depth=2
	s_add_u32 s16, s0, s12
	s_addc_u32 s17, s1, s13
	global_load_ubyte v6, v31, s[16:17]
	s_add_u32 s12, s12, 1
	s_addc_u32 s13, s13, 0
	s_waitcnt vmcnt(0)
	v_and_b32_e32 v30, 0xffff, v6
	v_lshlrev_b64 v[6:7], s10, v[30:31]
	s_add_u32 s10, s10, 8
	s_addc_u32 s11, s11, 0
	v_or_b32_e32 v16, v6, v16
	s_cmp_lg_u32 s15, s12
	v_or_b32_e32 v17, v7, v17
	s_cbranch_scc1 .LBB12_1426
	s_branch .LBB12_1429
.LBB12_1427:                            ;   in Loop: Header=BB12_1392 Depth=1
                                        ; implicit-def: $sgpr14
	s_branch .LBB12_1430
.LBB12_1428:                            ;   in Loop: Header=BB12_1392 Depth=1
	v_mov_b64_e32 v[16:17], 0
.LBB12_1429:                            ;   in Loop: Header=BB12_1392 Depth=1
	s_mov_b32 s14, 0
	s_cbranch_execnz .LBB12_1431
.LBB12_1430:                            ;   in Loop: Header=BB12_1392 Depth=1
	global_load_dwordx2 v[16:17], v31, s[0:1]
	s_add_i32 s14, s15, -8
	s_add_u32 s0, s0, 8
	s_addc_u32 s1, s1, 0
.LBB12_1431:                            ;   in Loop: Header=BB12_1392 Depth=1
	s_cmp_gt_u32 s14, 7
	s_cbranch_scc1 .LBB12_1435
; %bb.1432:                             ;   in Loop: Header=BB12_1392 Depth=1
	s_cmp_eq_u32 s14, 0
	s_cbranch_scc1 .LBB12_1436
; %bb.1433:                             ;   in Loop: Header=BB12_1392 Depth=1
	s_mov_b64 s[10:11], 0
	v_mov_b64_e32 v[18:19], 0
	s_mov_b64 s[12:13], 0
.LBB12_1434:                            ;   Parent Loop BB12_1392 Depth=1
                                        ; =>  This Inner Loop Header: Depth=2
	s_add_u32 s16, s0, s12
	s_addc_u32 s17, s1, s13
	global_load_ubyte v6, v31, s[16:17]
	s_add_u32 s12, s12, 1
	s_addc_u32 s13, s13, 0
	s_waitcnt vmcnt(0)
	v_and_b32_e32 v30, 0xffff, v6
	v_lshlrev_b64 v[6:7], s10, v[30:31]
	s_add_u32 s10, s10, 8
	s_addc_u32 s11, s11, 0
	v_or_b32_e32 v18, v6, v18
	s_cmp_lg_u32 s14, s12
	v_or_b32_e32 v19, v7, v19
	s_cbranch_scc1 .LBB12_1434
	s_branch .LBB12_1437
.LBB12_1435:                            ;   in Loop: Header=BB12_1392 Depth=1
                                        ; implicit-def: $vgpr18_vgpr19
                                        ; implicit-def: $sgpr15
	s_branch .LBB12_1438
.LBB12_1436:                            ;   in Loop: Header=BB12_1392 Depth=1
	v_mov_b64_e32 v[18:19], 0
.LBB12_1437:                            ;   in Loop: Header=BB12_1392 Depth=1
	s_mov_b32 s15, 0
	s_cbranch_execnz .LBB12_1439
.LBB12_1438:                            ;   in Loop: Header=BB12_1392 Depth=1
	global_load_dwordx2 v[18:19], v31, s[0:1]
	s_add_i32 s15, s14, -8
	s_add_u32 s0, s0, 8
	s_addc_u32 s1, s1, 0
.LBB12_1439:                            ;   in Loop: Header=BB12_1392 Depth=1
	s_cmp_gt_u32 s15, 7
	s_cbranch_scc1 .LBB12_1443
; %bb.1440:                             ;   in Loop: Header=BB12_1392 Depth=1
	s_cmp_eq_u32 s15, 0
	s_cbranch_scc1 .LBB12_1444
; %bb.1441:                             ;   in Loop: Header=BB12_1392 Depth=1
	s_mov_b64 s[10:11], 0
	v_mov_b64_e32 v[20:21], 0
	s_mov_b64 s[12:13], s[0:1]
.LBB12_1442:                            ;   Parent Loop BB12_1392 Depth=1
                                        ; =>  This Inner Loop Header: Depth=2
	global_load_ubyte v6, v31, s[12:13]
	s_add_i32 s15, s15, -1
	s_waitcnt vmcnt(0)
	v_and_b32_e32 v30, 0xffff, v6
	v_lshlrev_b64 v[6:7], s10, v[30:31]
	s_add_u32 s10, s10, 8
	s_addc_u32 s11, s11, 0
	s_add_u32 s12, s12, 1
	s_addc_u32 s13, s13, 0
	v_or_b32_e32 v20, v6, v20
	s_cmp_lg_u32 s15, 0
	v_or_b32_e32 v21, v7, v21
	s_cbranch_scc1 .LBB12_1442
	s_branch .LBB12_1445
.LBB12_1443:                            ;   in Loop: Header=BB12_1392 Depth=1
	s_branch .LBB12_1446
.LBB12_1444:                            ;   in Loop: Header=BB12_1392 Depth=1
	v_mov_b64_e32 v[20:21], 0
.LBB12_1445:                            ;   in Loop: Header=BB12_1392 Depth=1
	s_cbranch_execnz .LBB12_1447
.LBB12_1446:                            ;   in Loop: Header=BB12_1392 Depth=1
	global_load_dwordx2 v[20:21], v31, s[0:1]
.LBB12_1447:                            ;   in Loop: Header=BB12_1392 Depth=1
	v_readfirstlane_b32 s0, v36
	v_mov_b64_e32 v[6:7], 0
	s_nop 0
	v_cmp_eq_u32_e64 s[0:1], s0, v36
	s_and_saveexec_b64 s[10:11], s[0:1]
	s_cbranch_execz .LBB12_1453
; %bb.1448:                             ;   in Loop: Header=BB12_1392 Depth=1
	global_load_dwordx2 v[24:25], v31, s[2:3] offset:24 sc0 sc1
	s_waitcnt vmcnt(0)
	buffer_inv sc0 sc1
	global_load_dwordx2 v[6:7], v31, s[2:3] offset:40
	global_load_dwordx2 v[22:23], v31, s[2:3]
	s_waitcnt vmcnt(1)
	v_and_b32_e32 v6, v6, v24
	v_and_b32_e32 v7, v7, v25
	v_mul_lo_u32 v7, v7, 24
	v_mul_hi_u32 v27, v6, 24
	v_add_u32_e32 v7, v27, v7
	v_mul_lo_u32 v6, v6, 24
	s_waitcnt vmcnt(0)
	v_lshl_add_u64 v[6:7], v[22:23], 0, v[6:7]
	global_load_dwordx2 v[22:23], v[6:7], off sc0 sc1
	s_waitcnt vmcnt(0)
	global_atomic_cmpswap_x2 v[6:7], v31, v[22:25], s[2:3] offset:24 sc0 sc1
	s_waitcnt vmcnt(0)
	buffer_inv sc0 sc1
	v_cmp_ne_u64_e32 vcc, v[6:7], v[24:25]
	s_and_saveexec_b64 s[12:13], vcc
	s_cbranch_execz .LBB12_1452
; %bb.1449:                             ;   in Loop: Header=BB12_1392 Depth=1
	s_mov_b64 s[14:15], 0
.LBB12_1450:                            ;   Parent Loop BB12_1392 Depth=1
                                        ; =>  This Inner Loop Header: Depth=2
	s_sleep 1
	global_load_dwordx2 v[22:23], v31, s[2:3] offset:40
	global_load_dwordx2 v[32:33], v31, s[2:3]
	v_mov_b64_e32 v[24:25], v[6:7]
	s_waitcnt vmcnt(1)
	v_and_b32_e32 v6, v22, v24
	s_waitcnt vmcnt(0)
	v_mad_u64_u32 v[6:7], s[16:17], v6, 24, v[32:33]
	v_and_b32_e32 v23, v23, v25
	v_mov_b32_e32 v22, v7
	v_mad_u64_u32 v[22:23], s[16:17], v23, 24, v[22:23]
	v_mov_b32_e32 v7, v22
	global_load_dwordx2 v[22:23], v[6:7], off sc0 sc1
	s_waitcnt vmcnt(0)
	global_atomic_cmpswap_x2 v[6:7], v31, v[22:25], s[2:3] offset:24 sc0 sc1
	s_waitcnt vmcnt(0)
	buffer_inv sc0 sc1
	v_cmp_eq_u64_e32 vcc, v[6:7], v[24:25]
	s_or_b64 s[14:15], vcc, s[14:15]
	s_andn2_b64 exec, exec, s[14:15]
	s_cbranch_execnz .LBB12_1450
; %bb.1451:                             ;   in Loop: Header=BB12_1392 Depth=1
	s_or_b64 exec, exec, s[14:15]
.LBB12_1452:                            ;   in Loop: Header=BB12_1392 Depth=1
	s_or_b64 exec, exec, s[12:13]
.LBB12_1453:                            ;   in Loop: Header=BB12_1392 Depth=1
	s_or_b64 exec, exec, s[10:11]
	global_load_dwordx2 v[32:33], v31, s[2:3] offset:40
	global_load_dwordx4 v[22:25], v31, s[2:3]
	v_readfirstlane_b32 s10, v6
	v_readfirstlane_b32 s11, v7
	s_mov_b64 s[12:13], exec
	s_waitcnt vmcnt(1)
	v_readfirstlane_b32 s14, v32
	v_readfirstlane_b32 s15, v33
	s_and_b64 s[14:15], s[10:11], s[14:15]
	s_mul_i32 s16, s15, 24
	s_mul_hi_u32 s17, s14, 24
	s_add_i32 s17, s17, s16
	s_mul_i32 s16, s14, 24
	s_waitcnt vmcnt(0)
	v_lshl_add_u64 v[32:33], v[22:23], 0, s[16:17]
	s_and_saveexec_b64 s[16:17], s[0:1]
	s_cbranch_execz .LBB12_1455
; %bb.1454:                             ;   in Loop: Header=BB12_1392 Depth=1
	v_mov_b64_e32 v[6:7], s[12:13]
	global_store_dwordx4 v[32:33], v[6:9], off offset:8
.LBB12_1455:                            ;   in Loop: Header=BB12_1392 Depth=1
	s_or_b64 exec, exec, s[16:17]
	s_lshl_b64 s[12:13], s[14:15], 12
	v_lshl_add_u64 v[6:7], v[24:25], 0, s[12:13]
	v_or_b32_e32 v25, v0, v26
	v_cmp_gt_u64_e64 vcc, s[6:7], 56
	s_lshl_b32 s12, s8, 2
	s_add_i32 s12, s12, 28
	v_cndmask_b32_e32 v0, v25, v0, vcc
	v_or_b32_e32 v24, 0, v1
	s_and_b32 s12, s12, 0x1e0
	v_and_b32_e32 v0, 0xffffff1f, v0
	v_cndmask_b32_e32 v1, v24, v1, vcc
	v_or_b32_e32 v0, s12, v0
	v_readfirstlane_b32 s12, v6
	v_readfirstlane_b32 s13, v7
	s_nop 4
	global_store_dwordx4 v28, v[0:3], s[12:13]
	global_store_dwordx4 v28, v[10:13], s[12:13] offset:16
	global_store_dwordx4 v28, v[14:17], s[12:13] offset:32
	;; [unrolled: 1-line block ×3, first 2 shown]
	s_and_saveexec_b64 s[12:13], s[0:1]
	s_cbranch_execz .LBB12_1463
; %bb.1456:                             ;   in Loop: Header=BB12_1392 Depth=1
	global_load_dwordx2 v[14:15], v31, s[2:3] offset:32 sc0 sc1
	global_load_dwordx2 v[0:1], v31, s[2:3] offset:40
	v_mov_b32_e32 v12, s10
	v_mov_b32_e32 v13, s11
	s_waitcnt vmcnt(0)
	v_readfirstlane_b32 s14, v0
	v_readfirstlane_b32 s15, v1
	s_and_b64 s[14:15], s[14:15], s[10:11]
	s_mul_i32 s15, s15, 24
	s_mul_hi_u32 s16, s14, 24
	s_mul_i32 s14, s14, 24
	s_add_i32 s15, s16, s15
	v_lshl_add_u64 v[10:11], v[22:23], 0, s[14:15]
	global_store_dwordx2 v[10:11], v[14:15], off
	buffer_wbl2 sc0 sc1
	s_waitcnt vmcnt(0)
	global_atomic_cmpswap_x2 v[2:3], v31, v[12:15], s[2:3] offset:32 sc0 sc1
	s_waitcnt vmcnt(0)
	v_cmp_ne_u64_e32 vcc, v[2:3], v[14:15]
	s_and_saveexec_b64 s[14:15], vcc
	s_cbranch_execz .LBB12_1459
; %bb.1457:                             ;   in Loop: Header=BB12_1392 Depth=1
	s_mov_b64 s[16:17], 0
.LBB12_1458:                            ;   Parent Loop BB12_1392 Depth=1
                                        ; =>  This Inner Loop Header: Depth=2
	s_sleep 1
	global_store_dwordx2 v[10:11], v[2:3], off
	v_mov_b32_e32 v0, s10
	v_mov_b32_e32 v1, s11
	buffer_wbl2 sc0 sc1
	s_waitcnt vmcnt(0)
	global_atomic_cmpswap_x2 v[0:1], v31, v[0:3], s[2:3] offset:32 sc0 sc1
	s_waitcnt vmcnt(0)
	v_cmp_eq_u64_e32 vcc, v[0:1], v[2:3]
	s_or_b64 s[16:17], vcc, s[16:17]
	v_mov_b64_e32 v[2:3], v[0:1]
	s_andn2_b64 exec, exec, s[16:17]
	s_cbranch_execnz .LBB12_1458
.LBB12_1459:                            ;   in Loop: Header=BB12_1392 Depth=1
	s_or_b64 exec, exec, s[14:15]
	global_load_dwordx2 v[0:1], v31, s[2:3] offset:16
	s_mov_b64 s[16:17], exec
	v_mbcnt_lo_u32_b32 v2, s16, 0
	v_mbcnt_hi_u32_b32 v2, s17, v2
	v_cmp_eq_u32_e32 vcc, 0, v2
	s_and_saveexec_b64 s[14:15], vcc
	s_cbranch_execz .LBB12_1461
; %bb.1460:                             ;   in Loop: Header=BB12_1392 Depth=1
	s_bcnt1_i32_b64 s16, s[16:17]
	v_mov_b32_e32 v30, s16
	buffer_wbl2 sc0 sc1
	s_waitcnt vmcnt(0)
	global_atomic_add_x2 v[0:1], v[30:31], off offset:8 sc1
.LBB12_1461:                            ;   in Loop: Header=BB12_1392 Depth=1
	s_or_b64 exec, exec, s[14:15]
	s_waitcnt vmcnt(0)
	global_load_dwordx2 v[2:3], v[0:1], off offset:16
	s_waitcnt vmcnt(0)
	v_cmp_eq_u64_e32 vcc, 0, v[2:3]
	s_cbranch_vccnz .LBB12_1463
; %bb.1462:                             ;   in Loop: Header=BB12_1392 Depth=1
	global_load_dword v30, v[0:1], off offset:24
	s_waitcnt vmcnt(0)
	v_and_b32_e32 v0, 0xffffff, v30
	s_nop 0
	v_readfirstlane_b32 m0, v0
	buffer_wbl2 sc0 sc1
	global_store_dwordx2 v[2:3], v[30:31], off sc0 sc1
	s_sendmsg sendmsg(MSG_INTERRUPT)
.LBB12_1463:                            ;   in Loop: Header=BB12_1392 Depth=1
	s_or_b64 exec, exec, s[12:13]
	v_mov_b32_e32 v29, v31
	v_lshl_add_u64 v[0:1], v[6:7], 0, v[28:29]
	s_branch .LBB12_1467
.LBB12_1464:                            ;   in Loop: Header=BB12_1467 Depth=2
	s_or_b64 exec, exec, s[12:13]
	v_readfirstlane_b32 s12, v2
	s_cmp_eq_u32 s12, 0
	s_cbranch_scc1 .LBB12_1466
; %bb.1465:                             ;   in Loop: Header=BB12_1467 Depth=2
	s_sleep 1
	s_cbranch_execnz .LBB12_1467
	s_branch .LBB12_1469
.LBB12_1466:                            ;   in Loop: Header=BB12_1392 Depth=1
	s_branch .LBB12_1469
.LBB12_1467:                            ;   Parent Loop BB12_1392 Depth=1
                                        ; =>  This Inner Loop Header: Depth=2
	v_mov_b32_e32 v2, 1
	s_and_saveexec_b64 s[12:13], s[0:1]
	s_cbranch_execz .LBB12_1464
; %bb.1468:                             ;   in Loop: Header=BB12_1467 Depth=2
	global_load_dword v2, v[32:33], off offset:20 sc0 sc1
	s_waitcnt vmcnt(0)
	buffer_inv sc0 sc1
	v_and_b32_e32 v2, 1, v2
	s_branch .LBB12_1464
.LBB12_1469:                            ;   in Loop: Header=BB12_1392 Depth=1
	global_load_dwordx4 v[0:3], v[0:1], off
	s_and_saveexec_b64 s[12:13], s[0:1]
	s_cbranch_execz .LBB12_1391
; %bb.1470:                             ;   in Loop: Header=BB12_1392 Depth=1
	global_load_dwordx2 v[2:3], v31, s[2:3] offset:40
	global_load_dwordx2 v[6:7], v31, s[2:3] offset:24 sc0 sc1
	global_load_dwordx2 v[14:15], v31, s[2:3]
	s_waitcnt vmcnt(2)
	v_lshl_add_u64 v[10:11], v[2:3], 0, 1
	v_lshl_add_u64 v[16:17], v[10:11], 0, s[10:11]
	v_cmp_eq_u64_e32 vcc, 0, v[16:17]
	s_waitcnt vmcnt(1)
	v_mov_b32_e32 v12, v6
	v_cndmask_b32_e32 v11, v17, v11, vcc
	v_cndmask_b32_e32 v10, v16, v10, vcc
	v_and_b32_e32 v3, v11, v3
	v_and_b32_e32 v2, v10, v2
	v_mul_lo_u32 v3, v3, 24
	v_mul_hi_u32 v13, v2, 24
	v_mul_lo_u32 v2, v2, 24
	v_add_u32_e32 v3, v13, v3
	s_waitcnt vmcnt(0)
	v_lshl_add_u64 v[2:3], v[14:15], 0, v[2:3]
	global_store_dwordx2 v[2:3], v[6:7], off
	v_mov_b32_e32 v13, v7
	buffer_wbl2 sc0 sc1
	s_waitcnt vmcnt(0)
	global_atomic_cmpswap_x2 v[12:13], v31, v[10:13], s[2:3] offset:24 sc0 sc1
	s_waitcnt vmcnt(0)
	v_cmp_ne_u64_e32 vcc, v[12:13], v[6:7]
	s_and_b64 exec, exec, vcc
	s_cbranch_execz .LBB12_1391
; %bb.1471:                             ;   in Loop: Header=BB12_1392 Depth=1
	s_mov_b64 s[0:1], 0
.LBB12_1472:                            ;   Parent Loop BB12_1392 Depth=1
                                        ; =>  This Inner Loop Header: Depth=2
	s_sleep 1
	global_store_dwordx2 v[2:3], v[12:13], off
	buffer_wbl2 sc0 sc1
	s_waitcnt vmcnt(0)
	global_atomic_cmpswap_x2 v[6:7], v31, v[10:13], s[2:3] offset:24 sc0 sc1
	s_waitcnt vmcnt(0)
	v_cmp_eq_u64_e32 vcc, v[6:7], v[12:13]
	s_or_b64 s[0:1], vcc, s[0:1]
	v_mov_b64_e32 v[12:13], v[6:7]
	s_andn2_b64 exec, exec, s[0:1]
	s_cbranch_execnz .LBB12_1472
	s_branch .LBB12_1391
.LBB12_1473:
	s_mov_b64 s[0:1], 0
	s_branch .LBB12_1475
.LBB12_1474:
	s_mov_b64 s[0:1], -1
                                        ; implicit-def: $vgpr0_vgpr1
.LBB12_1475:
	s_and_b64 vcc, exec, s[0:1]
	s_cbranch_vccz .LBB12_1502
; %bb.1476:
	v_readfirstlane_b32 s0, v36
	v_mov_b64_e32 v[6:7], 0
	s_nop 0
	v_cmp_eq_u32_e64 s[0:1], s0, v36
	s_and_saveexec_b64 s[4:5], s[0:1]
	s_cbranch_execz .LBB12_1482
; %bb.1477:
	s_waitcnt vmcnt(0)
	v_mov_b32_e32 v0, 0
	global_load_dwordx2 v[8:9], v0, s[2:3] offset:24 sc0 sc1
	s_waitcnt vmcnt(0)
	buffer_inv sc0 sc1
	global_load_dwordx2 v[2:3], v0, s[2:3] offset:40
	global_load_dwordx2 v[6:7], v0, s[2:3]
	s_waitcnt vmcnt(1)
	v_and_b32_e32 v1, v2, v8
	v_and_b32_e32 v2, v3, v9
	v_mul_lo_u32 v2, v2, 24
	v_mul_hi_u32 v3, v1, 24
	v_add_u32_e32 v3, v3, v2
	v_mul_lo_u32 v2, v1, 24
	s_waitcnt vmcnt(0)
	v_lshl_add_u64 v[2:3], v[6:7], 0, v[2:3]
	global_load_dwordx2 v[6:7], v[2:3], off sc0 sc1
	s_waitcnt vmcnt(0)
	global_atomic_cmpswap_x2 v[6:7], v0, v[6:9], s[2:3] offset:24 sc0 sc1
	s_waitcnt vmcnt(0)
	buffer_inv sc0 sc1
	v_cmp_ne_u64_e32 vcc, v[6:7], v[8:9]
	s_and_saveexec_b64 s[6:7], vcc
	s_cbranch_execz .LBB12_1481
; %bb.1478:
	s_mov_b64 s[8:9], 0
.LBB12_1479:                            ; =>This Inner Loop Header: Depth=1
	s_sleep 1
	global_load_dwordx2 v[2:3], v0, s[2:3] offset:40
	global_load_dwordx2 v[10:11], v0, s[2:3]
	v_mov_b64_e32 v[8:9], v[6:7]
	s_waitcnt vmcnt(1)
	v_and_b32_e32 v2, v2, v8
	v_and_b32_e32 v1, v3, v9
	s_waitcnt vmcnt(0)
	v_mad_u64_u32 v[2:3], s[10:11], v2, 24, v[10:11]
	v_mov_b32_e32 v6, v3
	v_mad_u64_u32 v[6:7], s[10:11], v1, 24, v[6:7]
	v_mov_b32_e32 v3, v6
	global_load_dwordx2 v[6:7], v[2:3], off sc0 sc1
	s_waitcnt vmcnt(0)
	global_atomic_cmpswap_x2 v[6:7], v0, v[6:9], s[2:3] offset:24 sc0 sc1
	s_waitcnt vmcnt(0)
	buffer_inv sc0 sc1
	v_cmp_eq_u64_e32 vcc, v[6:7], v[8:9]
	s_or_b64 s[8:9], vcc, s[8:9]
	s_andn2_b64 exec, exec, s[8:9]
	s_cbranch_execnz .LBB12_1479
; %bb.1480:
	s_or_b64 exec, exec, s[8:9]
.LBB12_1481:
	s_or_b64 exec, exec, s[6:7]
.LBB12_1482:
	s_or_b64 exec, exec, s[4:5]
	v_mov_b32_e32 v29, 0
	global_load_dwordx2 v[8:9], v29, s[2:3] offset:40
	global_load_dwordx4 v[0:3], v29, s[2:3]
	v_readfirstlane_b32 s4, v6
	v_readfirstlane_b32 s5, v7
	s_mov_b64 s[6:7], exec
	s_waitcnt vmcnt(1)
	v_readfirstlane_b32 s8, v8
	v_readfirstlane_b32 s9, v9
	s_and_b64 s[8:9], s[4:5], s[8:9]
	s_mul_i32 s10, s9, 24
	s_mul_hi_u32 s11, s8, 24
	s_add_i32 s11, s11, s10
	s_mul_i32 s10, s8, 24
	s_waitcnt vmcnt(0)
	v_lshl_add_u64 v[8:9], v[0:1], 0, s[10:11]
	s_and_saveexec_b64 s[10:11], s[0:1]
	s_cbranch_execz .LBB12_1484
; %bb.1483:
	v_mov_b64_e32 v[10:11], s[6:7]
	v_mov_b32_e32 v12, 2
	v_mov_b32_e32 v13, 1
	global_store_dwordx4 v[8:9], v[10:13], off offset:8
.LBB12_1484:
	s_or_b64 exec, exec, s[10:11]
	s_lshl_b64 s[6:7], s[8:9], 12
	v_lshl_add_u64 v[10:11], v[2:3], 0, s[6:7]
	s_movk_i32 s6, 0xff1f
	s_mov_b32 s8, 0
	v_and_or_b32 v4, v4, s6, 32
	v_mov_b32_e32 v6, v29
	v_mov_b32_e32 v7, v29
	v_readfirstlane_b32 s6, v10
	v_readfirstlane_b32 s7, v11
	s_mov_b32 s9, s8
	s_mov_b32 s10, s8
	s_mov_b32 s11, s8
	s_nop 1
	global_store_dwordx4 v28, v[4:7], s[6:7]
	v_mov_b64_e32 v[2:3], s[8:9]
	s_nop 0
	v_mov_b64_e32 v[4:5], s[10:11]
	global_store_dwordx4 v28, v[2:5], s[6:7] offset:16
	global_store_dwordx4 v28, v[2:5], s[6:7] offset:32
	;; [unrolled: 1-line block ×3, first 2 shown]
	s_and_saveexec_b64 s[6:7], s[0:1]
	s_cbranch_execz .LBB12_1492
; %bb.1485:
	v_mov_b32_e32 v6, 0
	global_load_dwordx2 v[14:15], v6, s[2:3] offset:32 sc0 sc1
	global_load_dwordx2 v[2:3], v6, s[2:3] offset:40
	v_mov_b32_e32 v12, s4
	v_mov_b32_e32 v13, s5
	s_waitcnt vmcnt(0)
	v_readfirstlane_b32 s8, v2
	v_readfirstlane_b32 s9, v3
	s_and_b64 s[8:9], s[8:9], s[4:5]
	s_mul_i32 s9, s9, 24
	s_mul_hi_u32 s10, s8, 24
	s_mul_i32 s8, s8, 24
	s_add_i32 s9, s10, s9
	v_lshl_add_u64 v[4:5], v[0:1], 0, s[8:9]
	global_store_dwordx2 v[4:5], v[14:15], off
	buffer_wbl2 sc0 sc1
	s_waitcnt vmcnt(0)
	global_atomic_cmpswap_x2 v[2:3], v6, v[12:15], s[2:3] offset:32 sc0 sc1
	s_waitcnt vmcnt(0)
	v_cmp_ne_u64_e32 vcc, v[2:3], v[14:15]
	s_and_saveexec_b64 s[8:9], vcc
	s_cbranch_execz .LBB12_1488
; %bb.1486:
	s_mov_b64 s[10:11], 0
.LBB12_1487:                            ; =>This Inner Loop Header: Depth=1
	s_sleep 1
	global_store_dwordx2 v[4:5], v[2:3], off
	v_mov_b32_e32 v0, s4
	v_mov_b32_e32 v1, s5
	buffer_wbl2 sc0 sc1
	s_waitcnt vmcnt(0)
	global_atomic_cmpswap_x2 v[0:1], v6, v[0:3], s[2:3] offset:32 sc0 sc1
	s_waitcnt vmcnt(0)
	v_cmp_eq_u64_e32 vcc, v[0:1], v[2:3]
	s_or_b64 s[10:11], vcc, s[10:11]
	v_mov_b64_e32 v[2:3], v[0:1]
	s_andn2_b64 exec, exec, s[10:11]
	s_cbranch_execnz .LBB12_1487
.LBB12_1488:
	s_or_b64 exec, exec, s[8:9]
	v_mov_b32_e32 v3, 0
	global_load_dwordx2 v[0:1], v3, s[2:3] offset:16
	s_mov_b64 s[8:9], exec
	v_mbcnt_lo_u32_b32 v2, s8, 0
	v_mbcnt_hi_u32_b32 v2, s9, v2
	v_cmp_eq_u32_e32 vcc, 0, v2
	s_and_saveexec_b64 s[10:11], vcc
	s_cbranch_execz .LBB12_1490
; %bb.1489:
	s_bcnt1_i32_b64 s8, s[8:9]
	v_mov_b32_e32 v2, s8
	buffer_wbl2 sc0 sc1
	s_waitcnt vmcnt(0)
	global_atomic_add_x2 v[0:1], v[2:3], off offset:8 sc1
.LBB12_1490:
	s_or_b64 exec, exec, s[10:11]
	s_waitcnt vmcnt(0)
	global_load_dwordx2 v[2:3], v[0:1], off offset:16
	s_waitcnt vmcnt(0)
	v_cmp_eq_u64_e32 vcc, 0, v[2:3]
	s_cbranch_vccnz .LBB12_1492
; %bb.1491:
	global_load_dword v0, v[0:1], off offset:24
	v_mov_b32_e32 v1, 0
	buffer_wbl2 sc0 sc1
	s_waitcnt vmcnt(0)
	global_store_dwordx2 v[2:3], v[0:1], off sc0 sc1
	v_and_b32_e32 v0, 0xffffff, v0
	s_nop 0
	v_readfirstlane_b32 m0, v0
	s_sendmsg sendmsg(MSG_INTERRUPT)
.LBB12_1492:
	s_or_b64 exec, exec, s[6:7]
	v_lshl_add_u64 v[0:1], v[10:11], 0, v[28:29]
	s_branch .LBB12_1496
.LBB12_1493:                            ;   in Loop: Header=BB12_1496 Depth=1
	s_or_b64 exec, exec, s[6:7]
	v_readfirstlane_b32 s6, v2
	s_cmp_eq_u32 s6, 0
	s_cbranch_scc1 .LBB12_1495
; %bb.1494:                             ;   in Loop: Header=BB12_1496 Depth=1
	s_sleep 1
	s_cbranch_execnz .LBB12_1496
	s_branch .LBB12_1498
.LBB12_1495:
	s_branch .LBB12_1498
.LBB12_1496:                            ; =>This Inner Loop Header: Depth=1
	v_mov_b32_e32 v2, 1
	s_and_saveexec_b64 s[6:7], s[0:1]
	s_cbranch_execz .LBB12_1493
; %bb.1497:                             ;   in Loop: Header=BB12_1496 Depth=1
	global_load_dword v2, v[8:9], off offset:20 sc0 sc1
	s_waitcnt vmcnt(0)
	buffer_inv sc0 sc1
	v_and_b32_e32 v2, 1, v2
	s_branch .LBB12_1493
.LBB12_1498:
	global_load_dwordx2 v[0:1], v[0:1], off
	s_and_saveexec_b64 s[6:7], s[0:1]
	s_cbranch_execz .LBB12_1501
; %bb.1499:
	v_mov_b32_e32 v8, 0
	global_load_dwordx2 v[6:7], v8, s[2:3] offset:40
	global_load_dwordx2 v[10:11], v8, s[2:3] offset:24 sc0 sc1
	global_load_dwordx2 v[12:13], v8, s[2:3]
	s_mov_b64 s[0:1], 0
	s_waitcnt vmcnt(2)
	v_lshl_add_u64 v[2:3], v[6:7], 0, 1
	v_lshl_add_u64 v[14:15], v[2:3], 0, s[4:5]
	v_cmp_eq_u64_e32 vcc, 0, v[14:15]
	s_waitcnt vmcnt(1)
	v_mov_b32_e32 v4, v10
	v_cndmask_b32_e32 v3, v15, v3, vcc
	v_cndmask_b32_e32 v2, v14, v2, vcc
	v_and_b32_e32 v5, v3, v7
	v_and_b32_e32 v6, v2, v6
	v_mul_lo_u32 v5, v5, 24
	v_mul_hi_u32 v7, v6, 24
	v_mul_lo_u32 v6, v6, 24
	v_add_u32_e32 v7, v7, v5
	s_waitcnt vmcnt(0)
	v_lshl_add_u64 v[6:7], v[12:13], 0, v[6:7]
	global_store_dwordx2 v[6:7], v[10:11], off
	v_mov_b32_e32 v5, v11
	buffer_wbl2 sc0 sc1
	s_waitcnt vmcnt(0)
	global_atomic_cmpswap_x2 v[4:5], v8, v[2:5], s[2:3] offset:24 sc0 sc1
	s_waitcnt vmcnt(0)
	v_cmp_ne_u64_e32 vcc, v[4:5], v[10:11]
	s_and_b64 exec, exec, vcc
	s_cbranch_execz .LBB12_1501
.LBB12_1500:                            ; =>This Inner Loop Header: Depth=1
	s_sleep 1
	global_store_dwordx2 v[6:7], v[4:5], off
	buffer_wbl2 sc0 sc1
	s_waitcnt vmcnt(0)
	global_atomic_cmpswap_x2 v[10:11], v8, v[2:5], s[2:3] offset:24 sc0 sc1
	s_waitcnt vmcnt(0)
	v_cmp_eq_u64_e32 vcc, v[10:11], v[4:5]
	s_or_b64 s[0:1], vcc, s[0:1]
	v_mov_b64_e32 v[4:5], v[10:11]
	s_andn2_b64 exec, exec, s[0:1]
	s_cbranch_execnz .LBB12_1500
.LBB12_1501:
	s_or_b64 exec, exec, s[6:7]
.LBB12_1502:
	s_getpc_b64 s[4:5]
	s_add_u32 s4, s4, .str.2@rel32@lo+4
	s_addc_u32 s5, s5, .str.2@rel32@hi+12
	s_cmp_lg_u64 s[4:5], 0
	s_cbranch_scc0 .LBB12_1587
; %bb.1503:
	s_waitcnt vmcnt(0)
	v_and_b32_e32 v6, -3, v0
	v_mov_b32_e32 v7, v1
	s_mov_b64 s[6:7], 13
	v_mov_b32_e32 v27, 0
	v_mov_b32_e32 v4, 2
	;; [unrolled: 1-line block ×3, first 2 shown]
	s_branch .LBB12_1505
.LBB12_1504:                            ;   in Loop: Header=BB12_1505 Depth=1
	s_or_b64 exec, exec, s[12:13]
	s_sub_u32 s6, s6, s8
	s_subb_u32 s7, s7, s9
	s_add_u32 s4, s4, s8
	s_addc_u32 s5, s5, s9
	s_cmp_lg_u64 s[6:7], 0
	s_cbranch_scc0 .LBB12_1586
.LBB12_1505:                            ; =>This Loop Header: Depth=1
                                        ;     Child Loop BB12_1508 Depth 2
                                        ;     Child Loop BB12_1515 Depth 2
	;; [unrolled: 1-line block ×11, first 2 shown]
	v_cmp_lt_u64_e64 s[0:1], s[6:7], 56
	s_and_b64 s[0:1], s[0:1], exec
	v_cmp_gt_u64_e64 s[0:1], s[6:7], 7
	s_cselect_b32 s9, s7, 0
	s_cselect_b32 s8, s6, 56
	s_and_b64 vcc, exec, s[0:1]
	s_cbranch_vccnz .LBB12_1510
; %bb.1506:                             ;   in Loop: Header=BB12_1505 Depth=1
	s_mov_b64 s[0:1], 0
	s_cmp_eq_u64 s[6:7], 0
	s_waitcnt vmcnt(0)
	v_mov_b64_e32 v[8:9], 0
	s_cbranch_scc1 .LBB12_1509
; %bb.1507:                             ;   in Loop: Header=BB12_1505 Depth=1
	s_lshl_b64 s[10:11], s[8:9], 3
	s_mov_b64 s[12:13], 0
	v_mov_b64_e32 v[8:9], 0
	s_mov_b64 s[14:15], s[4:5]
.LBB12_1508:                            ;   Parent Loop BB12_1505 Depth=1
                                        ; =>  This Inner Loop Header: Depth=2
	global_load_ubyte v2, v27, s[14:15]
	s_waitcnt vmcnt(0)
	v_and_b32_e32 v26, 0xffff, v2
	v_lshlrev_b64 v[2:3], s12, v[26:27]
	s_add_u32 s12, s12, 8
	s_addc_u32 s13, s13, 0
	s_add_u32 s14, s14, 1
	s_addc_u32 s15, s15, 0
	v_or_b32_e32 v8, v2, v8
	s_cmp_lg_u32 s10, s12
	v_or_b32_e32 v9, v3, v9
	s_cbranch_scc1 .LBB12_1508
.LBB12_1509:                            ;   in Loop: Header=BB12_1505 Depth=1
	s_mov_b32 s14, 0
	s_andn2_b64 vcc, exec, s[0:1]
	s_mov_b64 s[0:1], s[4:5]
	s_cbranch_vccz .LBB12_1511
	s_branch .LBB12_1512
.LBB12_1510:                            ;   in Loop: Header=BB12_1505 Depth=1
                                        ; implicit-def: $sgpr14
	s_mov_b64 s[0:1], s[4:5]
.LBB12_1511:                            ;   in Loop: Header=BB12_1505 Depth=1
	global_load_dwordx2 v[8:9], v27, s[4:5]
	s_add_i32 s14, s8, -8
	s_add_u32 s0, s4, 8
	s_addc_u32 s1, s5, 0
.LBB12_1512:                            ;   in Loop: Header=BB12_1505 Depth=1
	s_cmp_gt_u32 s14, 7
	s_cbranch_scc1 .LBB12_1516
; %bb.1513:                             ;   in Loop: Header=BB12_1505 Depth=1
	s_cmp_eq_u32 s14, 0
	s_cbranch_scc1 .LBB12_1517
; %bb.1514:                             ;   in Loop: Header=BB12_1505 Depth=1
	s_mov_b64 s[10:11], 0
	v_mov_b64_e32 v[10:11], 0
	s_mov_b64 s[12:13], 0
.LBB12_1515:                            ;   Parent Loop BB12_1505 Depth=1
                                        ; =>  This Inner Loop Header: Depth=2
	s_add_u32 s16, s0, s12
	s_addc_u32 s17, s1, s13
	global_load_ubyte v2, v27, s[16:17]
	s_add_u32 s12, s12, 1
	s_addc_u32 s13, s13, 0
	s_waitcnt vmcnt(0)
	v_and_b32_e32 v26, 0xffff, v2
	v_lshlrev_b64 v[2:3], s10, v[26:27]
	s_add_u32 s10, s10, 8
	s_addc_u32 s11, s11, 0
	v_or_b32_e32 v10, v2, v10
	s_cmp_lg_u32 s14, s12
	v_or_b32_e32 v11, v3, v11
	s_cbranch_scc1 .LBB12_1515
	s_branch .LBB12_1518
.LBB12_1516:                            ;   in Loop: Header=BB12_1505 Depth=1
                                        ; implicit-def: $vgpr10_vgpr11
                                        ; implicit-def: $sgpr15
	s_branch .LBB12_1519
.LBB12_1517:                            ;   in Loop: Header=BB12_1505 Depth=1
	v_mov_b64_e32 v[10:11], 0
.LBB12_1518:                            ;   in Loop: Header=BB12_1505 Depth=1
	s_mov_b32 s15, 0
	s_cbranch_execnz .LBB12_1520
.LBB12_1519:                            ;   in Loop: Header=BB12_1505 Depth=1
	global_load_dwordx2 v[10:11], v27, s[0:1]
	s_add_i32 s15, s14, -8
	s_add_u32 s0, s0, 8
	s_addc_u32 s1, s1, 0
.LBB12_1520:                            ;   in Loop: Header=BB12_1505 Depth=1
	s_cmp_gt_u32 s15, 7
	s_cbranch_scc1 .LBB12_1524
; %bb.1521:                             ;   in Loop: Header=BB12_1505 Depth=1
	s_cmp_eq_u32 s15, 0
	s_cbranch_scc1 .LBB12_1525
; %bb.1522:                             ;   in Loop: Header=BB12_1505 Depth=1
	s_mov_b64 s[10:11], 0
	v_mov_b64_e32 v[12:13], 0
	s_mov_b64 s[12:13], 0
.LBB12_1523:                            ;   Parent Loop BB12_1505 Depth=1
                                        ; =>  This Inner Loop Header: Depth=2
	s_add_u32 s16, s0, s12
	s_addc_u32 s17, s1, s13
	global_load_ubyte v2, v27, s[16:17]
	s_add_u32 s12, s12, 1
	s_addc_u32 s13, s13, 0
	s_waitcnt vmcnt(0)
	v_and_b32_e32 v26, 0xffff, v2
	v_lshlrev_b64 v[2:3], s10, v[26:27]
	s_add_u32 s10, s10, 8
	s_addc_u32 s11, s11, 0
	v_or_b32_e32 v12, v2, v12
	s_cmp_lg_u32 s15, s12
	v_or_b32_e32 v13, v3, v13
	s_cbranch_scc1 .LBB12_1523
	s_branch .LBB12_1526
.LBB12_1524:                            ;   in Loop: Header=BB12_1505 Depth=1
                                        ; implicit-def: $sgpr14
	s_branch .LBB12_1527
.LBB12_1525:                            ;   in Loop: Header=BB12_1505 Depth=1
	v_mov_b64_e32 v[12:13], 0
.LBB12_1526:                            ;   in Loop: Header=BB12_1505 Depth=1
	s_mov_b32 s14, 0
	s_cbranch_execnz .LBB12_1528
.LBB12_1527:                            ;   in Loop: Header=BB12_1505 Depth=1
	global_load_dwordx2 v[12:13], v27, s[0:1]
	s_add_i32 s14, s15, -8
	s_add_u32 s0, s0, 8
	s_addc_u32 s1, s1, 0
.LBB12_1528:                            ;   in Loop: Header=BB12_1505 Depth=1
	s_cmp_gt_u32 s14, 7
	s_cbranch_scc1 .LBB12_1532
; %bb.1529:                             ;   in Loop: Header=BB12_1505 Depth=1
	s_cmp_eq_u32 s14, 0
	s_cbranch_scc1 .LBB12_1533
; %bb.1530:                             ;   in Loop: Header=BB12_1505 Depth=1
	s_mov_b64 s[10:11], 0
	v_mov_b64_e32 v[14:15], 0
	s_mov_b64 s[12:13], 0
.LBB12_1531:                            ;   Parent Loop BB12_1505 Depth=1
                                        ; =>  This Inner Loop Header: Depth=2
	s_add_u32 s16, s0, s12
	s_addc_u32 s17, s1, s13
	global_load_ubyte v2, v27, s[16:17]
	s_add_u32 s12, s12, 1
	s_addc_u32 s13, s13, 0
	s_waitcnt vmcnt(0)
	v_and_b32_e32 v26, 0xffff, v2
	v_lshlrev_b64 v[2:3], s10, v[26:27]
	s_add_u32 s10, s10, 8
	s_addc_u32 s11, s11, 0
	v_or_b32_e32 v14, v2, v14
	s_cmp_lg_u32 s14, s12
	v_or_b32_e32 v15, v3, v15
	s_cbranch_scc1 .LBB12_1531
	s_branch .LBB12_1534
.LBB12_1532:                            ;   in Loop: Header=BB12_1505 Depth=1
                                        ; implicit-def: $vgpr14_vgpr15
                                        ; implicit-def: $sgpr15
	s_branch .LBB12_1535
.LBB12_1533:                            ;   in Loop: Header=BB12_1505 Depth=1
	v_mov_b64_e32 v[14:15], 0
.LBB12_1534:                            ;   in Loop: Header=BB12_1505 Depth=1
	s_mov_b32 s15, 0
	s_cbranch_execnz .LBB12_1536
.LBB12_1535:                            ;   in Loop: Header=BB12_1505 Depth=1
	global_load_dwordx2 v[14:15], v27, s[0:1]
	s_add_i32 s15, s14, -8
	s_add_u32 s0, s0, 8
	s_addc_u32 s1, s1, 0
.LBB12_1536:                            ;   in Loop: Header=BB12_1505 Depth=1
	s_cmp_gt_u32 s15, 7
	s_cbranch_scc1 .LBB12_1540
; %bb.1537:                             ;   in Loop: Header=BB12_1505 Depth=1
	s_cmp_eq_u32 s15, 0
	s_cbranch_scc1 .LBB12_1541
; %bb.1538:                             ;   in Loop: Header=BB12_1505 Depth=1
	s_mov_b64 s[10:11], 0
	v_mov_b64_e32 v[16:17], 0
	s_mov_b64 s[12:13], 0
.LBB12_1539:                            ;   Parent Loop BB12_1505 Depth=1
                                        ; =>  This Inner Loop Header: Depth=2
	s_add_u32 s16, s0, s12
	s_addc_u32 s17, s1, s13
	global_load_ubyte v2, v27, s[16:17]
	s_add_u32 s12, s12, 1
	s_addc_u32 s13, s13, 0
	s_waitcnt vmcnt(0)
	v_and_b32_e32 v26, 0xffff, v2
	v_lshlrev_b64 v[2:3], s10, v[26:27]
	s_add_u32 s10, s10, 8
	s_addc_u32 s11, s11, 0
	v_or_b32_e32 v16, v2, v16
	s_cmp_lg_u32 s15, s12
	v_or_b32_e32 v17, v3, v17
	s_cbranch_scc1 .LBB12_1539
	s_branch .LBB12_1542
.LBB12_1540:                            ;   in Loop: Header=BB12_1505 Depth=1
                                        ; implicit-def: $sgpr14
	s_branch .LBB12_1543
.LBB12_1541:                            ;   in Loop: Header=BB12_1505 Depth=1
	v_mov_b64_e32 v[16:17], 0
.LBB12_1542:                            ;   in Loop: Header=BB12_1505 Depth=1
	s_mov_b32 s14, 0
	s_cbranch_execnz .LBB12_1544
.LBB12_1543:                            ;   in Loop: Header=BB12_1505 Depth=1
	global_load_dwordx2 v[16:17], v27, s[0:1]
	s_add_i32 s14, s15, -8
	s_add_u32 s0, s0, 8
	s_addc_u32 s1, s1, 0
.LBB12_1544:                            ;   in Loop: Header=BB12_1505 Depth=1
	s_cmp_gt_u32 s14, 7
	s_cbranch_scc1 .LBB12_1548
; %bb.1545:                             ;   in Loop: Header=BB12_1505 Depth=1
	s_cmp_eq_u32 s14, 0
	s_cbranch_scc1 .LBB12_1549
; %bb.1546:                             ;   in Loop: Header=BB12_1505 Depth=1
	s_mov_b64 s[10:11], 0
	v_mov_b64_e32 v[18:19], 0
	s_mov_b64 s[12:13], 0
.LBB12_1547:                            ;   Parent Loop BB12_1505 Depth=1
                                        ; =>  This Inner Loop Header: Depth=2
	s_add_u32 s16, s0, s12
	s_addc_u32 s17, s1, s13
	global_load_ubyte v2, v27, s[16:17]
	s_add_u32 s12, s12, 1
	s_addc_u32 s13, s13, 0
	s_waitcnt vmcnt(0)
	v_and_b32_e32 v26, 0xffff, v2
	v_lshlrev_b64 v[2:3], s10, v[26:27]
	s_add_u32 s10, s10, 8
	s_addc_u32 s11, s11, 0
	v_or_b32_e32 v18, v2, v18
	s_cmp_lg_u32 s14, s12
	v_or_b32_e32 v19, v3, v19
	s_cbranch_scc1 .LBB12_1547
	s_branch .LBB12_1550
.LBB12_1548:                            ;   in Loop: Header=BB12_1505 Depth=1
                                        ; implicit-def: $vgpr18_vgpr19
                                        ; implicit-def: $sgpr15
	s_branch .LBB12_1551
.LBB12_1549:                            ;   in Loop: Header=BB12_1505 Depth=1
	v_mov_b64_e32 v[18:19], 0
.LBB12_1550:                            ;   in Loop: Header=BB12_1505 Depth=1
	s_mov_b32 s15, 0
	s_cbranch_execnz .LBB12_1552
.LBB12_1551:                            ;   in Loop: Header=BB12_1505 Depth=1
	global_load_dwordx2 v[18:19], v27, s[0:1]
	s_add_i32 s15, s14, -8
	s_add_u32 s0, s0, 8
	s_addc_u32 s1, s1, 0
.LBB12_1552:                            ;   in Loop: Header=BB12_1505 Depth=1
	s_cmp_gt_u32 s15, 7
	s_cbranch_scc1 .LBB12_1556
; %bb.1553:                             ;   in Loop: Header=BB12_1505 Depth=1
	s_cmp_eq_u32 s15, 0
	s_cbranch_scc1 .LBB12_1557
; %bb.1554:                             ;   in Loop: Header=BB12_1505 Depth=1
	s_mov_b64 s[10:11], 0
	v_mov_b64_e32 v[20:21], 0
	s_mov_b64 s[12:13], s[0:1]
.LBB12_1555:                            ;   Parent Loop BB12_1505 Depth=1
                                        ; =>  This Inner Loop Header: Depth=2
	global_load_ubyte v2, v27, s[12:13]
	s_add_i32 s15, s15, -1
	s_waitcnt vmcnt(0)
	v_and_b32_e32 v26, 0xffff, v2
	v_lshlrev_b64 v[2:3], s10, v[26:27]
	s_add_u32 s10, s10, 8
	s_addc_u32 s11, s11, 0
	s_add_u32 s12, s12, 1
	s_addc_u32 s13, s13, 0
	v_or_b32_e32 v20, v2, v20
	s_cmp_lg_u32 s15, 0
	v_or_b32_e32 v21, v3, v21
	s_cbranch_scc1 .LBB12_1555
	s_branch .LBB12_1558
.LBB12_1556:                            ;   in Loop: Header=BB12_1505 Depth=1
	s_branch .LBB12_1559
.LBB12_1557:                            ;   in Loop: Header=BB12_1505 Depth=1
	v_mov_b64_e32 v[20:21], 0
.LBB12_1558:                            ;   in Loop: Header=BB12_1505 Depth=1
	s_cbranch_execnz .LBB12_1560
.LBB12_1559:                            ;   in Loop: Header=BB12_1505 Depth=1
	global_load_dwordx2 v[20:21], v27, s[0:1]
.LBB12_1560:                            ;   in Loop: Header=BB12_1505 Depth=1
	v_readfirstlane_b32 s0, v36
	v_mov_b64_e32 v[2:3], 0
	s_nop 0
	v_cmp_eq_u32_e64 s[0:1], s0, v36
	s_and_saveexec_b64 s[10:11], s[0:1]
	s_cbranch_execz .LBB12_1566
; %bb.1561:                             ;   in Loop: Header=BB12_1505 Depth=1
	global_load_dwordx2 v[24:25], v27, s[2:3] offset:24 sc0 sc1
	s_waitcnt vmcnt(0)
	buffer_inv sc0 sc1
	global_load_dwordx2 v[2:3], v27, s[2:3] offset:40
	global_load_dwordx2 v[22:23], v27, s[2:3]
	s_waitcnt vmcnt(1)
	v_and_b32_e32 v2, v2, v24
	v_and_b32_e32 v3, v3, v25
	v_mul_lo_u32 v3, v3, 24
	v_mul_hi_u32 v26, v2, 24
	v_add_u32_e32 v3, v26, v3
	v_mul_lo_u32 v2, v2, 24
	s_waitcnt vmcnt(0)
	v_lshl_add_u64 v[2:3], v[22:23], 0, v[2:3]
	global_load_dwordx2 v[22:23], v[2:3], off sc0 sc1
	s_waitcnt vmcnt(0)
	global_atomic_cmpswap_x2 v[2:3], v27, v[22:25], s[2:3] offset:24 sc0 sc1
	s_waitcnt vmcnt(0)
	buffer_inv sc0 sc1
	v_cmp_ne_u64_e32 vcc, v[2:3], v[24:25]
	s_and_saveexec_b64 s[12:13], vcc
	s_cbranch_execz .LBB12_1565
; %bb.1562:                             ;   in Loop: Header=BB12_1505 Depth=1
	s_mov_b64 s[14:15], 0
.LBB12_1563:                            ;   Parent Loop BB12_1505 Depth=1
                                        ; =>  This Inner Loop Header: Depth=2
	s_sleep 1
	global_load_dwordx2 v[22:23], v27, s[2:3] offset:40
	global_load_dwordx2 v[30:31], v27, s[2:3]
	v_mov_b64_e32 v[24:25], v[2:3]
	s_waitcnt vmcnt(1)
	v_and_b32_e32 v2, v22, v24
	s_waitcnt vmcnt(0)
	v_mad_u64_u32 v[2:3], s[16:17], v2, 24, v[30:31]
	v_and_b32_e32 v23, v23, v25
	v_mov_b32_e32 v22, v3
	v_mad_u64_u32 v[22:23], s[16:17], v23, 24, v[22:23]
	v_mov_b32_e32 v3, v22
	global_load_dwordx2 v[22:23], v[2:3], off sc0 sc1
	s_waitcnt vmcnt(0)
	global_atomic_cmpswap_x2 v[2:3], v27, v[22:25], s[2:3] offset:24 sc0 sc1
	s_waitcnt vmcnt(0)
	buffer_inv sc0 sc1
	v_cmp_eq_u64_e32 vcc, v[2:3], v[24:25]
	s_or_b64 s[14:15], vcc, s[14:15]
	s_andn2_b64 exec, exec, s[14:15]
	s_cbranch_execnz .LBB12_1563
; %bb.1564:                             ;   in Loop: Header=BB12_1505 Depth=1
	s_or_b64 exec, exec, s[14:15]
.LBB12_1565:                            ;   in Loop: Header=BB12_1505 Depth=1
	s_or_b64 exec, exec, s[12:13]
.LBB12_1566:                            ;   in Loop: Header=BB12_1505 Depth=1
	s_or_b64 exec, exec, s[10:11]
	global_load_dwordx2 v[30:31], v27, s[2:3] offset:40
	global_load_dwordx4 v[22:25], v27, s[2:3]
	v_readfirstlane_b32 s10, v2
	v_readfirstlane_b32 s11, v3
	s_mov_b64 s[12:13], exec
	s_waitcnt vmcnt(1)
	v_readfirstlane_b32 s14, v30
	v_readfirstlane_b32 s15, v31
	s_and_b64 s[14:15], s[10:11], s[14:15]
	s_mul_i32 s16, s15, 24
	s_mul_hi_u32 s17, s14, 24
	s_add_i32 s17, s17, s16
	s_mul_i32 s16, s14, 24
	s_waitcnt vmcnt(0)
	v_lshl_add_u64 v[30:31], v[22:23], 0, s[16:17]
	s_and_saveexec_b64 s[16:17], s[0:1]
	s_cbranch_execz .LBB12_1568
; %bb.1567:                             ;   in Loop: Header=BB12_1505 Depth=1
	v_mov_b64_e32 v[2:3], s[12:13]
	global_store_dwordx4 v[30:31], v[2:5], off offset:8
.LBB12_1568:                            ;   in Loop: Header=BB12_1505 Depth=1
	s_or_b64 exec, exec, s[16:17]
	s_lshl_b64 s[12:13], s[14:15], 12
	v_lshl_add_u64 v[2:3], v[24:25], 0, s[12:13]
	v_or_b32_e32 v24, 2, v6
	v_cmp_gt_u64_e64 vcc, s[6:7], 56
	s_lshl_b32 s12, s8, 2
	s_add_i32 s12, s12, 28
	v_cndmask_b32_e32 v6, v24, v6, vcc
	s_and_b32 s12, s12, 0x1e0
	v_and_b32_e32 v6, 0xffffff1f, v6
	v_or_b32_e32 v6, s12, v6
	v_readfirstlane_b32 s12, v2
	v_readfirstlane_b32 s13, v3
	s_nop 4
	global_store_dwordx4 v28, v[6:9], s[12:13]
	global_store_dwordx4 v28, v[10:13], s[12:13] offset:16
	global_store_dwordx4 v28, v[14:17], s[12:13] offset:32
	global_store_dwordx4 v28, v[18:21], s[12:13] offset:48
	s_and_saveexec_b64 s[12:13], s[0:1]
	s_cbranch_execz .LBB12_1576
; %bb.1569:                             ;   in Loop: Header=BB12_1505 Depth=1
	global_load_dwordx2 v[14:15], v27, s[2:3] offset:32 sc0 sc1
	global_load_dwordx2 v[6:7], v27, s[2:3] offset:40
	v_mov_b32_e32 v12, s10
	v_mov_b32_e32 v13, s11
	s_waitcnt vmcnt(0)
	v_readfirstlane_b32 s14, v6
	v_readfirstlane_b32 s15, v7
	s_and_b64 s[14:15], s[14:15], s[10:11]
	s_mul_i32 s15, s15, 24
	s_mul_hi_u32 s16, s14, 24
	s_mul_i32 s14, s14, 24
	s_add_i32 s15, s16, s15
	v_lshl_add_u64 v[10:11], v[22:23], 0, s[14:15]
	global_store_dwordx2 v[10:11], v[14:15], off
	buffer_wbl2 sc0 sc1
	s_waitcnt vmcnt(0)
	global_atomic_cmpswap_x2 v[8:9], v27, v[12:15], s[2:3] offset:32 sc0 sc1
	s_waitcnt vmcnt(0)
	v_cmp_ne_u64_e32 vcc, v[8:9], v[14:15]
	s_and_saveexec_b64 s[14:15], vcc
	s_cbranch_execz .LBB12_1572
; %bb.1570:                             ;   in Loop: Header=BB12_1505 Depth=1
	s_mov_b64 s[16:17], 0
.LBB12_1571:                            ;   Parent Loop BB12_1505 Depth=1
                                        ; =>  This Inner Loop Header: Depth=2
	s_sleep 1
	global_store_dwordx2 v[10:11], v[8:9], off
	v_mov_b32_e32 v6, s10
	v_mov_b32_e32 v7, s11
	buffer_wbl2 sc0 sc1
	s_waitcnt vmcnt(0)
	global_atomic_cmpswap_x2 v[6:7], v27, v[6:9], s[2:3] offset:32 sc0 sc1
	s_waitcnt vmcnt(0)
	v_cmp_eq_u64_e32 vcc, v[6:7], v[8:9]
	s_or_b64 s[16:17], vcc, s[16:17]
	v_mov_b64_e32 v[8:9], v[6:7]
	s_andn2_b64 exec, exec, s[16:17]
	s_cbranch_execnz .LBB12_1571
.LBB12_1572:                            ;   in Loop: Header=BB12_1505 Depth=1
	s_or_b64 exec, exec, s[14:15]
	global_load_dwordx2 v[6:7], v27, s[2:3] offset:16
	s_mov_b64 s[16:17], exec
	v_mbcnt_lo_u32_b32 v8, s16, 0
	v_mbcnt_hi_u32_b32 v8, s17, v8
	v_cmp_eq_u32_e32 vcc, 0, v8
	s_and_saveexec_b64 s[14:15], vcc
	s_cbranch_execz .LBB12_1574
; %bb.1573:                             ;   in Loop: Header=BB12_1505 Depth=1
	s_bcnt1_i32_b64 s16, s[16:17]
	v_mov_b32_e32 v26, s16
	buffer_wbl2 sc0 sc1
	s_waitcnt vmcnt(0)
	global_atomic_add_x2 v[6:7], v[26:27], off offset:8 sc1
.LBB12_1574:                            ;   in Loop: Header=BB12_1505 Depth=1
	s_or_b64 exec, exec, s[14:15]
	s_waitcnt vmcnt(0)
	global_load_dwordx2 v[8:9], v[6:7], off offset:16
	s_waitcnt vmcnt(0)
	v_cmp_eq_u64_e32 vcc, 0, v[8:9]
	s_cbranch_vccnz .LBB12_1576
; %bb.1575:                             ;   in Loop: Header=BB12_1505 Depth=1
	global_load_dword v26, v[6:7], off offset:24
	s_waitcnt vmcnt(0)
	v_and_b32_e32 v6, 0xffffff, v26
	s_nop 0
	v_readfirstlane_b32 m0, v6
	buffer_wbl2 sc0 sc1
	global_store_dwordx2 v[8:9], v[26:27], off sc0 sc1
	s_sendmsg sendmsg(MSG_INTERRUPT)
.LBB12_1576:                            ;   in Loop: Header=BB12_1505 Depth=1
	s_or_b64 exec, exec, s[12:13]
	v_mov_b32_e32 v29, v27
	v_lshl_add_u64 v[2:3], v[2:3], 0, v[28:29]
	s_branch .LBB12_1580
.LBB12_1577:                            ;   in Loop: Header=BB12_1580 Depth=2
	s_or_b64 exec, exec, s[12:13]
	v_readfirstlane_b32 s12, v6
	s_cmp_eq_u32 s12, 0
	s_cbranch_scc1 .LBB12_1579
; %bb.1578:                             ;   in Loop: Header=BB12_1580 Depth=2
	s_sleep 1
	s_cbranch_execnz .LBB12_1580
	s_branch .LBB12_1582
.LBB12_1579:                            ;   in Loop: Header=BB12_1505 Depth=1
	s_branch .LBB12_1582
.LBB12_1580:                            ;   Parent Loop BB12_1505 Depth=1
                                        ; =>  This Inner Loop Header: Depth=2
	v_mov_b32_e32 v6, 1
	s_and_saveexec_b64 s[12:13], s[0:1]
	s_cbranch_execz .LBB12_1577
; %bb.1581:                             ;   in Loop: Header=BB12_1580 Depth=2
	global_load_dword v6, v[30:31], off offset:20 sc0 sc1
	s_waitcnt vmcnt(0)
	buffer_inv sc0 sc1
	v_and_b32_e32 v6, 1, v6
	s_branch .LBB12_1577
.LBB12_1582:                            ;   in Loop: Header=BB12_1505 Depth=1
	global_load_dwordx4 v[6:9], v[2:3], off
	s_and_saveexec_b64 s[12:13], s[0:1]
	s_cbranch_execz .LBB12_1504
; %bb.1583:                             ;   in Loop: Header=BB12_1505 Depth=1
	global_load_dwordx2 v[2:3], v27, s[2:3] offset:40
	global_load_dwordx2 v[12:13], v27, s[2:3] offset:24 sc0 sc1
	global_load_dwordx2 v[14:15], v27, s[2:3]
	s_waitcnt vmcnt(2)
	v_lshl_add_u64 v[8:9], v[2:3], 0, 1
	v_lshl_add_u64 v[16:17], v[8:9], 0, s[10:11]
	v_cmp_eq_u64_e32 vcc, 0, v[16:17]
	s_waitcnt vmcnt(1)
	v_mov_b32_e32 v10, v12
	v_cndmask_b32_e32 v9, v17, v9, vcc
	v_cndmask_b32_e32 v8, v16, v8, vcc
	v_and_b32_e32 v3, v9, v3
	v_and_b32_e32 v2, v8, v2
	v_mul_lo_u32 v3, v3, 24
	v_mul_hi_u32 v11, v2, 24
	v_mul_lo_u32 v2, v2, 24
	v_add_u32_e32 v3, v11, v3
	s_waitcnt vmcnt(0)
	v_lshl_add_u64 v[2:3], v[14:15], 0, v[2:3]
	global_store_dwordx2 v[2:3], v[12:13], off
	v_mov_b32_e32 v11, v13
	buffer_wbl2 sc0 sc1
	s_waitcnt vmcnt(0)
	global_atomic_cmpswap_x2 v[10:11], v27, v[8:11], s[2:3] offset:24 sc0 sc1
	s_waitcnt vmcnt(0)
	v_cmp_ne_u64_e32 vcc, v[10:11], v[12:13]
	s_and_b64 exec, exec, vcc
	s_cbranch_execz .LBB12_1504
; %bb.1584:                             ;   in Loop: Header=BB12_1505 Depth=1
	s_mov_b64 s[0:1], 0
.LBB12_1585:                            ;   Parent Loop BB12_1505 Depth=1
                                        ; =>  This Inner Loop Header: Depth=2
	s_sleep 1
	global_store_dwordx2 v[2:3], v[10:11], off
	buffer_wbl2 sc0 sc1
	s_waitcnt vmcnt(0)
	global_atomic_cmpswap_x2 v[12:13], v27, v[8:11], s[2:3] offset:24 sc0 sc1
	s_waitcnt vmcnt(0)
	v_cmp_eq_u64_e32 vcc, v[12:13], v[10:11]
	s_or_b64 s[0:1], vcc, s[0:1]
	v_mov_b64_e32 v[10:11], v[12:13]
	s_andn2_b64 exec, exec, s[0:1]
	s_cbranch_execnz .LBB12_1585
	s_branch .LBB12_1504
.LBB12_1586:
	s_mov_b64 s[0:1], 0
	s_branch .LBB12_1588
.LBB12_1587:
	s_mov_b64 s[0:1], -1
.LBB12_1588:
	s_and_b64 vcc, exec, s[0:1]
	s_cbranch_vccz .LBB12_1615
; %bb.1589:
	v_readfirstlane_b32 s0, v36
	s_waitcnt vmcnt(0)
	v_mov_b64_e32 v[8:9], 0
	v_cmp_eq_u32_e64 s[0:1], s0, v36
	s_and_saveexec_b64 s[4:5], s[0:1]
	s_cbranch_execz .LBB12_1595
; %bb.1590:
	v_mov_b32_e32 v2, 0
	global_load_dwordx2 v[6:7], v2, s[2:3] offset:24 sc0 sc1
	s_waitcnt vmcnt(0)
	buffer_inv sc0 sc1
	global_load_dwordx2 v[4:5], v2, s[2:3] offset:40
	global_load_dwordx2 v[8:9], v2, s[2:3]
	s_waitcnt vmcnt(1)
	v_and_b32_e32 v3, v4, v6
	v_and_b32_e32 v4, v5, v7
	v_mul_lo_u32 v4, v4, 24
	v_mul_hi_u32 v5, v3, 24
	v_add_u32_e32 v5, v5, v4
	v_mul_lo_u32 v4, v3, 24
	s_waitcnt vmcnt(0)
	v_lshl_add_u64 v[4:5], v[8:9], 0, v[4:5]
	global_load_dwordx2 v[4:5], v[4:5], off sc0 sc1
	s_waitcnt vmcnt(0)
	global_atomic_cmpswap_x2 v[8:9], v2, v[4:7], s[2:3] offset:24 sc0 sc1
	s_waitcnt vmcnt(0)
	buffer_inv sc0 sc1
	v_cmp_ne_u64_e32 vcc, v[8:9], v[6:7]
	s_and_saveexec_b64 s[6:7], vcc
	s_cbranch_execz .LBB12_1594
; %bb.1591:
	s_mov_b64 s[8:9], 0
.LBB12_1592:                            ; =>This Inner Loop Header: Depth=1
	s_sleep 1
	global_load_dwordx2 v[4:5], v2, s[2:3] offset:40
	global_load_dwordx2 v[10:11], v2, s[2:3]
	v_mov_b64_e32 v[6:7], v[8:9]
	s_waitcnt vmcnt(1)
	v_and_b32_e32 v4, v4, v6
	v_and_b32_e32 v3, v5, v7
	s_waitcnt vmcnt(0)
	v_mad_u64_u32 v[4:5], s[10:11], v4, 24, v[10:11]
	v_mov_b32_e32 v8, v5
	v_mad_u64_u32 v[8:9], s[10:11], v3, 24, v[8:9]
	v_mov_b32_e32 v5, v8
	global_load_dwordx2 v[4:5], v[4:5], off sc0 sc1
	s_waitcnt vmcnt(0)
	global_atomic_cmpswap_x2 v[8:9], v2, v[4:7], s[2:3] offset:24 sc0 sc1
	s_waitcnt vmcnt(0)
	buffer_inv sc0 sc1
	v_cmp_eq_u64_e32 vcc, v[8:9], v[6:7]
	s_or_b64 s[8:9], vcc, s[8:9]
	s_andn2_b64 exec, exec, s[8:9]
	s_cbranch_execnz .LBB12_1592
; %bb.1593:
	s_or_b64 exec, exec, s[8:9]
.LBB12_1594:
	s_or_b64 exec, exec, s[6:7]
.LBB12_1595:
	s_or_b64 exec, exec, s[4:5]
	v_mov_b32_e32 v2, 0
	global_load_dwordx2 v[10:11], v2, s[2:3] offset:40
	global_load_dwordx4 v[4:7], v2, s[2:3]
	v_readfirstlane_b32 s4, v8
	v_readfirstlane_b32 s5, v9
	s_mov_b64 s[6:7], exec
	s_waitcnt vmcnt(1)
	v_readfirstlane_b32 s8, v10
	v_readfirstlane_b32 s9, v11
	s_and_b64 s[8:9], s[4:5], s[8:9]
	s_mul_i32 s10, s9, 24
	s_mul_hi_u32 s11, s8, 24
	s_add_i32 s11, s11, s10
	s_mul_i32 s10, s8, 24
	s_waitcnt vmcnt(0)
	v_lshl_add_u64 v[8:9], v[4:5], 0, s[10:11]
	s_and_saveexec_b64 s[10:11], s[0:1]
	s_cbranch_execz .LBB12_1597
; %bb.1596:
	v_mov_b64_e32 v[10:11], s[6:7]
	v_mov_b32_e32 v12, 2
	v_mov_b32_e32 v13, 1
	global_store_dwordx4 v[8:9], v[10:13], off offset:8
.LBB12_1597:
	s_or_b64 exec, exec, s[10:11]
	s_lshl_b64 s[6:7], s[8:9], 12
	v_lshl_add_u64 v[6:7], v[6:7], 0, s[6:7]
	s_movk_i32 s6, 0xff1d
	s_mov_b32 s8, 0
	v_and_or_b32 v0, v0, s6, 34
	v_mov_b32_e32 v3, v2
	v_readfirstlane_b32 s6, v6
	v_readfirstlane_b32 s7, v7
	s_mov_b32 s9, s8
	s_mov_b32 s10, s8
	;; [unrolled: 1-line block ×3, first 2 shown]
	s_nop 1
	global_store_dwordx4 v28, v[0:3], s[6:7]
	s_nop 1
	v_mov_b64_e32 v[0:1], s[8:9]
	v_mov_b64_e32 v[2:3], s[10:11]
	global_store_dwordx4 v28, v[0:3], s[6:7] offset:16
	global_store_dwordx4 v28, v[0:3], s[6:7] offset:32
	;; [unrolled: 1-line block ×3, first 2 shown]
	s_and_saveexec_b64 s[6:7], s[0:1]
	s_cbranch_execz .LBB12_1605
; %bb.1598:
	v_mov_b32_e32 v6, 0
	global_load_dwordx2 v[12:13], v6, s[2:3] offset:32 sc0 sc1
	global_load_dwordx2 v[0:1], v6, s[2:3] offset:40
	v_mov_b32_e32 v10, s4
	v_mov_b32_e32 v11, s5
	s_waitcnt vmcnt(0)
	v_readfirstlane_b32 s8, v0
	v_readfirstlane_b32 s9, v1
	s_and_b64 s[8:9], s[8:9], s[4:5]
	s_mul_i32 s9, s9, 24
	s_mul_hi_u32 s10, s8, 24
	s_mul_i32 s8, s8, 24
	s_add_i32 s9, s10, s9
	v_lshl_add_u64 v[4:5], v[4:5], 0, s[8:9]
	global_store_dwordx2 v[4:5], v[12:13], off
	buffer_wbl2 sc0 sc1
	s_waitcnt vmcnt(0)
	global_atomic_cmpswap_x2 v[2:3], v6, v[10:13], s[2:3] offset:32 sc0 sc1
	s_waitcnt vmcnt(0)
	v_cmp_ne_u64_e32 vcc, v[2:3], v[12:13]
	s_and_saveexec_b64 s[8:9], vcc
	s_cbranch_execz .LBB12_1601
; %bb.1599:
	s_mov_b64 s[10:11], 0
.LBB12_1600:                            ; =>This Inner Loop Header: Depth=1
	s_sleep 1
	global_store_dwordx2 v[4:5], v[2:3], off
	v_mov_b32_e32 v0, s4
	v_mov_b32_e32 v1, s5
	buffer_wbl2 sc0 sc1
	s_waitcnt vmcnt(0)
	global_atomic_cmpswap_x2 v[0:1], v6, v[0:3], s[2:3] offset:32 sc0 sc1
	s_waitcnt vmcnt(0)
	v_cmp_eq_u64_e32 vcc, v[0:1], v[2:3]
	s_or_b64 s[10:11], vcc, s[10:11]
	v_mov_b64_e32 v[2:3], v[0:1]
	s_andn2_b64 exec, exec, s[10:11]
	s_cbranch_execnz .LBB12_1600
.LBB12_1601:
	s_or_b64 exec, exec, s[8:9]
	v_mov_b32_e32 v3, 0
	global_load_dwordx2 v[0:1], v3, s[2:3] offset:16
	s_mov_b64 s[8:9], exec
	v_mbcnt_lo_u32_b32 v2, s8, 0
	v_mbcnt_hi_u32_b32 v2, s9, v2
	v_cmp_eq_u32_e32 vcc, 0, v2
	s_and_saveexec_b64 s[10:11], vcc
	s_cbranch_execz .LBB12_1603
; %bb.1602:
	s_bcnt1_i32_b64 s8, s[8:9]
	v_mov_b32_e32 v2, s8
	buffer_wbl2 sc0 sc1
	s_waitcnt vmcnt(0)
	global_atomic_add_x2 v[0:1], v[2:3], off offset:8 sc1
.LBB12_1603:
	s_or_b64 exec, exec, s[10:11]
	s_waitcnt vmcnt(0)
	global_load_dwordx2 v[2:3], v[0:1], off offset:16
	s_waitcnt vmcnt(0)
	v_cmp_eq_u64_e32 vcc, 0, v[2:3]
	s_cbranch_vccnz .LBB12_1605
; %bb.1604:
	global_load_dword v0, v[0:1], off offset:24
	v_mov_b32_e32 v1, 0
	buffer_wbl2 sc0 sc1
	s_waitcnt vmcnt(0)
	global_store_dwordx2 v[2:3], v[0:1], off sc0 sc1
	v_and_b32_e32 v0, 0xffffff, v0
	s_nop 0
	v_readfirstlane_b32 m0, v0
	s_sendmsg sendmsg(MSG_INTERRUPT)
.LBB12_1605:
	s_or_b64 exec, exec, s[6:7]
	s_branch .LBB12_1609
.LBB12_1606:                            ;   in Loop: Header=BB12_1609 Depth=1
	s_or_b64 exec, exec, s[6:7]
	v_readfirstlane_b32 s6, v0
	s_cmp_eq_u32 s6, 0
	s_cbranch_scc1 .LBB12_1608
; %bb.1607:                             ;   in Loop: Header=BB12_1609 Depth=1
	s_sleep 1
	s_cbranch_execnz .LBB12_1609
	s_branch .LBB12_1611
.LBB12_1608:
	s_branch .LBB12_1611
.LBB12_1609:                            ; =>This Inner Loop Header: Depth=1
	v_mov_b32_e32 v0, 1
	s_and_saveexec_b64 s[6:7], s[0:1]
	s_cbranch_execz .LBB12_1606
; %bb.1610:                             ;   in Loop: Header=BB12_1609 Depth=1
	global_load_dword v0, v[8:9], off offset:20 sc0 sc1
	s_waitcnt vmcnt(0)
	buffer_inv sc0 sc1
	v_and_b32_e32 v0, 1, v0
	s_branch .LBB12_1606
.LBB12_1611:
	s_and_saveexec_b64 s[6:7], s[0:1]
	s_cbranch_execz .LBB12_1614
; %bb.1612:
	v_mov_b32_e32 v6, 0
	global_load_dwordx2 v[4:5], v6, s[2:3] offset:40
	global_load_dwordx2 v[8:9], v6, s[2:3] offset:24 sc0 sc1
	global_load_dwordx2 v[10:11], v6, s[2:3]
	s_mov_b64 s[0:1], 0
	s_waitcnt vmcnt(2)
	v_lshl_add_u64 v[0:1], v[4:5], 0, 1
	v_lshl_add_u64 v[12:13], v[0:1], 0, s[4:5]
	v_cmp_eq_u64_e32 vcc, 0, v[12:13]
	s_waitcnt vmcnt(1)
	v_mov_b32_e32 v2, v8
	v_cndmask_b32_e32 v1, v13, v1, vcc
	v_cndmask_b32_e32 v0, v12, v0, vcc
	v_and_b32_e32 v3, v1, v5
	v_and_b32_e32 v4, v0, v4
	v_mul_lo_u32 v3, v3, 24
	v_mul_hi_u32 v5, v4, 24
	v_mul_lo_u32 v4, v4, 24
	v_add_u32_e32 v5, v5, v3
	s_waitcnt vmcnt(0)
	v_lshl_add_u64 v[4:5], v[10:11], 0, v[4:5]
	global_store_dwordx2 v[4:5], v[8:9], off
	v_mov_b32_e32 v3, v9
	buffer_wbl2 sc0 sc1
	s_waitcnt vmcnt(0)
	global_atomic_cmpswap_x2 v[2:3], v6, v[0:3], s[2:3] offset:24 sc0 sc1
	s_waitcnt vmcnt(0)
	v_cmp_ne_u64_e32 vcc, v[2:3], v[8:9]
	s_and_b64 exec, exec, vcc
	s_cbranch_execz .LBB12_1614
.LBB12_1613:                            ; =>This Inner Loop Header: Depth=1
	s_sleep 1
	global_store_dwordx2 v[4:5], v[2:3], off
	buffer_wbl2 sc0 sc1
	s_waitcnt vmcnt(0)
	global_atomic_cmpswap_x2 v[8:9], v6, v[0:3], s[2:3] offset:24 sc0 sc1
	s_waitcnt vmcnt(0)
	v_cmp_eq_u64_e32 vcc, v[8:9], v[2:3]
	s_or_b64 s[0:1], vcc, s[0:1]
	v_mov_b64_e32 v[2:3], v[8:9]
	s_andn2_b64 exec, exec, s[0:1]
	s_cbranch_execnz .LBB12_1613
.LBB12_1614:
	s_or_b64 exec, exec, s[6:7]
.LBB12_1615:
	s_add_u32 s36, s54, 16
	s_addc_u32 s37, s55, 0
	s_getpc_b64 s[0:1]
	s_add_u32 s0, s0, .str@rel32@lo+4
	s_addc_u32 s1, s1, .str@rel32@hi+12
	s_mov_b64 s[8:9], s[36:37]
	s_waitcnt vmcnt(0)
	v_mov_b32_e32 v0, s0
	v_mov_b32_e32 v1, s1
	s_mov_b64 s[18:19], src_private_base
	s_getpc_b64 s[42:43]
	s_add_u32 s42, s42, _ZNK8migraphx13basic_printerIZNS_4coutEvEUlT_E_ElsEPKc@rel32@lo+4
	s_addc_u32 s43, s43, _ZNK8migraphx13basic_printerIZNS_4coutEvEUlT_E_ElsEPKc@rel32@hi+12
	s_swappc_b64 s[30:31], s[42:43]
	s_getpc_b64 s[0:1]
	s_add_u32 s0, s0, .str.3@rel32@lo+4
	s_addc_u32 s1, s1, .str.3@rel32@hi+12
	s_mov_b64 s[8:9], s[36:37]
	v_mov_b32_e32 v0, s0
	v_mov_b32_e32 v1, s1
	s_swappc_b64 s[30:31], s[42:43]
	s_mov_b64 s[8:9], s[36:37]
	v_mov_b32_e32 v0, 0x48
	v_mov_b32_e32 v1, s19
	s_getpc_b64 s[0:1]
	s_add_u32 s0, s0, _ZN8migraphx4testlsIKNS_13basic_printerIZNS_4coutEvEUlT_E_EEEERS3_S7_RKNS0_10expressionINS0_14lhs_expressionIRNS_5arrayIiLj6EEENS0_3nopEEESC_NS0_5equalEEE@rel32@lo+4
	s_addc_u32 s1, s1, _ZN8migraphx4testlsIKNS_13basic_printerIZNS_4coutEvEUlT_E_EEEERS3_S7_RKNS0_10expressionINS0_14lhs_expressionIRNS_5arrayIiLj6EEENS0_3nopEEESC_NS0_5equalEEE@rel32@hi+12
	s_swappc_b64 s[30:31], s[0:1]
	s_getpc_b64 s[0:1]
	s_add_u32 s0, s0, .str.4@rel32@lo+4
	s_addc_u32 s1, s1, .str.4@rel32@hi+12
	s_mov_b64 s[8:9], s[36:37]
	v_mov_b32_e32 v0, s0
	v_mov_b32_e32 v1, s1
	s_swappc_b64 s[30:31], s[42:43]
	s_mov_b64 s[8:9], s[36:37]
	v_mov_b32_e32 v0, 10
	s_getpc_b64 s[0:1]
	s_add_u32 s0, s0, _ZNK8migraphx13basic_printerIZNS_4coutEvEUlT_E_ElsEc@rel32@lo+4
	s_addc_u32 s1, s1, _ZNK8migraphx13basic_printerIZNS_4coutEvEUlT_E_ElsEc@rel32@hi+12
	s_swappc_b64 s[30:31], s[0:1]
	ds_read_b64 v[0:1], v63
	s_waitcnt lgkmcnt(0)
	flat_load_dword v2, v[0:1]
	s_waitcnt vmcnt(0) lgkmcnt(0)
	v_add_u32_e32 v2, 1, v2
	flat_store_dword v[0:1], v2
.LBB12_1616:
	s_or_b64 exec, exec, s[40:41]
	s_add_u32 s8, s54, 16
	s_addc_u32 s9, s55, 0
	s_mov_b32 s12, s58
	s_mov_b32 s13, s57
	;; [unrolled: 1-line block ×3, first 2 shown]
	s_getpc_b64 s[0:1]
	s_add_u32 s0, s0, _ZN8migraphx4test4failEv@rel32@lo+4
	s_addc_u32 s1, s1, _ZN8migraphx4test4failEv@rel32@hi+12
	s_swappc_b64 s[30:31], s[0:1]
	; divergent unreachable
.LBB12_1617:
	s_andn2_saveexec_b64 s[0:1], s[38:39]
	s_endpgm
	.section	.rodata,"a",@progbits
	.p2align	6, 0x0
	.amdhsa_kernel gpu_test_kernel
		.amdhsa_group_segment_fixed_size 8192
		.amdhsa_private_segment_fixed_size 240
		.amdhsa_kernarg_size 272
		.amdhsa_user_sgpr_count 4
		.amdhsa_user_sgpr_dispatch_ptr 1
		.amdhsa_user_sgpr_queue_ptr 0
		.amdhsa_user_sgpr_kernarg_segment_ptr 1
		.amdhsa_user_sgpr_dispatch_id 0
		.amdhsa_user_sgpr_kernarg_preload_length 0
		.amdhsa_user_sgpr_kernarg_preload_offset 0
		.amdhsa_user_sgpr_private_segment_size 0
		.amdhsa_uses_dynamic_stack 0
		.amdhsa_enable_private_segment 1
		.amdhsa_system_sgpr_workgroup_id_x 1
		.amdhsa_system_sgpr_workgroup_id_y 1
		.amdhsa_system_sgpr_workgroup_id_z 1
		.amdhsa_system_sgpr_workgroup_info 0
		.amdhsa_system_vgpr_workitem_id 2
		.amdhsa_next_free_vgpr 71
		.amdhsa_next_free_sgpr 62
		.amdhsa_accum_offset 68
		.amdhsa_reserve_vcc 1
		.amdhsa_float_round_mode_32 0
		.amdhsa_float_round_mode_16_64 0
		.amdhsa_float_denorm_mode_32 3
		.amdhsa_float_denorm_mode_16_64 3
		.amdhsa_dx10_clamp 1
		.amdhsa_ieee_mode 1
		.amdhsa_fp16_overflow 0
		.amdhsa_tg_split 0
		.amdhsa_exception_fp_ieee_invalid_op 0
		.amdhsa_exception_fp_denorm_src 0
		.amdhsa_exception_fp_ieee_div_zero 0
		.amdhsa_exception_fp_ieee_overflow 0
		.amdhsa_exception_fp_ieee_underflow 0
		.amdhsa_exception_fp_ieee_inexact 0
		.amdhsa_exception_int_div_zero 0
	.end_amdhsa_kernel
	.text
.Lfunc_end12:
	.size	gpu_test_kernel, .Lfunc_end12-gpu_test_kernel
                                        ; -- End function
	.section	.AMDGPU.csdata,"",@progbits
; Kernel info:
; codeLenInByte = 54608
; NumSgprs: 68
; NumVgprs: 66
; NumAgprs: 3
; TotalNumVgprs: 71
; ScratchSize: 240
; MemoryBound: 0
; FloatMode: 240
; IeeeMode: 1
; LDSByteSize: 8192 bytes/workgroup (compile time only)
; SGPRBlocks: 8
; VGPRBlocks: 8
; NumSGPRsForWavesPerEU: 68
; NumVGPRsForWavesPerEU: 71
; AccumOffset: 68
; Occupancy: 7
; WaveLimiterHint : 1
; COMPUTE_PGM_RSRC2:SCRATCH_EN: 1
; COMPUTE_PGM_RSRC2:USER_SGPR: 4
; COMPUTE_PGM_RSRC2:TRAP_HANDLER: 0
; COMPUTE_PGM_RSRC2:TGID_X_EN: 1
; COMPUTE_PGM_RSRC2:TGID_Y_EN: 1
; COMPUTE_PGM_RSRC2:TGID_Z_EN: 1
; COMPUTE_PGM_RSRC2:TIDIG_COMP_CNT: 2
; COMPUTE_PGM_RSRC3_GFX90A:ACCUM_OFFSET: 16
; COMPUTE_PGM_RSRC3_GFX90A:TG_SPLIT: 0
	.text
	.p2alignl 6, 3212836864
	.fill 256, 4, 3212836864
	.type	.str,@object                    ; @.str
	.section	.rodata.str1.1,"aMS",@progbits,1
.str:
	.asciz	"result == expected"
	.size	.str, 19

	.type	__PRETTY_FUNCTION__._ZL23merge_first_all_smallerRN8migraphx4test12test_managerE,@object ; @__PRETTY_FUNCTION__._ZL23merge_first_all_smallerRN8migraphx4test12test_managerE
__PRETTY_FUNCTION__._ZL23merge_first_all_smallerRN8migraphx4test12test_managerE:
	.asciz	"void merge_first_all_smaller(migraphx::test::test_manager &)"
	.size	__PRETTY_FUNCTION__._ZL23merge_first_all_smallerRN8migraphx4test12test_managerE, 61

	.type	.str.1,@object                  ; @.str.1
.str.1:
	.asciz	"/root/src/amdgpu-assembly/repos/ROCm__AMDMIGraphX/_shim/test_algorithm_24_shim.cpp"
	.size	.str.1, 83

	.type	.str.2,@object                  ; @.str.2
.str.2:
	.asciz	"    FAILED: "
	.size	.str.2, 13

	.type	.str.3,@object                  ; @.str.3
.str.3:
	.asciz	" [ "
	.size	.str.3, 4

	.type	.str.4,@object                  ; @.str.4
.str.4:
	.asciz	" ]"
	.size	.str.4, 3

	.type	.str.5,@object                  ; @.str.5
.str.5:
	.asciz	"%s"
	.size	.str.5, 3

	.type	.str.6,@object                  ; @.str.6
.str.6:
	.asciz	"%c"
	.size	.str.6, 3

	.type	.str.7,@object                  ; @.str.7
.str.7:
	.asciz	"%li"
	.size	.str.7, 4

	.type	.str.8,@object                  ; @.str.8
.str.8:
	.asciz	" "
	.size	.str.8, 2

	.type	.str.10,@object                 ; @.str.10
.str.10:
	.asciz	"=="
	.size	.str.10, 3

	.type	.str.11,@object                 ; @.str.11
.str.11:
	.asciz	", "
	.size	.str.11, 3

	.type	__PRETTY_FUNCTION__._ZL22merge_first_all_largerRN8migraphx4test12test_managerE,@object ; @__PRETTY_FUNCTION__._ZL22merge_first_all_largerRN8migraphx4test12test_managerE
__PRETTY_FUNCTION__._ZL22merge_first_all_largerRN8migraphx4test12test_managerE:
	.asciz	"void merge_first_all_larger(migraphx::test::test_manager &)"
	.size	__PRETTY_FUNCTION__._ZL22merge_first_all_largerRN8migraphx4test12test_managerE, 60

	.type	__PRETTY_FUNCTION__._ZL17merge_interleavedRN8migraphx4test12test_managerE,@object ; @__PRETTY_FUNCTION__._ZL17merge_interleavedRN8migraphx4test12test_managerE
__PRETTY_FUNCTION__._ZL17merge_interleavedRN8migraphx4test12test_managerE:
	.asciz	"void merge_interleaved(migraphx::test::test_manager &)"
	.size	__PRETTY_FUNCTION__._ZL17merge_interleavedRN8migraphx4test12test_managerE, 55

	.type	__PRETTY_FUNCTION__._ZL21merge_many_duplicatesRN8migraphx4test12test_managerE,@object ; @__PRETTY_FUNCTION__._ZL21merge_many_duplicatesRN8migraphx4test12test_managerE
__PRETTY_FUNCTION__._ZL21merge_many_duplicatesRN8migraphx4test12test_managerE:
	.asciz	"void merge_many_duplicates(migraphx::test::test_manager &)"
	.size	__PRETTY_FUNCTION__._ZL21merge_many_duplicatesRN8migraphx4test12test_managerE, 59

	.type	__PRETTY_FUNCTION__._ZL24merge_all_equal_elementsRN8migraphx4test12test_managerE,@object ; @__PRETTY_FUNCTION__._ZL24merge_all_equal_elementsRN8migraphx4test12test_managerE
__PRETTY_FUNCTION__._ZL24merge_all_equal_elementsRN8migraphx4test12test_managerE:
	.asciz	"void merge_all_equal_elements(migraphx::test::test_manager &)"
	.size	__PRETTY_FUNCTION__._ZL24merge_all_equal_elementsRN8migraphx4test12test_managerE, 62

	.type	__PRETTY_FUNCTION__._ZL21merge_single_elementsRN8migraphx4test12test_managerE,@object ; @__PRETTY_FUNCTION__._ZL21merge_single_elementsRN8migraphx4test12test_managerE
__PRETTY_FUNCTION__._ZL21merge_single_elementsRN8migraphx4test12test_managerE:
	.asciz	"void merge_single_elements(migraphx::test::test_manager &)"
	.size	__PRETTY_FUNCTION__._ZL21merge_single_elementsRN8migraphx4test12test_managerE, 59

	.type	__hip_cuid_290a3942aa10e723,@object ; @__hip_cuid_290a3942aa10e723
	.section	.bss,"aw",@nobits
	.globl	__hip_cuid_290a3942aa10e723
__hip_cuid_290a3942aa10e723:
	.byte	0                               ; 0x0
	.size	__hip_cuid_290a3942aa10e723, 1

	.ident	"AMD clang version 19.0.0git (https://github.com/RadeonOpenCompute/llvm-project roc-6.4.0 25133 c7fe45cf4b819c5991fe208aaa96edf142730f1d)"
	.section	".note.GNU-stack","",@progbits
	.addrsig
	.addrsig_sym __hip_cuid_290a3942aa10e723
	.amdgpu_metadata
---
amdhsa.kernels:
  - .agpr_count:     3
    .args:
      - .offset:         0
        .size:           4
        .value_kind:     by_value
      - .address_space:  global
        .offset:         8
        .size:           8
        .value_kind:     global_buffer
      - .offset:         16
        .size:           4
        .value_kind:     hidden_block_count_x
      - .offset:         20
        .size:           4
        .value_kind:     hidden_block_count_y
      - .offset:         24
        .size:           4
        .value_kind:     hidden_block_count_z
      - .offset:         28
        .size:           2
        .value_kind:     hidden_group_size_x
      - .offset:         30
        .size:           2
        .value_kind:     hidden_group_size_y
      - .offset:         32
        .size:           2
        .value_kind:     hidden_group_size_z
      - .offset:         34
        .size:           2
        .value_kind:     hidden_remainder_x
      - .offset:         36
        .size:           2
        .value_kind:     hidden_remainder_y
      - .offset:         38
        .size:           2
        .value_kind:     hidden_remainder_z
      - .offset:         56
        .size:           8
        .value_kind:     hidden_global_offset_x
      - .offset:         64
        .size:           8
        .value_kind:     hidden_global_offset_y
      - .offset:         72
        .size:           8
        .value_kind:     hidden_global_offset_z
      - .offset:         80
        .size:           2
        .value_kind:     hidden_grid_dims
      - .offset:         96
        .size:           8
        .value_kind:     hidden_hostcall_buffer
    .group_segment_fixed_size: 8192
    .kernarg_segment_align: 8
    .kernarg_segment_size: 272
    .language:       OpenCL C
    .language_version:
      - 2
      - 0
    .max_flat_workgroup_size: 1024
    .name:           gpu_test_kernel
    .private_segment_fixed_size: 240
    .sgpr_count:     68
    .sgpr_spill_count: 0
    .symbol:         gpu_test_kernel.kd
    .uniform_work_group_size: 1
    .uses_dynamic_stack: false
    .vgpr_count:     71
    .vgpr_spill_count: 0
    .wavefront_size: 64
amdhsa.target:   amdgcn-amd-amdhsa--gfx950
amdhsa.version:
  - 1
  - 2
...

	.end_amdgpu_metadata
